;; amdgpu-corpus repo=ROCm/rocSOLVER kind=compiled arch=gfx1100 opt=O3
	.text
	.amdgcn_target "amdgcn-amd-amdhsa--gfx1100"
	.amdhsa_code_object_version 6
	.section	.text._ZN9rocsolver6v33100L19stedc_update_splitsEiiiPi,"axG",@progbits,_ZN9rocsolver6v33100L19stedc_update_splitsEiiiPi,comdat
	.globl	_ZN9rocsolver6v33100L19stedc_update_splitsEiiiPi ; -- Begin function _ZN9rocsolver6v33100L19stedc_update_splitsEiiiPi
	.p2align	8
	.type	_ZN9rocsolver6v33100L19stedc_update_splitsEiiiPi,@function
_ZN9rocsolver6v33100L19stedc_update_splitsEiiiPi: ; @_ZN9rocsolver6v33100L19stedc_update_splitsEiiiPi
; %bb.0:
	s_clause 0x1
	s_load_b128 s[4:7], s[0:1], 0x0
	s_load_b64 s[2:3], s[0:1], 0x10
	s_mov_b32 s19, 0
	s_waitcnt lgkmcnt(0)
	s_mul_i32 s7, s15, s6
	s_mul_i32 s16, s6, -12
	s_mul_i32 s8, s7, 13
	s_mul_hi_i32 s17, s6, -12
	s_ashr_i32 s9, s8, 31
	s_delay_alu instid0(SALU_CYCLE_1) | instskip(NEXT) | instid1(SALU_CYCLE_1)
	s_lshl_b64 s[8:9], s[8:9], 2
	s_add_u32 s14, s2, s8
	s_addc_u32 s15, s3, s9
	s_lshl_b32 s10, s6, 2
	s_delay_alu instid0(SALU_CYCLE_1) | instskip(NEXT) | instid1(SALU_CYCLE_1)
	s_ashr_i32 s11, s10, 31
	s_lshl_b64 s[10:11], s[10:11], 2
	s_delay_alu instid0(SALU_CYCLE_1)
	s_add_u32 s12, s14, s10
	s_addc_u32 s13, s15, s11
	s_ashr_i32 s7, s6, 31
	s_add_u32 s16, s12, s16
	s_addc_u32 s17, s13, s17
	s_lshl_b32 s18, 1, s4
	s_cmp_eq_u32 s5, 0
	v_cmp_gt_i32_e32 vcc_lo, s18, v0
	s_cselect_b32 s20, -1, 0
	s_delay_alu instid0(SALU_CYCLE_1) | instskip(NEXT) | instid1(SALU_CYCLE_1)
	s_and_b32 s21, s20, vcc_lo
	s_and_saveexec_b32 s20, s21
	s_cbranch_execz .LBB0_6
; %bb.1:
	s_load_b32 s21, s[0:1], 0x24
	v_mov_b32_e32 v1, v0
	s_waitcnt lgkmcnt(0)
	s_and_b32 s21, s21, 0xffff
	s_add_u32 s8, s8, s10
	s_addc_u32 s9, s9, s11
	s_add_u32 s8, s2, s8
	s_addc_u32 s3, s3, s9
	s_set_inst_prefetch_distance 0x1
	s_branch .LBB0_3
	.p2align	6
.LBB0_2:                                ;   in Loop: Header=BB0_3 Depth=1
	s_or_b32 exec_lo, exec_lo, s9
	v_add_nc_u32_e32 v1, s21, v1
	s_delay_alu instid0(VALU_DEP_1) | instskip(SKIP_1) | instid1(SALU_CYCLE_1)
	v_cmp_le_i32_e32 vcc_lo, s18, v1
	s_or_b32 s19, vcc_lo, s19
	s_and_not1_b32 exec_lo, exec_lo, s19
	s_cbranch_execz .LBB0_6
.LBB0_3:                                ; =>This Loop Header: Depth=1
                                        ;     Child Loop BB0_5 Depth 2
	v_ashrrev_i32_e32 v2, 31, v1
	s_mov_b32 s9, exec_lo
	s_delay_alu instid0(VALU_DEP_1) | instskip(NEXT) | instid1(VALU_DEP_1)
	v_lshlrev_b64 v[2:3], 2, v[1:2]
	v_add_co_u32 v4, vcc_lo, s14, v2
	s_delay_alu instid0(VALU_DEP_2)
	v_add_co_ci_u32_e32 v5, vcc_lo, s15, v3, vcc_lo
	global_load_b32 v4, v[4:5], off
	s_waitcnt vmcnt(0)
	v_cmpx_lt_i32_e32 0, v4
	s_cbranch_execz .LBB0_2
; %bb.4:                                ;   in Loop: Header=BB0_3 Depth=1
	v_add_co_u32 v2, vcc_lo, s16, v2
	v_add_co_ci_u32_e32 v3, vcc_lo, s17, v3, vcc_lo
	s_mov_b32 s10, 0
	global_load_b32 v2, v[2:3], off
	s_waitcnt vmcnt(0)
	v_ashrrev_i32_e32 v3, 31, v2
	s_delay_alu instid0(VALU_DEP_1) | instskip(NEXT) | instid1(VALU_DEP_1)
	v_lshlrev_b64 v[2:3], 2, v[2:3]
	v_add_co_u32 v2, vcc_lo, s8, v2
	s_delay_alu instid0(VALU_DEP_2)
	v_add_co_ci_u32_e32 v3, vcc_lo, s3, v3, vcc_lo
.LBB0_5:                                ;   Parent Loop BB0_3 Depth=1
                                        ; =>  This Inner Loop Header: Depth=2
	v_add_nc_u32_e32 v4, -1, v4
	global_store_b32 v[2:3], v1, off
	v_add_co_u32 v2, s2, v2, 4
	s_delay_alu instid0(VALU_DEP_1) | instskip(SKIP_2) | instid1(SALU_CYCLE_1)
	v_add_co_ci_u32_e64 v3, s2, 0, v3, s2
	v_cmp_eq_u32_e32 vcc_lo, 0, v4
	s_or_b32 s10, vcc_lo, s10
	s_and_not1_b32 exec_lo, exec_lo, s10
	s_cbranch_execnz .LBB0_5
	s_branch .LBB0_2
.LBB0_6:
	s_set_inst_prefetch_distance 0x2
	s_or_b32 exec_lo, exec_lo, s20
	s_lshl_b64 s[2:3], s[6:7], 4
	s_mov_b32 s22, exec_lo
	s_add_u32 s10, s16, s2
	s_addc_u32 s11, s17, s3
	s_lshl_b64 s[8:9], s[6:7], 2
	s_delay_alu instid0(SALU_CYCLE_1)
	s_add_u32 s7, s10, s8
	s_addc_u32 s18, s11, s9
	s_add_u32 s20, s8, s16
	s_addc_u32 s21, s9, s17
	;; [unrolled: 2-line block ×3, first 2 shown]
	s_not_b32 s2, s5
	s_delay_alu instid0(SALU_CYCLE_1) | instskip(NEXT) | instid1(SALU_CYCLE_1)
	s_add_i32 s4, s2, s4
	s_lshl_b32 s5, 2, s4
	s_delay_alu instid0(SALU_CYCLE_1)
	v_cmpx_gt_i32_e64 s5, v0
	s_cbranch_execz .LBB0_9
; %bb.7:
	s_load_b32 s2, s[0:1], 0x24
	v_mov_b32_e32 v1, v0
	s_mov_b32 s24, 0
	s_waitcnt lgkmcnt(0)
	s_and_b32 s23, s2, 0xffff
	.p2align	6
.LBB0_8:                                ; =>This Inner Loop Header: Depth=1
	s_delay_alu instid0(VALU_DEP_1) | instskip(NEXT) | instid1(VALU_DEP_1)
	v_ashrrev_i32_e32 v2, 31, v1
	v_lshlrev_b64 v[2:3], 2, v[1:2]
	v_add_nc_u32_e32 v1, s23, v1
	s_delay_alu instid0(VALU_DEP_2) | instskip(NEXT) | instid1(VALU_DEP_3)
	v_add_co_u32 v4, vcc_lo, s14, v2
	v_add_co_ci_u32_e32 v5, vcc_lo, s15, v3, vcc_lo
	global_load_b32 v8, v[4:5], off
	v_add_co_u32 v4, vcc_lo, s20, v2
	v_add_co_ci_u32_e32 v5, vcc_lo, s21, v3, vcc_lo
	v_add_co_u32 v6, vcc_lo, s16, v2
	v_add_co_ci_u32_e32 v7, vcc_lo, s17, v3, vcc_lo
	v_cmp_le_i32_e32 vcc_lo, s5, v1
	v_add_co_u32 v2, s2, s3, v2
	s_delay_alu instid0(VALU_DEP_1)
	v_add_co_ci_u32_e64 v3, s2, s19, v3, s2
	s_or_b32 s24, vcc_lo, s24
	s_waitcnt vmcnt(0)
	global_store_b32 v[4:5], v8, off
	global_load_b32 v4, v[6:7], off
	s_waitcnt vmcnt(0)
	global_store_b32 v[2:3], v4, off
	s_and_not1_b32 exec_lo, exec_lo, s24
	s_cbranch_execnz .LBB0_8
.LBB0_9:
	s_or_b32 exec_lo, exec_lo, s22
	s_lshl_b32 s4, 1, s4
	s_mov_b32 s5, exec_lo
	s_waitcnt_vscnt null, 0x0
	s_barrier
	buffer_gl0_inv
	v_cmpx_gt_i32_e64 s4, v0
	s_cbranch_execz .LBB0_12
; %bb.10:
	s_load_b32 s2, s[0:1], 0x24
	v_lshlrev_b32_e32 v1, 1, v0
	v_mov_b32_e32 v3, v0
	s_mov_b32 s24, 0
	s_waitcnt lgkmcnt(0)
	s_and_b32 s22, s2, 0xffff
	s_delay_alu instid0(SALU_CYCLE_1)
	s_lshl_b32 s23, s22, 1
	s_set_inst_prefetch_distance 0x1
	.p2align	6
.LBB0_11:                               ; =>This Inner Loop Header: Depth=1
	v_ashrrev_i32_e32 v2, 31, v1
	s_delay_alu instid0(VALU_DEP_1) | instskip(SKIP_1) | instid1(VALU_DEP_2)
	v_lshlrev_b64 v[4:5], 2, v[1:2]
	v_add_nc_u32_e32 v1, s23, v1
	v_add_co_u32 v6, vcc_lo, s20, v4
	s_delay_alu instid0(VALU_DEP_3)
	v_add_co_ci_u32_e32 v7, vcc_lo, s21, v5, vcc_lo
	v_add_co_u32 v4, vcc_lo, s3, v4
	v_add_co_ci_u32_e32 v5, vcc_lo, s19, v5, vcc_lo
	global_load_b64 v[6:7], v[6:7], off
	global_load_b32 v2, v[4:5], off
	v_ashrrev_i32_e32 v4, 31, v3
	s_delay_alu instid0(VALU_DEP_1) | instskip(SKIP_1) | instid1(VALU_DEP_1)
	v_lshlrev_b64 v[4:5], 2, v[3:4]
	v_add_nc_u32_e32 v3, s22, v3
	v_cmp_le_i32_e32 vcc_lo, s4, v3
	s_delay_alu instid0(VALU_DEP_3) | instskip(NEXT) | instid1(VALU_DEP_1)
	v_add_co_u32 v8, s2, s14, v4
	v_add_co_ci_u32_e64 v9, s2, s15, v5, s2
	v_add_co_u32 v4, s2, s16, v4
	s_delay_alu instid0(VALU_DEP_1)
	v_add_co_ci_u32_e64 v5, s2, s17, v5, s2
	s_or_b32 s24, vcc_lo, s24
	s_waitcnt vmcnt(1)
	v_add_nc_u32_e32 v6, v7, v6
	global_store_b32 v[8:9], v6, off
	s_waitcnt vmcnt(0)
	global_store_b32 v[4:5], v2, off
	s_and_not1_b32 exec_lo, exec_lo, s24
	s_cbranch_execnz .LBB0_11
.LBB0_12:
	s_set_inst_prefetch_distance 0x2
	s_or_b32 exec_lo, exec_lo, s5
	v_cmp_gt_i32_e32 vcc_lo, s6, v0
	s_waitcnt_vscnt null, 0x0
	s_barrier
	buffer_gl0_inv
	s_and_saveexec_b32 s4, vcc_lo
	s_cbranch_execz .LBB0_15
; %bb.13:
	s_load_b32 s2, s[0:1], 0x24
	s_mul_i32 s5, s6, 28
	s_mul_hi_i32 s20, s6, 28
	v_mov_b32_e32 v3, 0
	v_mov_b32_e32 v1, v0
	s_add_u32 s5, s3, s5
	s_addc_u32 s19, s19, s20
	s_sub_u32 s8, s5, s8
	s_subb_u32 s9, s19, s9
	s_mov_b32 s21, 0
	s_waitcnt lgkmcnt(0)
	s_and_b32 s20, s2, 0xffff
.LBB0_14:                               ; =>This Inner Loop Header: Depth=1
	v_ashrrev_i32_e32 v2, 31, v1
	s_delay_alu instid0(VALU_DEP_1) | instskip(SKIP_1) | instid1(VALU_DEP_2)
	v_lshlrev_b64 v[4:5], 2, v[1:2]
	v_add_nc_u32_e32 v1, s20, v1
	v_add_co_u32 v6, s2, s12, v4
	s_delay_alu instid0(VALU_DEP_1) | instskip(SKIP_3) | instid1(VALU_DEP_1)
	v_add_co_ci_u32_e64 v7, s2, s13, v5, s2
	global_load_b32 v2, v[6:7], off
	s_waitcnt vmcnt(0)
	v_lshrrev_b32_e32 v6, 31, v2
	v_add_nc_u32_e32 v2, v2, v6
	s_delay_alu instid0(VALU_DEP_1) | instskip(NEXT) | instid1(VALU_DEP_1)
	v_ashrrev_i32_e32 v6, 1, v2
	v_ashrrev_i32_e32 v7, 31, v6
	s_delay_alu instid0(VALU_DEP_1) | instskip(NEXT) | instid1(VALU_DEP_1)
	v_lshlrev_b64 v[6:7], 2, v[6:7]
	v_add_co_u32 v8, s2, s14, v6
	s_delay_alu instid0(VALU_DEP_1) | instskip(SKIP_2) | instid1(VALU_DEP_1)
	v_add_co_ci_u32_e64 v9, s2, s15, v7, s2
	global_load_b32 v2, v[8:9], off
	v_add_co_u32 v8, s2, s10, v4
	v_add_co_ci_u32_e64 v9, s2, s11, v5, s2
	v_add_co_u32 v6, s2, s16, v6
	s_delay_alu instid0(VALU_DEP_1) | instskip(SKIP_1) | instid1(VALU_DEP_1)
	v_add_co_ci_u32_e64 v7, s2, s17, v7, s2
	v_cmp_le_i32_e64 s2, s6, v1
	s_or_b32 s21, s2, s21
	s_waitcnt vmcnt(0)
	global_store_b32 v[8:9], v2, off
	global_load_b32 v2, v[6:7], off
	v_add_co_u32 v6, s3, s7, v4
	s_delay_alu instid0(VALU_DEP_1) | instskip(SKIP_1) | instid1(VALU_DEP_1)
	v_add_co_ci_u32_e64 v7, s3, s18, v5, s3
	v_add_co_u32 v8, s3, s5, v4
	v_add_co_ci_u32_e64 v9, s3, s19, v5, s3
	v_add_co_u32 v4, s3, s8, v4
	s_delay_alu instid0(VALU_DEP_1)
	v_add_co_ci_u32_e64 v5, s3, s9, v5, s3
	s_waitcnt vmcnt(0)
	global_store_b32 v[6:7], v2, off
	global_store_b32 v[8:9], v3, off
	;; [unrolled: 1-line block ×3, first 2 shown]
	s_and_not1_b32 exec_lo, exec_lo, s21
	s_cbranch_execnz .LBB0_14
.LBB0_15:
	s_or_b32 exec_lo, exec_lo, s4
	s_waitcnt_vscnt null, 0x0
	s_barrier
	buffer_gl0_inv
	s_and_saveexec_b32 s2, vcc_lo
	s_cbranch_execz .LBB0_18
; %bb.16:
	s_load_b32 s0, s[0:1], 0x24
	s_mov_b32 s1, 0
	s_waitcnt lgkmcnt(0)
	s_and_b32 s0, s0, 0xffff
	.p2align	6
.LBB0_17:                               ; =>This Inner Loop Header: Depth=1
	v_ashrrev_i32_e32 v1, 31, v0
	s_delay_alu instid0(VALU_DEP_1) | instskip(SKIP_1) | instid1(VALU_DEP_2)
	v_lshlrev_b64 v[1:2], 2, v[0:1]
	v_add_nc_u32_e32 v0, s0, v0
	v_add_co_u32 v1, vcc_lo, s12, v1
	s_delay_alu instid0(VALU_DEP_3) | instskip(NEXT) | instid1(VALU_DEP_3)
	v_add_co_ci_u32_e32 v2, vcc_lo, s13, v2, vcc_lo
	v_cmp_le_i32_e32 vcc_lo, s6, v0
	global_load_b32 v3, v[1:2], off
	s_or_b32 s1, vcc_lo, s1
	s_waitcnt vmcnt(0)
	v_lshrrev_b32_e32 v4, 31, v3
	s_delay_alu instid0(VALU_DEP_1) | instskip(NEXT) | instid1(VALU_DEP_1)
	v_add_nc_u32_e32 v3, v3, v4
	v_ashrrev_i32_e32 v3, 1, v3
	global_store_b32 v[1:2], v3, off
	s_and_not1_b32 exec_lo, exec_lo, s1
	s_cbranch_execnz .LBB0_17
.LBB0_18:
	s_nop 0
	s_sendmsg sendmsg(MSG_DEALLOC_VGPRS)
	s_endpgm
	.section	.rodata,"a",@progbits
	.p2align	6, 0x0
	.amdhsa_kernel _ZN9rocsolver6v33100L19stedc_update_splitsEiiiPi
		.amdhsa_group_segment_fixed_size 0
		.amdhsa_private_segment_fixed_size 0
		.amdhsa_kernarg_size 280
		.amdhsa_user_sgpr_count 14
		.amdhsa_user_sgpr_dispatch_ptr 0
		.amdhsa_user_sgpr_queue_ptr 0
		.amdhsa_user_sgpr_kernarg_segment_ptr 1
		.amdhsa_user_sgpr_dispatch_id 0
		.amdhsa_user_sgpr_private_segment_size 0
		.amdhsa_wavefront_size32 1
		.amdhsa_uses_dynamic_stack 0
		.amdhsa_enable_private_segment 0
		.amdhsa_system_sgpr_workgroup_id_x 1
		.amdhsa_system_sgpr_workgroup_id_y 1
		.amdhsa_system_sgpr_workgroup_id_z 0
		.amdhsa_system_sgpr_workgroup_info 0
		.amdhsa_system_vgpr_workitem_id 0
		.amdhsa_next_free_vgpr 10
		.amdhsa_next_free_sgpr 25
		.amdhsa_reserve_vcc 1
		.amdhsa_float_round_mode_32 0
		.amdhsa_float_round_mode_16_64 0
		.amdhsa_float_denorm_mode_32 3
		.amdhsa_float_denorm_mode_16_64 3
		.amdhsa_dx10_clamp 1
		.amdhsa_ieee_mode 1
		.amdhsa_fp16_overflow 0
		.amdhsa_workgroup_processor_mode 1
		.amdhsa_memory_ordered 1
		.amdhsa_forward_progress 0
		.amdhsa_shared_vgpr_count 0
		.amdhsa_exception_fp_ieee_invalid_op 0
		.amdhsa_exception_fp_denorm_src 0
		.amdhsa_exception_fp_ieee_div_zero 0
		.amdhsa_exception_fp_ieee_overflow 0
		.amdhsa_exception_fp_ieee_underflow 0
		.amdhsa_exception_fp_ieee_inexact 0
		.amdhsa_exception_int_div_zero 0
	.end_amdhsa_kernel
	.section	.text._ZN9rocsolver6v33100L19stedc_update_splitsEiiiPi,"axG",@progbits,_ZN9rocsolver6v33100L19stedc_update_splitsEiiiPi,comdat
.Lfunc_end0:
	.size	_ZN9rocsolver6v33100L19stedc_update_splitsEiiiPi, .Lfunc_end0-_ZN9rocsolver6v33100L19stedc_update_splitsEiiiPi
                                        ; -- End function
	.section	.AMDGPU.csdata,"",@progbits
; Kernel info:
; codeLenInByte = 1400
; NumSgprs: 27
; NumVgprs: 10
; ScratchSize: 0
; MemoryBound: 0
; FloatMode: 240
; IeeeMode: 1
; LDSByteSize: 0 bytes/workgroup (compile time only)
; SGPRBlocks: 3
; VGPRBlocks: 1
; NumSGPRsForWavesPerEU: 27
; NumVGPRsForWavesPerEU: 10
; Occupancy: 16
; WaveLimiterHint : 1
; COMPUTE_PGM_RSRC2:SCRATCH_EN: 0
; COMPUTE_PGM_RSRC2:USER_SGPR: 14
; COMPUTE_PGM_RSRC2:TRAP_HANDLER: 0
; COMPUTE_PGM_RSRC2:TGID_X_EN: 1
; COMPUTE_PGM_RSRC2:TGID_Y_EN: 1
; COMPUTE_PGM_RSRC2:TGID_Z_EN: 0
; COMPUTE_PGM_RSRC2:TIDIG_COMP_CNT: 0
	.section	.text._ZN9rocsolver6v33100L6iota_nIfEEvPT_jS2_,"axG",@progbits,_ZN9rocsolver6v33100L6iota_nIfEEvPT_jS2_,comdat
	.globl	_ZN9rocsolver6v33100L6iota_nIfEEvPT_jS2_ ; -- Begin function _ZN9rocsolver6v33100L6iota_nIfEEvPT_jS2_
	.p2align	8
	.type	_ZN9rocsolver6v33100L6iota_nIfEEvPT_jS2_,@function
_ZN9rocsolver6v33100L6iota_nIfEEvPT_jS2_: ; @_ZN9rocsolver6v33100L6iota_nIfEEvPT_jS2_
; %bb.0:
	s_load_b64 s[2:3], s[0:1], 0x8
	s_waitcnt lgkmcnt(0)
	v_cmp_gt_u32_e32 vcc_lo, s2, v0
	s_and_saveexec_b32 s2, vcc_lo
	s_cbranch_execz .LBB1_2
; %bb.1:
	s_load_b64 s[0:1], s[0:1], 0x0
	v_cvt_f32_ubyte0_e32 v1, v0
	s_delay_alu instid0(VALU_DEP_1)
	v_dual_add_f32 v1, s3, v1 :: v_dual_lshlrev_b32 v0, 2, v0
	s_waitcnt lgkmcnt(0)
	global_store_b32 v0, v1, s[0:1]
.LBB1_2:
	s_nop 0
	s_sendmsg sendmsg(MSG_DEALLOC_VGPRS)
	s_endpgm
	.section	.rodata,"a",@progbits
	.p2align	6, 0x0
	.amdhsa_kernel _ZN9rocsolver6v33100L6iota_nIfEEvPT_jS2_
		.amdhsa_group_segment_fixed_size 0
		.amdhsa_private_segment_fixed_size 0
		.amdhsa_kernarg_size 16
		.amdhsa_user_sgpr_count 15
		.amdhsa_user_sgpr_dispatch_ptr 0
		.amdhsa_user_sgpr_queue_ptr 0
		.amdhsa_user_sgpr_kernarg_segment_ptr 1
		.amdhsa_user_sgpr_dispatch_id 0
		.amdhsa_user_sgpr_private_segment_size 0
		.amdhsa_wavefront_size32 1
		.amdhsa_uses_dynamic_stack 0
		.amdhsa_enable_private_segment 0
		.amdhsa_system_sgpr_workgroup_id_x 1
		.amdhsa_system_sgpr_workgroup_id_y 0
		.amdhsa_system_sgpr_workgroup_id_z 0
		.amdhsa_system_sgpr_workgroup_info 0
		.amdhsa_system_vgpr_workitem_id 0
		.amdhsa_next_free_vgpr 2
		.amdhsa_next_free_sgpr 4
		.amdhsa_reserve_vcc 1
		.amdhsa_float_round_mode_32 0
		.amdhsa_float_round_mode_16_64 0
		.amdhsa_float_denorm_mode_32 3
		.amdhsa_float_denorm_mode_16_64 3
		.amdhsa_dx10_clamp 1
		.amdhsa_ieee_mode 1
		.amdhsa_fp16_overflow 0
		.amdhsa_workgroup_processor_mode 1
		.amdhsa_memory_ordered 1
		.amdhsa_forward_progress 0
		.amdhsa_shared_vgpr_count 0
		.amdhsa_exception_fp_ieee_invalid_op 0
		.amdhsa_exception_fp_denorm_src 0
		.amdhsa_exception_fp_ieee_div_zero 0
		.amdhsa_exception_fp_ieee_overflow 0
		.amdhsa_exception_fp_ieee_underflow 0
		.amdhsa_exception_fp_ieee_inexact 0
		.amdhsa_exception_int_div_zero 0
	.end_amdhsa_kernel
	.section	.text._ZN9rocsolver6v33100L6iota_nIfEEvPT_jS2_,"axG",@progbits,_ZN9rocsolver6v33100L6iota_nIfEEvPT_jS2_,comdat
.Lfunc_end1:
	.size	_ZN9rocsolver6v33100L6iota_nIfEEvPT_jS2_, .Lfunc_end1-_ZN9rocsolver6v33100L6iota_nIfEEvPT_jS2_
                                        ; -- End function
	.section	.AMDGPU.csdata,"",@progbits
; Kernel info:
; codeLenInByte = 72
; NumSgprs: 6
; NumVgprs: 2
; ScratchSize: 0
; MemoryBound: 0
; FloatMode: 240
; IeeeMode: 1
; LDSByteSize: 0 bytes/workgroup (compile time only)
; SGPRBlocks: 0
; VGPRBlocks: 0
; NumSGPRsForWavesPerEU: 6
; NumVGPRsForWavesPerEU: 2
; Occupancy: 16
; WaveLimiterHint : 0
; COMPUTE_PGM_RSRC2:SCRATCH_EN: 0
; COMPUTE_PGM_RSRC2:USER_SGPR: 15
; COMPUTE_PGM_RSRC2:TRAP_HANDLER: 0
; COMPUTE_PGM_RSRC2:TGID_X_EN: 1
; COMPUTE_PGM_RSRC2:TGID_Y_EN: 0
; COMPUTE_PGM_RSRC2:TGID_Z_EN: 0
; COMPUTE_PGM_RSRC2:TIDIG_COMP_CNT: 0
	.section	.text._ZN9rocsolver6v33100L10reset_infoIiiiEEvPT_T0_T1_S4_,"axG",@progbits,_ZN9rocsolver6v33100L10reset_infoIiiiEEvPT_T0_T1_S4_,comdat
	.globl	_ZN9rocsolver6v33100L10reset_infoIiiiEEvPT_T0_T1_S4_ ; -- Begin function _ZN9rocsolver6v33100L10reset_infoIiiiEEvPT_T0_T1_S4_
	.p2align	8
	.type	_ZN9rocsolver6v33100L10reset_infoIiiiEEvPT_T0_T1_S4_,@function
_ZN9rocsolver6v33100L10reset_infoIiiiEEvPT_T0_T1_S4_: ; @_ZN9rocsolver6v33100L10reset_infoIiiiEEvPT_T0_T1_S4_
; %bb.0:
	s_clause 0x1
	s_load_b32 s2, s[0:1], 0x24
	s_load_b128 s[4:7], s[0:1], 0x8
	s_waitcnt lgkmcnt(0)
	s_and_b32 s2, s2, 0xffff
	s_delay_alu instid0(SALU_CYCLE_1) | instskip(SKIP_1) | instid1(VALU_DEP_1)
	v_mad_u64_u32 v[1:2], null, s15, s2, v[0:1]
	s_mov_b32 s2, exec_lo
	v_cmpx_gt_i32_e64 s4, v1
	s_cbranch_execz .LBB2_2
; %bb.1:
	s_load_b64 s[0:1], s[0:1], 0x0
	v_ashrrev_i32_e32 v2, 31, v1
	s_mov_b32 s2, s5
	s_delay_alu instid0(SALU_CYCLE_1) | instskip(NEXT) | instid1(VALU_DEP_2)
	v_mad_u64_u32 v[4:5], null, v1, s6, s[2:3]
	v_lshlrev_b64 v[2:3], 2, v[1:2]
	s_waitcnt lgkmcnt(0)
	s_delay_alu instid0(VALU_DEP_1) | instskip(NEXT) | instid1(VALU_DEP_2)
	v_add_co_u32 v0, vcc_lo, s0, v2
	v_add_co_ci_u32_e32 v1, vcc_lo, s1, v3, vcc_lo
	global_store_b32 v[0:1], v4, off
.LBB2_2:
	s_nop 0
	s_sendmsg sendmsg(MSG_DEALLOC_VGPRS)
	s_endpgm
	.section	.rodata,"a",@progbits
	.p2align	6, 0x0
	.amdhsa_kernel _ZN9rocsolver6v33100L10reset_infoIiiiEEvPT_T0_T1_S4_
		.amdhsa_group_segment_fixed_size 0
		.amdhsa_private_segment_fixed_size 0
		.amdhsa_kernarg_size 280
		.amdhsa_user_sgpr_count 15
		.amdhsa_user_sgpr_dispatch_ptr 0
		.amdhsa_user_sgpr_queue_ptr 0
		.amdhsa_user_sgpr_kernarg_segment_ptr 1
		.amdhsa_user_sgpr_dispatch_id 0
		.amdhsa_user_sgpr_private_segment_size 0
		.amdhsa_wavefront_size32 1
		.amdhsa_uses_dynamic_stack 0
		.amdhsa_enable_private_segment 0
		.amdhsa_system_sgpr_workgroup_id_x 1
		.amdhsa_system_sgpr_workgroup_id_y 0
		.amdhsa_system_sgpr_workgroup_id_z 0
		.amdhsa_system_sgpr_workgroup_info 0
		.amdhsa_system_vgpr_workitem_id 0
		.amdhsa_next_free_vgpr 6
		.amdhsa_next_free_sgpr 16
		.amdhsa_reserve_vcc 1
		.amdhsa_float_round_mode_32 0
		.amdhsa_float_round_mode_16_64 0
		.amdhsa_float_denorm_mode_32 3
		.amdhsa_float_denorm_mode_16_64 3
		.amdhsa_dx10_clamp 1
		.amdhsa_ieee_mode 1
		.amdhsa_fp16_overflow 0
		.amdhsa_workgroup_processor_mode 1
		.amdhsa_memory_ordered 1
		.amdhsa_forward_progress 0
		.amdhsa_shared_vgpr_count 0
		.amdhsa_exception_fp_ieee_invalid_op 0
		.amdhsa_exception_fp_denorm_src 0
		.amdhsa_exception_fp_ieee_div_zero 0
		.amdhsa_exception_fp_ieee_overflow 0
		.amdhsa_exception_fp_ieee_underflow 0
		.amdhsa_exception_fp_ieee_inexact 0
		.amdhsa_exception_int_div_zero 0
	.end_amdhsa_kernel
	.section	.text._ZN9rocsolver6v33100L10reset_infoIiiiEEvPT_T0_T1_S4_,"axG",@progbits,_ZN9rocsolver6v33100L10reset_infoIiiiEEvPT_T0_T1_S4_,comdat
.Lfunc_end2:
	.size	_ZN9rocsolver6v33100L10reset_infoIiiiEEvPT_T0_T1_S4_, .Lfunc_end2-_ZN9rocsolver6v33100L10reset_infoIiiiEEvPT_T0_T1_S4_
                                        ; -- End function
	.section	.AMDGPU.csdata,"",@progbits
; Kernel info:
; codeLenInByte = 136
; NumSgprs: 18
; NumVgprs: 6
; ScratchSize: 0
; MemoryBound: 0
; FloatMode: 240
; IeeeMode: 1
; LDSByteSize: 0 bytes/workgroup (compile time only)
; SGPRBlocks: 2
; VGPRBlocks: 0
; NumSGPRsForWavesPerEU: 18
; NumVGPRsForWavesPerEU: 6
; Occupancy: 16
; WaveLimiterHint : 0
; COMPUTE_PGM_RSRC2:SCRATCH_EN: 0
; COMPUTE_PGM_RSRC2:USER_SGPR: 15
; COMPUTE_PGM_RSRC2:TRAP_HANDLER: 0
; COMPUTE_PGM_RSRC2:TGID_X_EN: 1
; COMPUTE_PGM_RSRC2:TGID_Y_EN: 0
; COMPUTE_PGM_RSRC2:TGID_Z_EN: 0
; COMPUTE_PGM_RSRC2:TIDIG_COMP_CNT: 0
	.section	.text._ZN9rocsolver6v33100L16syev_scalar_caseIfPfTnNSt9enable_ifIXnt18rocblas_is_complexIT_EEiE4typeELi0EEEv14rocblas_evect_T0_lPS4_li,"axG",@progbits,_ZN9rocsolver6v33100L16syev_scalar_caseIfPfTnNSt9enable_ifIXnt18rocblas_is_complexIT_EEiE4typeELi0EEEv14rocblas_evect_T0_lPS4_li,comdat
	.globl	_ZN9rocsolver6v33100L16syev_scalar_caseIfPfTnNSt9enable_ifIXnt18rocblas_is_complexIT_EEiE4typeELi0EEEv14rocblas_evect_T0_lPS4_li ; -- Begin function _ZN9rocsolver6v33100L16syev_scalar_caseIfPfTnNSt9enable_ifIXnt18rocblas_is_complexIT_EEiE4typeELi0EEEv14rocblas_evect_T0_lPS4_li
	.p2align	8
	.type	_ZN9rocsolver6v33100L16syev_scalar_caseIfPfTnNSt9enable_ifIXnt18rocblas_is_complexIT_EEiE4typeELi0EEEv14rocblas_evect_T0_lPS4_li,@function
_ZN9rocsolver6v33100L16syev_scalar_caseIfPfTnNSt9enable_ifIXnt18rocblas_is_complexIT_EEiE4typeELi0EEEv14rocblas_evect_T0_lPS4_li: ; @_ZN9rocsolver6v33100L16syev_scalar_caseIfPfTnNSt9enable_ifIXnt18rocblas_is_complexIT_EEiE4typeELi0EEEv14rocblas_evect_T0_lPS4_li
; %bb.0:
	s_clause 0x1
	s_load_b32 s2, s[0:1], 0x3c
	s_load_b32 s3, s[0:1], 0x28
	s_waitcnt lgkmcnt(0)
	s_and_b32 s2, s2, 0xffff
	s_delay_alu instid0(SALU_CYCLE_1) | instskip(SKIP_1) | instid1(VALU_DEP_1)
	v_mad_u64_u32 v[1:2], null, s15, s2, v[0:1]
	s_mov_b32 s2, exec_lo
	v_cmpx_gt_i32_e64 s3, v1
	s_cbranch_execz .LBB3_3
; %bb.1:
	s_load_b256 s[4:11], s[0:1], 0x8
	v_ashrrev_i32_e32 v0, 31, v1
	s_load_b32 s0, s[0:1], 0x0
	s_waitcnt lgkmcnt(0)
	v_mul_lo_u32 v4, v1, s7
	s_delay_alu instid0(VALU_DEP_2) | instskip(SKIP_4) | instid1(VALU_DEP_3)
	v_mul_lo_u32 v5, v0, s6
	v_mad_u64_u32 v[2:3], null, v1, s6, 0
	v_mul_lo_u32 v7, v1, s11
	v_mul_lo_u32 v0, v0, s10
	s_cmpk_lg_i32 s0, 0xd3
	v_add3_u32 v3, v3, v4, v5
	v_mad_u64_u32 v[4:5], null, v1, s10, 0
	s_delay_alu instid0(VALU_DEP_2) | instskip(NEXT) | instid1(VALU_DEP_2)
	v_lshlrev_b64 v[2:3], 2, v[2:3]
	v_add3_u32 v5, v5, v7, v0
	s_delay_alu instid0(VALU_DEP_2) | instskip(NEXT) | instid1(VALU_DEP_3)
	v_add_co_u32 v2, vcc_lo, s4, v2
	v_add_co_ci_u32_e32 v3, vcc_lo, s5, v3, vcc_lo
	s_delay_alu instid0(VALU_DEP_3)
	v_lshlrev_b64 v[0:1], 2, v[4:5]
	global_load_b32 v6, v[2:3], off
	v_add_co_u32 v0, vcc_lo, s8, v0
	v_add_co_ci_u32_e32 v1, vcc_lo, s9, v1, vcc_lo
	s_waitcnt vmcnt(0)
	global_store_b32 v[0:1], v6, off
	s_cbranch_scc1 .LBB3_3
; %bb.2:
	v_mov_b32_e32 v0, 1.0
	global_store_b32 v[2:3], v0, off
.LBB3_3:
	s_nop 0
	s_sendmsg sendmsg(MSG_DEALLOC_VGPRS)
	s_endpgm
	.section	.rodata,"a",@progbits
	.p2align	6, 0x0
	.amdhsa_kernel _ZN9rocsolver6v33100L16syev_scalar_caseIfPfTnNSt9enable_ifIXnt18rocblas_is_complexIT_EEiE4typeELi0EEEv14rocblas_evect_T0_lPS4_li
		.amdhsa_group_segment_fixed_size 0
		.amdhsa_private_segment_fixed_size 0
		.amdhsa_kernarg_size 304
		.amdhsa_user_sgpr_count 15
		.amdhsa_user_sgpr_dispatch_ptr 0
		.amdhsa_user_sgpr_queue_ptr 0
		.amdhsa_user_sgpr_kernarg_segment_ptr 1
		.amdhsa_user_sgpr_dispatch_id 0
		.amdhsa_user_sgpr_private_segment_size 0
		.amdhsa_wavefront_size32 1
		.amdhsa_uses_dynamic_stack 0
		.amdhsa_enable_private_segment 0
		.amdhsa_system_sgpr_workgroup_id_x 1
		.amdhsa_system_sgpr_workgroup_id_y 0
		.amdhsa_system_sgpr_workgroup_id_z 0
		.amdhsa_system_sgpr_workgroup_info 0
		.amdhsa_system_vgpr_workitem_id 0
		.amdhsa_next_free_vgpr 8
		.amdhsa_next_free_sgpr 16
		.amdhsa_reserve_vcc 1
		.amdhsa_float_round_mode_32 0
		.amdhsa_float_round_mode_16_64 0
		.amdhsa_float_denorm_mode_32 3
		.amdhsa_float_denorm_mode_16_64 3
		.amdhsa_dx10_clamp 1
		.amdhsa_ieee_mode 1
		.amdhsa_fp16_overflow 0
		.amdhsa_workgroup_processor_mode 1
		.amdhsa_memory_ordered 1
		.amdhsa_forward_progress 0
		.amdhsa_shared_vgpr_count 0
		.amdhsa_exception_fp_ieee_invalid_op 0
		.amdhsa_exception_fp_denorm_src 0
		.amdhsa_exception_fp_ieee_div_zero 0
		.amdhsa_exception_fp_ieee_overflow 0
		.amdhsa_exception_fp_ieee_underflow 0
		.amdhsa_exception_fp_ieee_inexact 0
		.amdhsa_exception_int_div_zero 0
	.end_amdhsa_kernel
	.section	.text._ZN9rocsolver6v33100L16syev_scalar_caseIfPfTnNSt9enable_ifIXnt18rocblas_is_complexIT_EEiE4typeELi0EEEv14rocblas_evect_T0_lPS4_li,"axG",@progbits,_ZN9rocsolver6v33100L16syev_scalar_caseIfPfTnNSt9enable_ifIXnt18rocblas_is_complexIT_EEiE4typeELi0EEEv14rocblas_evect_T0_lPS4_li,comdat
.Lfunc_end3:
	.size	_ZN9rocsolver6v33100L16syev_scalar_caseIfPfTnNSt9enable_ifIXnt18rocblas_is_complexIT_EEiE4typeELi0EEEv14rocblas_evect_T0_lPS4_li, .Lfunc_end3-_ZN9rocsolver6v33100L16syev_scalar_caseIfPfTnNSt9enable_ifIXnt18rocblas_is_complexIT_EEiE4typeELi0EEEv14rocblas_evect_T0_lPS4_li
                                        ; -- End function
	.section	.AMDGPU.csdata,"",@progbits
; Kernel info:
; codeLenInByte = 256
; NumSgprs: 18
; NumVgprs: 8
; ScratchSize: 0
; MemoryBound: 0
; FloatMode: 240
; IeeeMode: 1
; LDSByteSize: 0 bytes/workgroup (compile time only)
; SGPRBlocks: 2
; VGPRBlocks: 0
; NumSGPRsForWavesPerEU: 18
; NumVGPRsForWavesPerEU: 8
; Occupancy: 16
; WaveLimiterHint : 0
; COMPUTE_PGM_RSRC2:SCRATCH_EN: 0
; COMPUTE_PGM_RSRC2:USER_SGPR: 15
; COMPUTE_PGM_RSRC2:TRAP_HANDLER: 0
; COMPUTE_PGM_RSRC2:TGID_X_EN: 1
; COMPUTE_PGM_RSRC2:TGID_Y_EN: 0
; COMPUTE_PGM_RSRC2:TGID_Z_EN: 0
; COMPUTE_PGM_RSRC2:TIDIG_COMP_CNT: 0
	.section	.text._ZN9rocsolver6v33100L24sytd2_lower_kernel_smallILi256EfifPfEEvT1_T3_lS3_lPT2_lS6_lPT0_l,"axG",@progbits,_ZN9rocsolver6v33100L24sytd2_lower_kernel_smallILi256EfifPfEEvT1_T3_lS3_lPT2_lS6_lPT0_l,comdat
	.globl	_ZN9rocsolver6v33100L24sytd2_lower_kernel_smallILi256EfifPfEEvT1_T3_lS3_lPT2_lS6_lPT0_l ; -- Begin function _ZN9rocsolver6v33100L24sytd2_lower_kernel_smallILi256EfifPfEEvT1_T3_lS3_lPT2_lS6_lPT0_l
	.p2align	8
	.type	_ZN9rocsolver6v33100L24sytd2_lower_kernel_smallILi256EfifPfEEvT1_T3_lS3_lPT2_lS6_lPT0_l,@function
_ZN9rocsolver6v33100L24sytd2_lower_kernel_smallILi256EfifPfEEvT1_T3_lS3_lPT2_lS6_lPT0_l: ; @_ZN9rocsolver6v33100L24sytd2_lower_kernel_smallILi256EfifPfEEvT1_T3_lS3_lPT2_lS6_lPT0_l
; %bb.0:
	s_clause 0x3
	s_load_b64 s[2:3], s[0:1], 0x20
	s_load_b32 s12, s[0:1], 0x0
	s_load_b128 s[4:7], s[0:1], 0x8
	s_load_b32 s16, s[0:1], 0x18
	s_ashr_i32 s17, s15, 31
	v_and_b32_e32 v1, 0x7f, v0
	v_lshrrev_b32_e32 v5, 7, v0
	s_delay_alu instid0(VALU_DEP_2)
	v_lshlrev_b32_e32 v6, 2, v1
	s_waitcnt lgkmcnt(0)
	s_mul_i32 s3, s15, s3
	s_mul_hi_u32 s8, s15, s2
	s_mul_i32 s9, s17, s2
	s_add_i32 s3, s8, s3
	s_mul_i32 s2, s15, s2
	s_add_i32 s3, s3, s9
	s_delay_alu instid0(SALU_CYCLE_1) | instskip(SKIP_4) | instid1(SALU_CYCLE_1)
	s_lshl_b64 s[8:9], s[2:3], 2
	v_cmp_gt_i32_e64 s2, s12, v1
	s_add_u32 s3, s4, s8
	s_addc_u32 s8, s5, s9
	s_lshl_b64 s[4:5], s[6:7], 2
	s_add_u32 s13, s3, s4
	s_addc_u32 s14, s8, s5
	s_and_saveexec_b32 s4, s2
	s_cbranch_execz .LBB4_6
; %bb.1:
	v_lshrrev_b32_e32 v7, 7, v0
	v_mov_b32_e32 v9, v1
	s_mov_b32 s5, 0
	s_lshl_b32 s6, s12, 3
	s_lshl_b32 s7, s16, 1
	v_mul_lo_u32 v2, s12, v7
	v_cmp_gt_u32_e32 vcc_lo, s12, v7
	s_delay_alu instid0(VALU_DEP_2) | instskip(SKIP_1) | instid1(VALU_DEP_2)
	v_lshl_add_u32 v4, v2, 2, v6
	v_mad_u64_u32 v[2:3], null, s16, v7, v[1:2]
	v_add3_u32 v8, v4, 0, 4
	s_set_inst_prefetch_distance 0x1
	s_branch .LBB4_3
	.p2align	6
.LBB4_2:                                ;   in Loop: Header=BB4_3 Depth=1
	s_or_b32 exec_lo, exec_lo, s8
	v_add_nc_u32_e32 v9, 0x80, v9
	v_add_nc_u32_e32 v8, 0x200, v8
	v_add_nc_u32_e32 v2, 0x80, v2
	s_delay_alu instid0(VALU_DEP_3) | instskip(NEXT) | instid1(VALU_DEP_1)
	v_cmp_le_i32_e64 s3, s12, v9
	s_or_b32 s5, s3, s5
	s_delay_alu instid0(SALU_CYCLE_1)
	s_and_not1_b32 exec_lo, exec_lo, s5
	s_cbranch_execz .LBB4_6
.LBB4_3:                                ; =>This Loop Header: Depth=1
                                        ;     Child Loop BB4_5 Depth 2
	s_and_saveexec_b32 s8, vcc_lo
	s_cbranch_execz .LBB4_2
; %bb.4:                                ;   in Loop: Header=BB4_3 Depth=1
	s_delay_alu instid0(VALU_DEP_2)
	v_dual_mov_b32 v3, v2 :: v_dual_mov_b32 v10, v8
	v_mov_b32_e32 v11, v7
	s_mov_b32 s9, 0
	.p2align	6
.LBB4_5:                                ;   Parent Loop BB4_3 Depth=1
                                        ; =>  This Inner Loop Header: Depth=2
	s_delay_alu instid0(VALU_DEP_2) | instskip(NEXT) | instid1(VALU_DEP_2)
	v_ashrrev_i32_e32 v4, 31, v3
	v_add_nc_u32_e32 v11, 2, v11
	s_delay_alu instid0(VALU_DEP_2) | instskip(SKIP_1) | instid1(VALU_DEP_2)
	v_lshlrev_b64 v[12:13], 2, v[3:4]
	v_add_nc_u32_e32 v3, s7, v3
	v_add_co_u32 v12, s3, s13, v12
	s_delay_alu instid0(VALU_DEP_1)
	v_add_co_ci_u32_e64 v13, s3, s14, v13, s3
	v_cmp_le_i32_e64 s3, s12, v11
	global_load_b32 v4, v[12:13], off
	s_or_b32 s9, s3, s9
	s_waitcnt vmcnt(0)
	ds_store_b32 v10, v4
	v_add_nc_u32_e32 v10, s6, v10
	s_and_not1_b32 exec_lo, exec_lo, s9
	s_cbranch_execnz .LBB4_5
	s_branch .LBB4_2
.LBB4_6:
	s_set_inst_prefetch_distance 0x2
	s_or_b32 exec_lo, exec_lo, s4
	s_waitcnt lgkmcnt(0)
	s_barrier
	buffer_gl0_inv
	s_and_saveexec_b32 s4, s2
	s_cbranch_execz .LBB4_14
; %bb.7:
	v_lshrrev_b32_e32 v2, 7, v0
	v_mul_lo_u32 v3, s12, v1
	s_mov_b32 s5, 0
	s_lshl_b32 s6, s12, 9
	s_lshl_b32 s7, s12, 3
	v_mul_lo_u32 v4, s12, v2
	v_lshlrev_b32_e32 v7, 2, v2
	v_cmp_gt_u32_e32 vcc_lo, s12, v2
	s_delay_alu instid0(VALU_DEP_2) | instskip(SKIP_2) | instid1(VALU_DEP_3)
	v_lshl_add_u32 v3, v3, 2, v7
	v_mov_b32_e32 v7, v1
	v_lshl_add_u32 v4, v4, 2, v6
	v_add3_u32 v3, v3, 0, 4
	s_delay_alu instid0(VALU_DEP_2)
	v_add3_u32 v4, v4, 0, 4
	s_set_inst_prefetch_distance 0x1
	s_branch .LBB4_9
	.p2align	6
.LBB4_8:                                ;   in Loop: Header=BB4_9 Depth=1
	s_or_b32 exec_lo, exec_lo, s8
	v_add_nc_u32_e32 v7, 0x80, v7
	v_add_nc_u32_e32 v3, s6, v3
	;; [unrolled: 1-line block ×3, first 2 shown]
	s_delay_alu instid0(VALU_DEP_3) | instskip(NEXT) | instid1(VALU_DEP_1)
	v_cmp_le_i32_e64 s3, s12, v7
	s_or_b32 s5, s3, s5
	s_delay_alu instid0(SALU_CYCLE_1)
	s_and_not1_b32 exec_lo, exec_lo, s5
	s_cbranch_execz .LBB4_14
.LBB4_9:                                ; =>This Loop Header: Depth=1
                                        ;     Child Loop BB4_12 Depth 2
	s_and_saveexec_b32 s8, vcc_lo
	s_cbranch_execz .LBB4_8
; %bb.10:                               ;   in Loop: Header=BB4_9 Depth=1
	v_dual_mov_b32 v8, v4 :: v_dual_mov_b32 v9, v3
	v_mov_b32_e32 v10, v2
	s_mov_b32 s9, 0
	s_branch .LBB4_12
	.p2align	6
.LBB4_11:                               ;   in Loop: Header=BB4_12 Depth=2
	s_or_b32 exec_lo, exec_lo, s10
	v_add_nc_u32_e32 v10, 2, v10
	v_add_nc_u32_e32 v9, 8, v9
	;; [unrolled: 1-line block ×3, first 2 shown]
	s_delay_alu instid0(VALU_DEP_3) | instskip(NEXT) | instid1(VALU_DEP_1)
	v_cmp_le_i32_e64 s3, s12, v10
	s_or_b32 s9, s3, s9
	s_delay_alu instid0(SALU_CYCLE_1)
	s_and_not1_b32 exec_lo, exec_lo, s9
	s_cbranch_execz .LBB4_8
.LBB4_12:                               ;   Parent Loop BB4_9 Depth=1
                                        ; =>  This Inner Loop Header: Depth=2
	s_mov_b32 s10, exec_lo
	s_delay_alu instid0(VALU_DEP_1)
	v_cmpx_lt_u32_e64 v7, v10
	s_cbranch_execz .LBB4_11
; %bb.13:                               ;   in Loop: Header=BB4_12 Depth=2
	ds_load_b32 v11, v9
	s_waitcnt lgkmcnt(0)
	ds_store_b32 v8, v11
	s_branch .LBB4_11
.LBB4_14:
	s_set_inst_prefetch_distance 0x2
	s_or_b32 exec_lo, exec_lo, s4
	s_cmp_lt_i32 s12, 2
	s_waitcnt lgkmcnt(0)
	s_barrier
	buffer_gl0_inv
	s_cbranch_scc1 .LBB4_64
; %bb.15:
	s_load_b256 s[4:11], s[0:1], 0x38
	v_mbcnt_lo_u32_b32 v8, -1, 0
	s_mul_i32 s3, s12, s12
	v_lshlrev_b32_e32 v13, 2, v0
	v_and_b32_e32 v10, 31, v0
	v_lshrrev_b32_e32 v14, 3, v0
	v_cmp_ne_u32_e32 vcc_lo, 31, v8
	s_delay_alu instid0(VALU_DEP_4) | instskip(SKIP_2) | instid1(VALU_DEP_2)
	v_dual_mov_b32 v15, 0 :: v_dual_add_nc_u32 v12, 8, v13
	v_add_co_ci_u32_e32 v2, vcc_lo, 0, v8, vcc_lo
	v_cmp_gt_u32_e32 vcc_lo, 30, v8
	v_lshlrev_b32_e32 v2, 2, v2
	v_cndmask_b32_e64 v3, 0, 1, vcc_lo
	v_cmp_gt_u32_e32 vcc_lo, 28, v8
	s_waitcnt lgkmcnt(0)
	s_mul_i32 s1, s15, s7
	s_mul_hi_u32 s7, s15, s6
	s_mul_i32 s18, s17, s6
	s_add_i32 s1, s7, s1
	s_mul_i32 s0, s15, s6
	s_add_i32 s1, s1, s18
	s_mul_i32 s6, s15, s11
	s_lshl_b64 s[0:1], s[0:1], 2
	s_mul_hi_u32 s7, s15, s10
	s_add_u32 s11, s4, s0
	s_mul_i32 s18, s17, s10
	s_addc_u32 s17, s5, s1
	s_add_i32 s1, s7, s6
	s_mul_i32 s0, s15, s10
	s_add_i32 s1, s1, s18
	v_cndmask_b32_e64 v4, 0, 1, vcc_lo
	v_cmp_gt_u32_e32 vcc_lo, 24, v8
	s_lshl_b64 s[0:1], s[0:1], 2
	v_lshlrev_b32_e32 v3, 1, v3
	s_add_u32 s8, s8, s0
	s_addc_u32 s9, s9, s1
	s_lshl_b32 s0, s3, 2
	v_cndmask_b32_e64 v7, 0, 1, vcc_lo
	v_cmp_gt_u32_e32 vcc_lo, 16, v8
	s_lshl_b32 s10, s12, 2
	s_add_i32 s1, s0, 0
	v_lshlrev_b32_e32 v4, 2, v4
	s_add_i32 s23, s1, s10
	s_add_i32 s15, s1, 4
	;; [unrolled: 1-line block ×3, first 2 shown]
	v_cndmask_b32_e64 v9, 0, 1, vcc_lo
	s_cmp_eq_u64 s[4:5], 0
	v_lshlrev_b32_e32 v7, 3, v7
	s_cselect_b32 s19, -1, 0
	s_cmp_lg_u64 s[4:5], 0
	v_lshlrev_b32_e32 v9, 4, v9
	s_cselect_b32 s20, -1, 0
	s_add_i32 s21, s10, 4
	v_add_nc_u32_e32 v11, s1, v13
	s_mul_i32 s3, s12, s21
	v_add_lshl_u32 v3, v3, v8, 2
	s_add_i32 s3, s3, 0
	v_add_lshl_u32 v4, v4, v8, 2
	v_add_lshl_u32 v7, v7, v8, 2
	;; [unrolled: 1-line block ×3, first 2 shown]
	v_cmp_eq_u32_e64 s0, 0, v10
	v_cmp_eq_u32_e64 s1, 0, v0
	v_add_nc_u32_e32 v9, 4, v11
	v_add_nc_u32_e32 v10, 0, v12
	v_add_nc_u32_e32 v11, 8, v11
	v_add3_u32 v12, 0, s10, v12
	v_add3_u32 v13, s3, v13, 4
	v_add_nc_u32_e32 v14, s18, v14
	s_mov_b32 s6, 0
	s_add_i32 s22, s12, -2
	s_add_i32 s23, s23, 4
	s_branch .LBB4_17
.LBB4_16:                               ;   in Loop: Header=BB4_17 Depth=1
	s_set_inst_prefetch_distance 0x2
	s_or_b32 exec_lo, exec_lo, s4
	v_add_nc_u32_e32 v10, s21, v10
	v_add_nc_u32_e32 v12, s21, v12
	s_add_i32 s3, s6, 1
	s_cmp_eq_u32 s6, s22
	s_mov_b32 s6, s3
	s_waitcnt lgkmcnt(0)
	s_barrier
	buffer_gl0_inv
	s_cbranch_scc1 .LBB4_64
.LBB4_17:                               ; =>This Loop Header: Depth=1
                                        ;     Child Loop BB4_19 Depth 2
                                        ;     Child Loop BB4_22 Depth 2
	;; [unrolled: 1-line block ×4, first 2 shown]
                                        ;       Child Loop BB4_44 Depth 3
                                        ;     Child Loop BB4_47 Depth 2
                                        ;     Child Loop BB4_50 Depth 2
	;; [unrolled: 1-line block ×4, first 2 shown]
                                        ;       Child Loop BB4_62 Depth 3
	s_not_b32 s24, s6
	s_delay_alu instid0(SALU_CYCLE_1) | instskip(NEXT) | instid1(SALU_CYCLE_1)
	s_add_i32 s24, s24, s12
	v_cmp_gt_i32_e64 s3, s24, v0
	s_delay_alu instid0(VALU_DEP_1)
	s_and_saveexec_b32 s4, s3
	s_cbranch_execz .LBB4_20
; %bb.18:                               ;   in Loop: Header=BB4_17 Depth=1
	v_dual_mov_b32 v16, v10 :: v_dual_mov_b32 v17, v9
	v_mov_b32_e32 v18, v0
	s_mov_b32 s5, 0
.LBB4_19:                               ;   Parent Loop BB4_17 Depth=1
                                        ; =>  This Inner Loop Header: Depth=2
	ds_load_b32 v19, v16
	v_add_nc_u32_e32 v18, 0x100, v18
	v_add_nc_u32_e32 v16, 0x400, v16
	s_delay_alu instid0(VALU_DEP_2)
	v_cmp_le_i32_e32 vcc_lo, s24, v18
	s_or_b32 s5, vcc_lo, s5
	s_waitcnt lgkmcnt(0)
	ds_store_b32 v17, v19
	v_add_nc_u32_e32 v17, 0x400, v17
	s_and_not1_b32 exec_lo, exec_lo, s5
	s_cbranch_execnz .LBB4_19
.LBB4_20:                               ;   in Loop: Header=BB4_17 Depth=1
	s_or_b32 exec_lo, exec_lo, s4
	s_add_i32 s25, s24, -1
	v_mov_b32_e32 v16, 0
	v_cmp_gt_i32_e64 s4, s25, v0
	s_waitcnt lgkmcnt(0)
	s_barrier
	buffer_gl0_inv
	s_and_saveexec_b32 s5, s4
	s_cbranch_execz .LBB4_24
; %bb.21:                               ;   in Loop: Header=BB4_17 Depth=1
	v_dual_mov_b32 v16, 0 :: v_dual_mov_b32 v17, v11
	v_mov_b32_e32 v18, v0
	s_mov_b32 s7, 0
.LBB4_22:                               ;   Parent Loop BB4_17 Depth=1
                                        ; =>  This Inner Loop Header: Depth=2
	ds_load_b32 v19, v17
	s_waitcnt lgkmcnt(0)
	v_dual_mul_f32 v19, v19, v19 :: v_dual_add_nc_u32 v18, 0x100, v18
	s_delay_alu instid0(VALU_DEP_1) | instskip(NEXT) | instid1(VALU_DEP_2)
	v_cmp_le_i32_e32 vcc_lo, s25, v18
	v_dual_add_f32 v16, v16, v19 :: v_dual_add_nc_u32 v17, 0x400, v17
	s_or_b32 s7, vcc_lo, s7
	s_delay_alu instid0(SALU_CYCLE_1)
	s_and_not1_b32 exec_lo, exec_lo, s7
	s_cbranch_execnz .LBB4_22
; %bb.23:                               ;   in Loop: Header=BB4_17 Depth=1
	s_or_b32 exec_lo, exec_lo, s7
.LBB4_24:                               ;   in Loop: Header=BB4_17 Depth=1
	s_delay_alu instid0(SALU_CYCLE_1)
	s_or_b32 exec_lo, exec_lo, s5
	ds_bpermute_b32 v17, v2, v16
	s_waitcnt lgkmcnt(0)
	v_add_f32_e32 v16, v16, v17
	ds_bpermute_b32 v17, v3, v16
	s_waitcnt lgkmcnt(0)
	v_add_f32_e32 v16, v16, v17
	;; [unrolled: 3-line block ×5, first 2 shown]
	s_and_saveexec_b32 s5, s0
	s_cbranch_execz .LBB4_26
; %bb.25:                               ;   in Loop: Header=BB4_17 Depth=1
	ds_store_b32 v14, v16 offset:4
.LBB4_26:                               ;   in Loop: Header=BB4_17 Depth=1
	s_or_b32 exec_lo, exec_lo, s5
	s_waitcnt lgkmcnt(0)
	s_barrier
	buffer_gl0_inv
	s_and_saveexec_b32 s26, s1
	s_cbranch_execz .LBB4_38
; %bb.27:                               ;   in Loop: Header=BB4_17 Depth=1
	v_mov_b32_e32 v23, s18
	s_mov_b32 s7, 0
	s_mov_b32 s30, exec_lo
	s_mov_b32 s29, s7
                                        ; implicit-def: $sgpr28
                                        ; implicit-def: $sgpr27
                                        ; implicit-def: $sgpr5
                                        ; implicit-def: $sgpr31
	ds_load_2addr_b32 v[17:18], v23 offset0:2 offset1:3
	ds_load_2addr_b32 v[19:20], v23 offset0:4 offset1:5
	;; [unrolled: 1-line block ×3, first 2 shown]
	ds_load_b32 v23, v23 offset:32
	s_waitcnt lgkmcnt(3)
	v_add_f32_e32 v16, v16, v17
	s_delay_alu instid0(VALU_DEP_1) | instskip(SKIP_1) | instid1(VALU_DEP_1)
	v_add_f32_e32 v16, v16, v18
	s_waitcnt lgkmcnt(2)
	v_add_f32_e32 v16, v16, v19
	s_delay_alu instid0(VALU_DEP_1) | instskip(SKIP_1) | instid1(VALU_DEP_1)
	v_add_f32_e32 v16, v16, v20
	;; [unrolled: 4-line block ×3, first 2 shown]
	s_waitcnt lgkmcnt(0)
	v_add_f32_e32 v19, v16, v23
                                        ; implicit-def: $vgpr16
	s_delay_alu instid0(VALU_DEP_1)
	v_cmpx_nlt_f32_e32 0, v19
	s_xor_b32 s30, exec_lo, s30
	s_cbranch_execz .LBB4_31
; %bb.28:                               ;   in Loop: Header=BB4_17 Depth=1
	s_mov_b32 s27, 0
	s_and_b32 vcc_lo, exec_lo, s20
	s_mov_b32 s29, 0
	ds_store_b32 v15, v15
                                        ; implicit-def: $vgpr16
                                        ; implicit-def: $sgpr5
                                        ; implicit-def: $sgpr31
	s_cbranch_vccz .LBB4_30
; %bb.29:                               ;   in Loop: Header=BB4_17 Depth=1
	v_mov_b32_e32 v16, s15
	s_mov_b32 s29, -1
	s_mov_b32 s31, 0
	s_mov_b32 s5, 1.0
	ds_load_b32 v16, v16
.LBB4_30:                               ;   in Loop: Header=BB4_17 Depth=1
	s_mov_b32 s28, 1.0
	s_and_b32 s29, s29, exec_lo
                                        ; implicit-def: $vgpr19
.LBB4_31:                               ;   in Loop: Header=BB4_17 Depth=1
	s_or_saveexec_b32 s30, s30
	v_dual_mov_b32 v17, s5 :: v_dual_mov_b32 v18, s31
	s_mov_b32 s5, 0
	s_xor_b32 exec_lo, exec_lo, s30
	s_cbranch_execz .LBB4_33
; %bb.32:                               ;   in Loop: Header=BB4_17 Depth=1
	s_waitcnt lgkmcnt(0)
	v_mov_b32_e32 v16, s15
	s_and_not1_b32 s29, s29, exec_lo
	s_and_b32 s31, s20, exec_lo
	s_delay_alu instid0(SALU_CYCLE_1) | instskip(SKIP_3) | instid1(VALU_DEP_1)
	s_or_b32 s29, s29, s31
	ds_load_b32 v17, v16
	s_waitcnt lgkmcnt(0)
	v_fmac_f32_e32 v19, v17, v17
	v_mul_f32_e32 v16, 0x4f800000, v19
	v_cmp_gt_f32_e32 vcc_lo, 0xf800000, v19
	s_delay_alu instid0(VALU_DEP_2) | instskip(NEXT) | instid1(VALU_DEP_1)
	v_cndmask_b32_e32 v16, v19, v16, vcc_lo
	v_sqrt_f32_e32 v18, v16
	s_waitcnt_depctr 0xfff
	v_add_nc_u32_e32 v19, -1, v18
	v_add_nc_u32_e32 v20, 1, v18
	s_delay_alu instid0(VALU_DEP_2) | instskip(NEXT) | instid1(VALU_DEP_2)
	v_fma_f32 v21, -v19, v18, v16
	v_fma_f32 v22, -v20, v18, v16
	s_delay_alu instid0(VALU_DEP_2) | instskip(NEXT) | instid1(VALU_DEP_1)
	v_cmp_ge_f32_e64 s5, 0, v21
	v_cndmask_b32_e64 v18, v18, v19, s5
	s_delay_alu instid0(VALU_DEP_3) | instskip(NEXT) | instid1(VALU_DEP_1)
	v_cmp_lt_f32_e64 s5, 0, v22
	v_cndmask_b32_e64 v18, v18, v20, s5
	s_delay_alu instid0(VALU_DEP_1) | instskip(NEXT) | instid1(VALU_DEP_1)
	v_mul_f32_e32 v19, 0x37800000, v18
	v_cndmask_b32_e32 v18, v18, v19, vcc_lo
	v_cmp_class_f32_e64 vcc_lo, v16, 0x260
	s_delay_alu instid0(VALU_DEP_2) | instskip(SKIP_1) | instid1(VALU_DEP_2)
	v_cndmask_b32_e32 v16, v18, v16, vcc_lo
	v_cmp_le_f32_e32 vcc_lo, 0, v17
	v_cndmask_b32_e64 v16, v16, -v16, vcc_lo
	s_delay_alu instid0(VALU_DEP_1) | instskip(NEXT) | instid1(VALU_DEP_1)
	v_dual_sub_f32 v18, v17, v16 :: v_dual_sub_f32 v19, v16, v17
	v_div_scale_f32 v17, null, v18, v18, 1.0
	s_delay_alu instid0(VALU_DEP_2) | instskip(SKIP_1) | instid1(VALU_DEP_3)
	v_div_scale_f32 v20, null, v16, v16, v19
	v_div_scale_f32 v25, vcc_lo, 1.0, v18, 1.0
	v_rcp_f32_e32 v21, v17
	s_delay_alu instid0(VALU_DEP_2) | instskip(SKIP_3) | instid1(VALU_DEP_2)
	v_rcp_f32_e32 v22, v20
	s_waitcnt_depctr 0xfff
	v_fma_f32 v23, -v17, v21, 1.0
	v_fma_f32 v24, -v20, v22, 1.0
	v_fmac_f32_e32 v21, v23, v21
	v_div_scale_f32 v23, s5, v19, v16, v19
	s_delay_alu instid0(VALU_DEP_3) | instskip(NEXT) | instid1(VALU_DEP_3)
	v_fmac_f32_e32 v22, v24, v22
	v_mul_f32_e32 v24, v25, v21
	s_delay_alu instid0(VALU_DEP_2) | instskip(NEXT) | instid1(VALU_DEP_2)
	v_mul_f32_e32 v26, v23, v22
	v_fma_f32 v27, -v17, v24, v25
	s_delay_alu instid0(VALU_DEP_2) | instskip(NEXT) | instid1(VALU_DEP_2)
	v_fma_f32 v28, -v20, v26, v23
	v_fmac_f32_e32 v24, v27, v21
	s_delay_alu instid0(VALU_DEP_2) | instskip(NEXT) | instid1(VALU_DEP_2)
	v_fmac_f32_e32 v26, v28, v22
	v_fma_f32 v17, -v17, v24, v25
	s_delay_alu instid0(VALU_DEP_2) | instskip(NEXT) | instid1(VALU_DEP_2)
	v_fma_f32 v20, -v20, v26, v23
	v_div_fmas_f32 v17, v17, v21, v24
	s_mov_b32 vcc_lo, s5
	s_and_b32 s5, s19, exec_lo
	s_delay_alu instid0(VALU_DEP_2) | instskip(NEXT) | instid1(VALU_DEP_2)
	v_div_fmas_f32 v20, v20, v22, v26
	v_div_fixup_f32 v17, v17, v18, 1.0
	s_delay_alu instid0(VALU_DEP_2)
	v_div_fixup_f32 v18, v20, v16, v19
	ds_store_b32 v15, v18
.LBB4_33:                               ;   in Loop: Header=BB4_17 Depth=1
	s_or_b32 exec_lo, exec_lo, s30
	s_and_saveexec_b32 s30, s29
	s_cbranch_execz .LBB4_35
; %bb.34:                               ;   in Loop: Header=BB4_17 Depth=1
	s_lshl_b64 s[34:35], s[6:7], 2
	s_delay_alu instid0(SALU_CYCLE_1)
	s_add_u32 s34, s11, s34
	s_addc_u32 s35, s17, s35
	s_or_b32 s5, s5, exec_lo
	s_waitcnt lgkmcnt(0)
	global_store_b32 v15, v16, s[34:35]
	v_mov_b32_e32 v16, 1.0
.LBB4_35:                               ;   in Loop: Header=BB4_17 Depth=1
	s_or_b32 exec_lo, exec_lo, s30
	v_dual_mov_b32 v19, s27 :: v_dual_mov_b32 v20, s28
	s_and_saveexec_b32 s27, s5
	s_cbranch_execz .LBB4_37
; %bb.36:                               ;   in Loop: Header=BB4_17 Depth=1
	v_dual_mov_b32 v21, s15 :: v_dual_mov_b32 v20, v17
	v_mov_b32_e32 v19, v18
	s_waitcnt lgkmcnt(0)
	ds_store_b32 v21, v16
.LBB4_37:                               ;   in Loop: Header=BB4_17 Depth=1
	s_or_b32 exec_lo, exec_lo, s27
	s_lshl_b64 s[28:29], s[6:7], 2
	s_waitcnt lgkmcnt(0)
	v_mov_b32_e32 v16, s18
	s_add_u32 s28, s8, s28
	s_addc_u32 s29, s9, s29
	global_store_b32 v15, v19, s[28:29]
	ds_store_b32 v16, v20 offset:4
.LBB4_38:                               ;   in Loop: Header=BB4_17 Depth=1
	s_or_b32 exec_lo, exec_lo, s26
	s_waitcnt lgkmcnt(0)
	s_waitcnt_vscnt null, 0x0
	s_barrier
	buffer_gl0_inv
	s_and_saveexec_b32 s5, s4
	s_cbranch_execz .LBB4_41
; %bb.39:                               ;   in Loop: Header=BB4_17 Depth=1
	v_dual_mov_b32 v16, v11 :: v_dual_mov_b32 v17, v0
	s_mov_b32 s4, 0
.LBB4_40:                               ;   Parent Loop BB4_17 Depth=1
                                        ; =>  This Inner Loop Header: Depth=2
	s_delay_alu instid0(VALU_DEP_1)
	v_dual_mov_b32 v18, s18 :: v_dual_add_nc_u32 v17, 0x100, v17
	ds_load_b32 v19, v16
	ds_load_b32 v18, v18 offset:4
	v_cmp_le_i32_e32 vcc_lo, s25, v17
	s_or_b32 s4, vcc_lo, s4
	s_waitcnt lgkmcnt(0)
	v_mul_f32_e32 v18, v18, v19
	ds_store_b32 v16, v18
	v_add_nc_u32_e32 v16, 0x400, v16
	s_and_not1_b32 exec_lo, exec_lo, s4
	s_cbranch_execnz .LBB4_40
.LBB4_41:                               ;   in Loop: Header=BB4_17 Depth=1
	s_or_b32 exec_lo, exec_lo, s5
	s_waitcnt lgkmcnt(0)
	s_barrier
	buffer_gl0_inv
	s_and_saveexec_b32 s4, s3
	s_cbranch_execz .LBB4_48
; %bb.42:                               ;   in Loop: Header=BB4_17 Depth=1
	v_mov_b32_e32 v16, v12
	v_mov_b32_e32 v17, v0
	s_mov_b32 s5, 0
	.p2align	6
.LBB4_43:                               ;   Parent Loop BB4_17 Depth=1
                                        ; =>  This Loop Header: Depth=2
                                        ;       Child Loop BB4_44 Depth 3
	s_delay_alu instid0(VALU_DEP_2)
	v_dual_mov_b32 v18, 0 :: v_dual_mov_b32 v19, v16
	s_mov_b32 s7, s15
	s_mov_b32 s25, 0
.LBB4_44:                               ;   Parent Loop BB4_17 Depth=1
                                        ;     Parent Loop BB4_43 Depth=2
                                        ; =>    This Inner Loop Header: Depth=3
	v_mov_b32_e32 v20, s7
	s_add_i32 s25, s25, 1
	s_add_i32 s7, s7, 4
	s_cmp_ge_i32 s25, s24
	ds_load_b32 v21, v19
	ds_load_b32 v20, v20
	s_waitcnt lgkmcnt(0)
	v_dual_fmac_f32 v18, v21, v20 :: v_dual_add_nc_u32 v19, s10, v19
	s_cbranch_scc0 .LBB4_44
; %bb.45:                               ;   in Loop: Header=BB4_43 Depth=2
	ds_load_b32 v19, v15
	v_lshl_add_u32 v20, v17, 2, s23
	v_add_nc_u32_e32 v17, 0x100, v17
	v_add_nc_u32_e32 v16, 0x400, v16
	s_waitcnt lgkmcnt(0)
	v_mul_f32_e32 v18, v18, v19
	s_delay_alu instid0(VALU_DEP_3) | instskip(SKIP_2) | instid1(SALU_CYCLE_1)
	v_cmp_le_i32_e32 vcc_lo, s24, v17
	ds_store_b32 v20, v18
	s_or_b32 s5, vcc_lo, s5
	s_and_not1_b32 exec_lo, exec_lo, s5
	s_cbranch_execnz .LBB4_43
; %bb.46:                               ;   in Loop: Header=BB4_17 Depth=1
	s_or_b32 exec_lo, exec_lo, s5
	v_mov_b32_e32 v16, v0
	s_mov_b32 s5, 0
	s_mov_b32 s7, 0
.LBB4_47:                               ;   Parent Loop BB4_17 Depth=1
                                        ; =>  This Inner Loop Header: Depth=2
	s_delay_alu instid0(SALU_CYCLE_1) | instskip(NEXT) | instid1(VALU_DEP_2)
	v_add_nc_u32_e32 v17, s7, v9
	v_add_nc_u32_e32 v16, 0x100, v16
	;; [unrolled: 1-line block ×3, first 2 shown]
	s_addk_i32 s7, 0x400
	ds_load_b32 v17, v17
	v_cmp_le_i32_e32 vcc_lo, s24, v16
	s_or_b32 s5, vcc_lo, s5
	s_waitcnt lgkmcnt(0)
	ds_store_b32 v18, v17
	s_and_not1_b32 exec_lo, exec_lo, s5
	s_cbranch_execnz .LBB4_47
.LBB4_48:                               ;   in Loop: Header=BB4_17 Depth=1
	s_or_b32 exec_lo, exec_lo, s4
	v_mov_b32_e32 v16, 0
	s_waitcnt lgkmcnt(0)
	s_barrier
	buffer_gl0_inv
	s_and_saveexec_b32 s4, s3
	s_cbranch_execz .LBB4_52
; %bb.49:                               ;   in Loop: Header=BB4_17 Depth=1
	v_dual_mov_b32 v16, 0 :: v_dual_mov_b32 v17, v9
	v_dual_mov_b32 v18, v13 :: v_dual_mov_b32 v19, v0
	s_mov_b32 s5, 0
.LBB4_50:                               ;   Parent Loop BB4_17 Depth=1
                                        ; =>  This Inner Loop Header: Depth=2
	ds_load_b32 v20, v17
	ds_load_b32 v21, v18
	v_add_nc_u32_e32 v19, 0x100, v19
	v_add_nc_u32_e32 v18, 0x400, v18
	s_waitcnt lgkmcnt(0)
	v_mul_f32_e32 v20, v20, v21
	s_delay_alu instid0(VALU_DEP_3) | instskip(NEXT) | instid1(VALU_DEP_2)
	v_cmp_le_i32_e32 vcc_lo, s24, v19
	v_dual_add_f32 v16, v16, v20 :: v_dual_add_nc_u32 v17, 0x400, v17
	s_or_b32 s5, vcc_lo, s5
	s_delay_alu instid0(SALU_CYCLE_1)
	s_and_not1_b32 exec_lo, exec_lo, s5
	s_cbranch_execnz .LBB4_50
; %bb.51:                               ;   in Loop: Header=BB4_17 Depth=1
	s_or_b32 exec_lo, exec_lo, s5
.LBB4_52:                               ;   in Loop: Header=BB4_17 Depth=1
	s_delay_alu instid0(SALU_CYCLE_1)
	s_or_b32 exec_lo, exec_lo, s4
	ds_bpermute_b32 v17, v2, v16
	s_waitcnt lgkmcnt(0)
	v_add_f32_e32 v16, v16, v17
	ds_bpermute_b32 v17, v3, v16
	s_waitcnt lgkmcnt(0)
	v_add_f32_e32 v16, v16, v17
	ds_bpermute_b32 v17, v4, v16
	s_waitcnt lgkmcnt(0)
	v_add_f32_e32 v16, v16, v17
	ds_bpermute_b32 v17, v7, v16
	s_waitcnt lgkmcnt(0)
	v_add_f32_e32 v16, v16, v17
	ds_bpermute_b32 v17, v8, v16
	s_waitcnt lgkmcnt(0)
	v_add_f32_e32 v16, v16, v17
	s_and_saveexec_b32 s4, s0
	s_cbranch_execz .LBB4_54
; %bb.53:                               ;   in Loop: Header=BB4_17 Depth=1
	ds_store_b32 v14, v16 offset:4
.LBB4_54:                               ;   in Loop: Header=BB4_17 Depth=1
	s_or_b32 exec_lo, exec_lo, s4
	s_waitcnt lgkmcnt(0)
	s_barrier
	buffer_gl0_inv
	s_and_saveexec_b32 s4, s1
	s_cbranch_execz .LBB4_56
; %bb.55:                               ;   in Loop: Header=BB4_17 Depth=1
	v_mov_b32_e32 v25, s18
	ds_load_2addr_b32 v[17:18], v25 offset0:4 offset1:5
	ds_load_2addr_b32 v[19:20], v25 offset0:6 offset1:7
	ds_load_b32 v23, v15
	ds_load_2addr_b32 v[21:22], v25 offset0:2 offset1:3
	s_waitcnt lgkmcnt(1)
	v_cvt_f64_f32_e32 v[23:24], v23
	s_waitcnt lgkmcnt(0)
	v_add_f32_e32 v16, v16, v21
	ds_load_b32 v21, v25 offset:32
	v_add_f32_e32 v16, v16, v22
	s_delay_alu instid0(VALU_DEP_1) | instskip(NEXT) | instid1(VALU_DEP_1)
	v_add_f32_e32 v16, v16, v17
	v_add_f32_e32 v16, v16, v18
	s_delay_alu instid0(VALU_DEP_1) | instskip(NEXT) | instid1(VALU_DEP_1)
	v_add_f32_e32 v16, v16, v19
	v_add_f32_e32 v16, v16, v20
	s_waitcnt lgkmcnt(0)
	s_delay_alu instid0(VALU_DEP_1) | instskip(NEXT) | instid1(VALU_DEP_1)
	v_add_f32_e32 v18, v16, v21
	v_cvt_f64_f32_e32 v[18:19], v18
	v_mul_f64 v[16:17], v[23:24], -0.5
	s_delay_alu instid0(VALU_DEP_1) | instskip(NEXT) | instid1(VALU_DEP_1)
	v_mul_f64 v[16:17], v[16:17], v[18:19]
	v_cvt_f32_f64_e32 v16, v[16:17]
	ds_store_b32 v25, v16 offset:4
.LBB4_56:                               ;   in Loop: Header=BB4_17 Depth=1
	s_or_b32 exec_lo, exec_lo, s4
	s_waitcnt lgkmcnt(0)
	s_barrier
	buffer_gl0_inv
	s_and_saveexec_b32 s4, s3
	s_cbranch_execz .LBB4_59
; %bb.57:                               ;   in Loop: Header=BB4_17 Depth=1
	v_mov_b32_e32 v16, v9
	v_dual_mov_b32 v17, v13 :: v_dual_mov_b32 v18, v0
	s_mov_b32 s5, 0
	.p2align	6
.LBB4_58:                               ;   Parent Loop BB4_17 Depth=1
                                        ; =>  This Inner Loop Header: Depth=2
	s_delay_alu instid0(VALU_DEP_1)
	v_dual_mov_b32 v19, s18 :: v_dual_add_nc_u32 v18, 0x100, v18
	ds_load_b32 v20, v16
	ds_load_b32 v21, v17
	ds_load_b32 v19, v19 offset:4
	v_add_nc_u32_e32 v16, 0x400, v16
	v_cmp_le_i32_e32 vcc_lo, s24, v18
	s_or_b32 s5, vcc_lo, s5
	s_waitcnt lgkmcnt(0)
	v_fmac_f32_e32 v21, v19, v20
	ds_store_b32 v17, v21
	v_add_nc_u32_e32 v17, 0x400, v17
	s_and_not1_b32 exec_lo, exec_lo, s5
	s_cbranch_execnz .LBB4_58
.LBB4_59:                               ;   in Loop: Header=BB4_17 Depth=1
	s_or_b32 exec_lo, exec_lo, s4
	s_waitcnt lgkmcnt(0)
	s_barrier
	buffer_gl0_inv
	s_and_saveexec_b32 s4, s3
	s_cbranch_execz .LBB4_16
; %bb.60:                               ;   in Loop: Header=BB4_17 Depth=1
	v_mov_b32_e32 v16, v12
	v_mov_b32_e32 v17, v0
	s_mov_b32 s3, 0
	s_set_inst_prefetch_distance 0x1
	.p2align	6
.LBB4_61:                               ;   Parent Loop BB4_17 Depth=1
                                        ; =>  This Loop Header: Depth=2
                                        ;       Child Loop BB4_62 Depth 3
	s_delay_alu instid0(VALU_DEP_1) | instskip(SKIP_3) | instid1(VALU_DEP_1)
	v_dual_mov_b32 v20, v16 :: v_dual_lshlrev_b32 v19, 2, v17
	s_mov_b32 s5, s23
	s_mov_b32 s7, s15
	;; [unrolled: 1-line block ×3, first 2 shown]
	v_add_nc_u32_e32 v18, s15, v19
	v_add_nc_u32_e32 v19, s23, v19
	.p2align	6
.LBB4_62:                               ;   Parent Loop BB4_17 Depth=1
                                        ;     Parent Loop BB4_61 Depth=2
                                        ; =>    This Inner Loop Header: Depth=3
	v_mov_b32_e32 v21, s5
	ds_load_b32 v22, v20
	v_mov_b32_e32 v23, s7
	s_add_i32 s25, s25, 1
	ds_load_b32 v24, v18
	ds_load_b32 v21, v21
	;; [unrolled: 1-line block ×4, first 2 shown]
	s_add_i32 s7, s7, 4
	s_add_i32 s5, s5, 4
	s_cmp_ge_i32 s25, s24
	s_waitcnt lgkmcnt(2)
	v_fma_f32 v21, -v24, v21, v22
	s_waitcnt lgkmcnt(0)
	s_delay_alu instid0(VALU_DEP_1)
	v_fma_f32 v21, -v25, v23, v21
	ds_store_b32 v20, v21
	v_add_nc_u32_e32 v20, s10, v20
	s_cbranch_scc0 .LBB4_62
; %bb.63:                               ;   in Loop: Header=BB4_61 Depth=2
	v_add_nc_u32_e32 v17, 0x100, v17
	v_add_nc_u32_e32 v16, 0x400, v16
	s_delay_alu instid0(VALU_DEP_2) | instskip(SKIP_1) | instid1(SALU_CYCLE_1)
	v_cmp_le_i32_e32 vcc_lo, s24, v17
	s_or_b32 s3, vcc_lo, s3
	s_and_not1_b32 exec_lo, exec_lo, s3
	s_cbranch_execnz .LBB4_61
	s_branch .LBB4_16
.LBB4_64:
	s_and_saveexec_b32 s0, s2
	s_cbranch_execz .LBB4_72
; %bb.65:
	v_mul_lo_u32 v0, s12, v5
	v_mad_u64_u32 v[2:3], null, s16, v5, v[1:2]
	v_cmp_gt_u32_e32 vcc_lo, s12, v5
	s_lshl_b32 s1, s16, 1
	s_mov_b32 s2, 0
	s_lshl_b32 s3, s12, 3
	s_delay_alu instid0(VALU_DEP_3) | instskip(NEXT) | instid1(VALU_DEP_1)
	v_lshl_add_u32 v0, v0, 2, v6
	v_add3_u32 v0, v0, 0, 4
	s_set_inst_prefetch_distance 0x1
	s_branch .LBB4_67
	.p2align	6
.LBB4_66:                               ;   in Loop: Header=BB4_67 Depth=1
	s_or_b32 exec_lo, exec_lo, s4
	v_add_nc_u32_e32 v1, 0x80, v1
	v_add_nc_u32_e32 v2, 0x80, v2
	;; [unrolled: 1-line block ×3, first 2 shown]
	s_delay_alu instid0(VALU_DEP_3) | instskip(NEXT) | instid1(VALU_DEP_1)
	v_cmp_le_i32_e64 s0, s12, v1
	s_or_b32 s2, s0, s2
	s_delay_alu instid0(SALU_CYCLE_1)
	s_and_not1_b32 exec_lo, exec_lo, s2
	s_cbranch_execz .LBB4_72
.LBB4_67:                               ; =>This Loop Header: Depth=1
                                        ;     Child Loop BB4_70 Depth 2
	s_and_saveexec_b32 s4, vcc_lo
	s_cbranch_execz .LBB4_66
; %bb.68:                               ;   in Loop: Header=BB4_67 Depth=1
	v_dual_mov_b32 v6, v0 :: v_dual_mov_b32 v3, v2
	v_mov_b32_e32 v7, v5
	s_mov_b32 s5, 0
	s_branch .LBB4_70
	.p2align	6
.LBB4_69:                               ;   in Loop: Header=BB4_70 Depth=2
	s_or_b32 exec_lo, exec_lo, s6
	v_add_nc_u32_e32 v7, 2, v7
	v_add_nc_u32_e32 v3, s1, v3
	v_add_nc_u32_e32 v6, s3, v6
	s_delay_alu instid0(VALU_DEP_3) | instskip(NEXT) | instid1(VALU_DEP_1)
	v_cmp_le_i32_e64 s0, s12, v7
	s_or_b32 s5, s0, s5
	s_delay_alu instid0(SALU_CYCLE_1)
	s_and_not1_b32 exec_lo, exec_lo, s5
	s_cbranch_execz .LBB4_66
.LBB4_70:                               ;   Parent Loop BB4_67 Depth=1
                                        ; =>  This Inner Loop Header: Depth=2
	s_mov_b32 s6, exec_lo
	s_delay_alu instid0(VALU_DEP_1)
	v_cmpx_ge_u32_e64 v1, v7
	s_cbranch_execz .LBB4_69
; %bb.71:                               ;   in Loop: Header=BB4_70 Depth=2
	ds_load_b32 v10, v6
	v_ashrrev_i32_e32 v4, 31, v3
	s_delay_alu instid0(VALU_DEP_1) | instskip(NEXT) | instid1(VALU_DEP_1)
	v_lshlrev_b64 v[8:9], 2, v[3:4]
	v_add_co_u32 v8, s0, s13, v8
	s_delay_alu instid0(VALU_DEP_1)
	v_add_co_ci_u32_e64 v9, s0, s14, v9, s0
	s_waitcnt lgkmcnt(0)
	global_store_b32 v[8:9], v10, off
	s_branch .LBB4_69
.LBB4_72:
	s_set_inst_prefetch_distance 0x2
	s_nop 0
	s_sendmsg sendmsg(MSG_DEALLOC_VGPRS)
	s_endpgm
	.section	.rodata,"a",@progbits
	.p2align	6, 0x0
	.amdhsa_kernel _ZN9rocsolver6v33100L24sytd2_lower_kernel_smallILi256EfifPfEEvT1_T3_lS3_lPT2_lS6_lPT0_l
		.amdhsa_group_segment_fixed_size 0
		.amdhsa_private_segment_fixed_size 0
		.amdhsa_kernarg_size 88
		.amdhsa_user_sgpr_count 14
		.amdhsa_user_sgpr_dispatch_ptr 0
		.amdhsa_user_sgpr_queue_ptr 0
		.amdhsa_user_sgpr_kernarg_segment_ptr 1
		.amdhsa_user_sgpr_dispatch_id 0
		.amdhsa_user_sgpr_private_segment_size 0
		.amdhsa_wavefront_size32 1
		.amdhsa_uses_dynamic_stack 0
		.amdhsa_enable_private_segment 0
		.amdhsa_system_sgpr_workgroup_id_x 1
		.amdhsa_system_sgpr_workgroup_id_y 0
		.amdhsa_system_sgpr_workgroup_id_z 1
		.amdhsa_system_sgpr_workgroup_info 0
		.amdhsa_system_vgpr_workitem_id 0
		.amdhsa_next_free_vgpr 29
		.amdhsa_next_free_sgpr 36
		.amdhsa_reserve_vcc 1
		.amdhsa_float_round_mode_32 0
		.amdhsa_float_round_mode_16_64 0
		.amdhsa_float_denorm_mode_32 3
		.amdhsa_float_denorm_mode_16_64 3
		.amdhsa_dx10_clamp 1
		.amdhsa_ieee_mode 1
		.amdhsa_fp16_overflow 0
		.amdhsa_workgroup_processor_mode 1
		.amdhsa_memory_ordered 1
		.amdhsa_forward_progress 0
		.amdhsa_shared_vgpr_count 0
		.amdhsa_exception_fp_ieee_invalid_op 0
		.amdhsa_exception_fp_denorm_src 0
		.amdhsa_exception_fp_ieee_div_zero 0
		.amdhsa_exception_fp_ieee_overflow 0
		.amdhsa_exception_fp_ieee_underflow 0
		.amdhsa_exception_fp_ieee_inexact 0
		.amdhsa_exception_int_div_zero 0
	.end_amdhsa_kernel
	.section	.text._ZN9rocsolver6v33100L24sytd2_lower_kernel_smallILi256EfifPfEEvT1_T3_lS3_lPT2_lS6_lPT0_l,"axG",@progbits,_ZN9rocsolver6v33100L24sytd2_lower_kernel_smallILi256EfifPfEEvT1_T3_lS3_lPT2_lS6_lPT0_l,comdat
.Lfunc_end4:
	.size	_ZN9rocsolver6v33100L24sytd2_lower_kernel_smallILi256EfifPfEEvT1_T3_lS3_lPT2_lS6_lPT0_l, .Lfunc_end4-_ZN9rocsolver6v33100L24sytd2_lower_kernel_smallILi256EfifPfEEvT1_T3_lS3_lPT2_lS6_lPT0_l
                                        ; -- End function
	.section	.AMDGPU.csdata,"",@progbits
; Kernel info:
; codeLenInByte = 3616
; NumSgprs: 38
; NumVgprs: 29
; ScratchSize: 0
; MemoryBound: 0
; FloatMode: 240
; IeeeMode: 1
; LDSByteSize: 0 bytes/workgroup (compile time only)
; SGPRBlocks: 4
; VGPRBlocks: 3
; NumSGPRsForWavesPerEU: 38
; NumVGPRsForWavesPerEU: 29
; Occupancy: 16
; WaveLimiterHint : 0
; COMPUTE_PGM_RSRC2:SCRATCH_EN: 0
; COMPUTE_PGM_RSRC2:USER_SGPR: 14
; COMPUTE_PGM_RSRC2:TRAP_HANDLER: 0
; COMPUTE_PGM_RSRC2:TGID_X_EN: 1
; COMPUTE_PGM_RSRC2:TGID_Y_EN: 0
; COMPUTE_PGM_RSRC2:TGID_Z_EN: 1
; COMPUTE_PGM_RSRC2:TIDIG_COMP_CNT: 0
	.section	.text._ZN9rocsolver6v33100L16reset_batch_infoIfiiPfEEvT2_lT0_T1_,"axG",@progbits,_ZN9rocsolver6v33100L16reset_batch_infoIfiiPfEEvT2_lT0_T1_,comdat
	.globl	_ZN9rocsolver6v33100L16reset_batch_infoIfiiPfEEvT2_lT0_T1_ ; -- Begin function _ZN9rocsolver6v33100L16reset_batch_infoIfiiPfEEvT2_lT0_T1_
	.p2align	8
	.type	_ZN9rocsolver6v33100L16reset_batch_infoIfiiPfEEvT2_lT0_T1_,@function
_ZN9rocsolver6v33100L16reset_batch_infoIfiiPfEEvT2_lT0_T1_: ; @_ZN9rocsolver6v33100L16reset_batch_infoIfiiPfEEvT2_lT0_T1_
; %bb.0:
	s_clause 0x1
	s_load_b32 s4, s[0:1], 0x24
	s_load_b64 s[2:3], s[0:1], 0x10
	s_waitcnt lgkmcnt(0)
	s_and_b32 s4, s4, 0xffff
	s_delay_alu instid0(SALU_CYCLE_1) | instskip(NEXT) | instid1(VALU_DEP_1)
	v_mad_u64_u32 v[1:2], null, s14, s4, v[0:1]
	v_cmp_gt_i32_e32 vcc_lo, s2, v1
	s_and_saveexec_b32 s2, vcc_lo
	s_cbranch_execz .LBB5_2
; %bb.1:
	s_load_b128 s[4:7], s[0:1], 0x0
	v_ashrrev_i32_e32 v2, 31, v1
	s_ashr_i32 s0, s15, 31
	s_delay_alu instid0(VALU_DEP_1)
	v_lshlrev_b64 v[0:1], 2, v[1:2]
	v_cvt_f32_i32_e32 v2, s3
	s_waitcnt lgkmcnt(0)
	s_mul_i32 s1, s15, s7
	s_mul_hi_u32 s2, s15, s6
	s_mul_i32 s7, s0, s6
	s_add_i32 s1, s2, s1
	s_mul_i32 s0, s15, s6
	s_add_i32 s1, s1, s7
	s_delay_alu instid0(SALU_CYCLE_1) | instskip(NEXT) | instid1(SALU_CYCLE_1)
	s_lshl_b64 s[0:1], s[0:1], 2
	s_add_u32 s0, s4, s0
	s_addc_u32 s1, s5, s1
	v_add_co_u32 v0, vcc_lo, s0, v0
	v_add_co_ci_u32_e32 v1, vcc_lo, s1, v1, vcc_lo
	global_store_b32 v[0:1], v2, off
.LBB5_2:
	s_nop 0
	s_sendmsg sendmsg(MSG_DEALLOC_VGPRS)
	s_endpgm
	.section	.rodata,"a",@progbits
	.p2align	6, 0x0
	.amdhsa_kernel _ZN9rocsolver6v33100L16reset_batch_infoIfiiPfEEvT2_lT0_T1_
		.amdhsa_group_segment_fixed_size 0
		.amdhsa_private_segment_fixed_size 0
		.amdhsa_kernarg_size 280
		.amdhsa_user_sgpr_count 14
		.amdhsa_user_sgpr_dispatch_ptr 0
		.amdhsa_user_sgpr_queue_ptr 0
		.amdhsa_user_sgpr_kernarg_segment_ptr 1
		.amdhsa_user_sgpr_dispatch_id 0
		.amdhsa_user_sgpr_private_segment_size 0
		.amdhsa_wavefront_size32 1
		.amdhsa_uses_dynamic_stack 0
		.amdhsa_enable_private_segment 0
		.amdhsa_system_sgpr_workgroup_id_x 1
		.amdhsa_system_sgpr_workgroup_id_y 1
		.amdhsa_system_sgpr_workgroup_id_z 0
		.amdhsa_system_sgpr_workgroup_info 0
		.amdhsa_system_vgpr_workitem_id 0
		.amdhsa_next_free_vgpr 3
		.amdhsa_next_free_sgpr 16
		.amdhsa_reserve_vcc 1
		.amdhsa_float_round_mode_32 0
		.amdhsa_float_round_mode_16_64 0
		.amdhsa_float_denorm_mode_32 3
		.amdhsa_float_denorm_mode_16_64 3
		.amdhsa_dx10_clamp 1
		.amdhsa_ieee_mode 1
		.amdhsa_fp16_overflow 0
		.amdhsa_workgroup_processor_mode 1
		.amdhsa_memory_ordered 1
		.amdhsa_forward_progress 0
		.amdhsa_shared_vgpr_count 0
		.amdhsa_exception_fp_ieee_invalid_op 0
		.amdhsa_exception_fp_denorm_src 0
		.amdhsa_exception_fp_ieee_div_zero 0
		.amdhsa_exception_fp_ieee_overflow 0
		.amdhsa_exception_fp_ieee_underflow 0
		.amdhsa_exception_fp_ieee_inexact 0
		.amdhsa_exception_int_div_zero 0
	.end_amdhsa_kernel
	.section	.text._ZN9rocsolver6v33100L16reset_batch_infoIfiiPfEEvT2_lT0_T1_,"axG",@progbits,_ZN9rocsolver6v33100L16reset_batch_infoIfiiPfEEvT2_lT0_T1_,comdat
.Lfunc_end5:
	.size	_ZN9rocsolver6v33100L16reset_batch_infoIfiiPfEEvT2_lT0_T1_, .Lfunc_end5-_ZN9rocsolver6v33100L16reset_batch_infoIfiiPfEEvT2_lT0_T1_
                                        ; -- End function
	.section	.AMDGPU.csdata,"",@progbits
; Kernel info:
; codeLenInByte = 164
; NumSgprs: 18
; NumVgprs: 3
; ScratchSize: 0
; MemoryBound: 0
; FloatMode: 240
; IeeeMode: 1
; LDSByteSize: 0 bytes/workgroup (compile time only)
; SGPRBlocks: 2
; VGPRBlocks: 0
; NumSGPRsForWavesPerEU: 18
; NumVGPRsForWavesPerEU: 3
; Occupancy: 16
; WaveLimiterHint : 0
; COMPUTE_PGM_RSRC2:SCRATCH_EN: 0
; COMPUTE_PGM_RSRC2:USER_SGPR: 14
; COMPUTE_PGM_RSRC2:TRAP_HANDLER: 0
; COMPUTE_PGM_RSRC2:TGID_X_EN: 1
; COMPUTE_PGM_RSRC2:TGID_Y_EN: 1
; COMPUTE_PGM_RSRC2:TGID_Z_EN: 0
; COMPUTE_PGM_RSRC2:TIDIG_COMP_CNT: 0
	.section	.text._ZN9rocsolver6v33100L8set_diagIfifPfTnNSt9enable_ifIXoont18rocblas_is_complexIT_E18rocblas_is_complexIT1_EEiE4typeELi0EEEvPS5_llT2_lT0_lSA_b,"axG",@progbits,_ZN9rocsolver6v33100L8set_diagIfifPfTnNSt9enable_ifIXoont18rocblas_is_complexIT_E18rocblas_is_complexIT1_EEiE4typeELi0EEEvPS5_llT2_lT0_lSA_b,comdat
	.globl	_ZN9rocsolver6v33100L8set_diagIfifPfTnNSt9enable_ifIXoont18rocblas_is_complexIT_E18rocblas_is_complexIT1_EEiE4typeELi0EEEvPS5_llT2_lT0_lSA_b ; -- Begin function _ZN9rocsolver6v33100L8set_diagIfifPfTnNSt9enable_ifIXoont18rocblas_is_complexIT_E18rocblas_is_complexIT1_EEiE4typeELi0EEEvPS5_llT2_lT0_lSA_b
	.p2align	8
	.type	_ZN9rocsolver6v33100L8set_diagIfifPfTnNSt9enable_ifIXoont18rocblas_is_complexIT_E18rocblas_is_complexIT1_EEiE4typeELi0EEEvPS5_llT2_lT0_lSA_b,@function
_ZN9rocsolver6v33100L8set_diagIfifPfTnNSt9enable_ifIXoont18rocblas_is_complexIT_E18rocblas_is_complexIT1_EEiE4typeELi0EEEvPS5_llT2_lT0_lSA_b: ; @_ZN9rocsolver6v33100L8set_diagIfifPfTnNSt9enable_ifIXoont18rocblas_is_complexIT_E18rocblas_is_complexIT1_EEiE4typeELi0EEEvPS5_llT2_lT0_lSA_b
; %bb.0:
	s_clause 0x1
	s_load_b32 s4, s[0:1], 0x4c
	s_load_b64 s[2:3], s[0:1], 0x38
	v_bfe_u32 v2, v0, 10, 10
	s_waitcnt lgkmcnt(0)
	s_lshr_b32 s4, s4, 16
	s_delay_alu instid0(VALU_DEP_1) | instid1(SALU_CYCLE_1)
	v_mad_u64_u32 v[0:1], null, s15, s4, v[2:3]
	s_delay_alu instid0(VALU_DEP_1)
	v_cmp_gt_i32_e32 vcc_lo, s2, v0
	s_and_saveexec_b32 s2, vcc_lo
	s_cbranch_execz .LBB6_2
; %bb.1:
	s_clause 0x3
	s_load_b32 s2, s[0:1], 0x28
	s_load_b64 s[12:13], s[0:1], 0x30
	s_load_b256 s[4:11], s[0:1], 0x0
	s_load_b64 s[0:1], s[0:1], 0x20
	s_bitcmp1_b32 s3, 0
	s_cselect_b32 s15, -1, 0
	s_ashr_i32 s16, s14, 31
	s_waitcnt lgkmcnt(0)
	v_mad_u64_u32 v[1:2], null, v0, s2, v[0:1]
	s_mul_i32 s2, s14, s13
	s_mul_hi_u32 s3, s14, s12
	s_mul_i32 s13, s16, s12
	s_add_i32 s3, s3, s2
	s_mul_i32 s2, s14, s12
	s_add_i32 s3, s3, s13
	s_delay_alu instid0(VALU_DEP_1)
	v_ashrrev_i32_e32 v2, 31, v1
	s_lshl_b64 s[2:3], s[2:3], 2
	s_mul_i32 s16, s16, s8
	s_add_u32 s2, s10, s2
	s_addc_u32 s3, s11, s3
	v_lshlrev_b64 v[1:2], 2, v[1:2]
	s_lshl_b64 s[0:1], s[0:1], 2
	s_delay_alu instid0(SALU_CYCLE_1) | instskip(SKIP_1) | instid1(VALU_DEP_1)
	s_add_u32 s0, s2, s0
	s_addc_u32 s1, s3, s1
	v_add_co_u32 v3, vcc_lo, s0, v1
	s_delay_alu instid0(VALU_DEP_2)
	v_add_co_ci_u32_e32 v4, vcc_lo, s1, v2, vcc_lo
	s_mul_i32 s0, s14, s9
	s_mul_hi_u32 s1, s14, s8
	v_ashrrev_i32_e32 v1, 31, v0
	global_load_b32 v2, v[3:4], off
	s_add_i32 s0, s1, s0
	s_delay_alu instid0(SALU_CYCLE_1) | instskip(SKIP_3) | instid1(SALU_CYCLE_1)
	s_add_i32 s1, s0, s16
	s_mul_i32 s0, s14, s8
	v_lshlrev_b64 v[0:1], 2, v[0:1]
	s_lshl_b64 s[0:1], s[0:1], 2
	s_add_u32 s2, s4, s0
	s_addc_u32 s3, s5, s1
	s_lshl_b64 s[0:1], s[6:7], 2
	s_delay_alu instid0(SALU_CYCLE_1)
	s_add_u32 s0, s2, s0
	s_addc_u32 s1, s3, s1
	v_add_co_u32 v0, vcc_lo, s0, v0
	v_add_co_ci_u32_e32 v1, vcc_lo, s1, v1, vcc_lo
	s_waitcnt vmcnt(0)
	v_cndmask_b32_e64 v5, v2, 1.0, s15
	global_store_b32 v[0:1], v2, off
	global_store_b32 v[3:4], v5, off
.LBB6_2:
	s_nop 0
	s_sendmsg sendmsg(MSG_DEALLOC_VGPRS)
	s_endpgm
	.section	.rodata,"a",@progbits
	.p2align	6, 0x0
	.amdhsa_kernel _ZN9rocsolver6v33100L8set_diagIfifPfTnNSt9enable_ifIXoont18rocblas_is_complexIT_E18rocblas_is_complexIT1_EEiE4typeELi0EEEvPS5_llT2_lT0_lSA_b
		.amdhsa_group_segment_fixed_size 0
		.amdhsa_private_segment_fixed_size 0
		.amdhsa_kernarg_size 320
		.amdhsa_user_sgpr_count 14
		.amdhsa_user_sgpr_dispatch_ptr 0
		.amdhsa_user_sgpr_queue_ptr 0
		.amdhsa_user_sgpr_kernarg_segment_ptr 1
		.amdhsa_user_sgpr_dispatch_id 0
		.amdhsa_user_sgpr_private_segment_size 0
		.amdhsa_wavefront_size32 1
		.amdhsa_uses_dynamic_stack 0
		.amdhsa_enable_private_segment 0
		.amdhsa_system_sgpr_workgroup_id_x 1
		.amdhsa_system_sgpr_workgroup_id_y 1
		.amdhsa_system_sgpr_workgroup_id_z 0
		.amdhsa_system_sgpr_workgroup_info 0
		.amdhsa_system_vgpr_workitem_id 1
		.amdhsa_next_free_vgpr 6
		.amdhsa_next_free_sgpr 17
		.amdhsa_reserve_vcc 1
		.amdhsa_float_round_mode_32 0
		.amdhsa_float_round_mode_16_64 0
		.amdhsa_float_denorm_mode_32 3
		.amdhsa_float_denorm_mode_16_64 3
		.amdhsa_dx10_clamp 1
		.amdhsa_ieee_mode 1
		.amdhsa_fp16_overflow 0
		.amdhsa_workgroup_processor_mode 1
		.amdhsa_memory_ordered 1
		.amdhsa_forward_progress 0
		.amdhsa_shared_vgpr_count 0
		.amdhsa_exception_fp_ieee_invalid_op 0
		.amdhsa_exception_fp_denorm_src 0
		.amdhsa_exception_fp_ieee_div_zero 0
		.amdhsa_exception_fp_ieee_overflow 0
		.amdhsa_exception_fp_ieee_underflow 0
		.amdhsa_exception_fp_ieee_inexact 0
		.amdhsa_exception_int_div_zero 0
	.end_amdhsa_kernel
	.section	.text._ZN9rocsolver6v33100L8set_diagIfifPfTnNSt9enable_ifIXoont18rocblas_is_complexIT_E18rocblas_is_complexIT1_EEiE4typeELi0EEEvPS5_llT2_lT0_lSA_b,"axG",@progbits,_ZN9rocsolver6v33100L8set_diagIfifPfTnNSt9enable_ifIXoont18rocblas_is_complexIT_E18rocblas_is_complexIT1_EEiE4typeELi0EEEvPS5_llT2_lT0_lSA_b,comdat
.Lfunc_end6:
	.size	_ZN9rocsolver6v33100L8set_diagIfifPfTnNSt9enable_ifIXoont18rocblas_is_complexIT_E18rocblas_is_complexIT1_EEiE4typeELi0EEEvPS5_llT2_lT0_lSA_b, .Lfunc_end6-_ZN9rocsolver6v33100L8set_diagIfifPfTnNSt9enable_ifIXoont18rocblas_is_complexIT_E18rocblas_is_complexIT1_EEiE4typeELi0EEEvPS5_llT2_lT0_lSA_b
                                        ; -- End function
	.section	.AMDGPU.csdata,"",@progbits
; Kernel info:
; codeLenInByte = 336
; NumSgprs: 19
; NumVgprs: 6
; ScratchSize: 0
; MemoryBound: 0
; FloatMode: 240
; IeeeMode: 1
; LDSByteSize: 0 bytes/workgroup (compile time only)
; SGPRBlocks: 2
; VGPRBlocks: 0
; NumSGPRsForWavesPerEU: 19
; NumVGPRsForWavesPerEU: 6
; Occupancy: 16
; WaveLimiterHint : 0
; COMPUTE_PGM_RSRC2:SCRATCH_EN: 0
; COMPUTE_PGM_RSRC2:USER_SGPR: 14
; COMPUTE_PGM_RSRC2:TRAP_HANDLER: 0
; COMPUTE_PGM_RSRC2:TGID_X_EN: 1
; COMPUTE_PGM_RSRC2:TGID_Y_EN: 1
; COMPUTE_PGM_RSRC2:TGID_Z_EN: 0
; COMPUTE_PGM_RSRC2:TIDIG_COMP_CNT: 1
	.section	.text._ZN9rocsolver6v33100L11set_taubetaIfifPfEEvPT_lS4_T2_llPT1_ll,"axG",@progbits,_ZN9rocsolver6v33100L11set_taubetaIfifPfEEvPT_lS4_T2_llPT1_ll,comdat
	.globl	_ZN9rocsolver6v33100L11set_taubetaIfifPfEEvPT_lS4_T2_llPT1_ll ; -- Begin function _ZN9rocsolver6v33100L11set_taubetaIfifPfEEvPT_lS4_T2_llPT1_ll
	.p2align	8
	.type	_ZN9rocsolver6v33100L11set_taubetaIfifPfEEvPT_lS4_T2_llPT1_ll,@function
_ZN9rocsolver6v33100L11set_taubetaIfifPfEEvPT_lS4_T2_llPT1_ll: ; @_ZN9rocsolver6v33100L11set_taubetaIfifPfEEvPT_lS4_T2_llPT1_ll
; %bb.0:
	s_mov_b32 s20, s15
	s_load_b512 s[4:19], s[0:1], 0x0
	s_ashr_i32 s21, s20, 31
	s_mov_b64 s[2:3], 0
	s_waitcnt lgkmcnt(0)
	s_cmp_eq_u64 s[16:17], 0
	s_cbranch_scc1 .LBB7_2
; %bb.1:
	s_load_b64 s[0:1], s[0:1], 0x40
	s_waitcnt lgkmcnt(0)
	s_mul_i32 s1, s20, s1
	s_mul_hi_u32 s2, s20, s0
	s_mul_i32 s3, s21, s0
	s_add_i32 s1, s2, s1
	s_mul_i32 s0, s20, s0
	s_add_i32 s1, s1, s3
	s_delay_alu instid0(SALU_CYCLE_1) | instskip(NEXT) | instid1(SALU_CYCLE_1)
	s_lshl_b64 s[0:1], s[0:1], 2
	s_add_u32 s2, s16, s0
	s_addc_u32 s3, s17, s1
	s_lshl_b64 s[0:1], s[18:19], 2
	s_delay_alu instid0(SALU_CYCLE_1)
	s_add_u32 s2, s2, s0
	s_addc_u32 s3, s3, s1
.LBB7_2:
	s_mul_i32 s0, s20, s15
	s_mul_hi_u32 s1, s20, s14
	s_mul_i32 s15, s21, s14
	s_add_i32 s1, s1, s0
	s_mul_i32 s0, s20, s14
	s_add_i32 s1, s1, s15
	s_mul_i32 s7, s20, s7
	s_lshl_b64 s[0:1], s[0:1], 2
	s_delay_alu instid0(SALU_CYCLE_1) | instskip(SKIP_2) | instid1(SALU_CYCLE_1)
	s_add_u32 s10, s10, s0
	s_addc_u32 s11, s11, s1
	s_lshl_b64 s[0:1], s[12:13], 2
	s_add_u32 s10, s10, s0
	s_mul_hi_u32 s0, s20, s6
	s_addc_u32 s11, s11, s1
	s_add_i32 s0, s0, s7
	s_mul_i32 s1, s21, s6
	s_delay_alu instid0(SALU_CYCLE_1) | instskip(SKIP_1) | instid1(SALU_CYCLE_1)
	s_add_i32 s1, s0, s1
	s_mul_i32 s0, s20, s6
	s_lshl_b64 s[0:1], s[0:1], 2
	s_delay_alu instid0(SALU_CYCLE_1) | instskip(SKIP_2) | instid1(SALU_CYCLE_1)
	s_add_u32 s4, s4, s0
	s_addc_u32 s5, s5, s1
	s_lshl_b64 s[0:1], s[20:21], 2
	s_add_u32 s6, s8, s0
	s_addc_u32 s7, s9, s1
	s_cmp_eq_u64 s[2:3], 0
	s_load_b32 s9, s[6:7], 0x0
	s_cselect_b32 s1, -1, 0
	s_cmp_lg_u64 s[2:3], 0
	s_cselect_b32 s8, -1, 0
	s_waitcnt lgkmcnt(0)
	v_cmp_ngt_f32_e64 s0, s9, 0
	s_delay_alu instid0(VALU_DEP_1)
	s_and_b32 vcc_lo, exec_lo, s0
	s_mov_b32 s0, 0
	s_cbranch_vccz .LBB7_5
; %bb.3:
	v_dual_mov_b32 v1, 1.0 :: v_dual_mov_b32 v0, 0
	s_mov_b32 s13, 0
	s_and_b32 vcc_lo, exec_lo, s8
	s_clause 0x1
	global_store_b32 v0, v1, s[6:7]
	global_store_b32 v0, v0, s[4:5]
	s_cbranch_vccz .LBB7_6
; %bb.4:
	global_load_b32 v0, v0, s[10:11]
	s_mov_b32 s12, -1
	s_and_b32 vcc_lo, exec_lo, s13
	s_cbranch_vccnz .LBB7_7
	s_branch .LBB7_8
.LBB7_5:
	s_mov_b32 s13, -1
.LBB7_6:
	s_mov_b32 s12, 0
                                        ; implicit-def: $vgpr0
	s_and_b32 vcc_lo, exec_lo, s13
	s_cbranch_vccz .LBB7_8
.LBB7_7:
	s_load_b32 s12, s[10:11], 0x0
	s_waitcnt vmcnt(0) lgkmcnt(0)
	v_fma_f32 v0, s12, s12, s9
	s_delay_alu instid0(VALU_DEP_1) | instskip(SKIP_1) | instid1(VALU_DEP_2)
	v_mul_f32_e32 v1, 0x4f800000, v0
	v_cmp_gt_f32_e32 vcc_lo, 0xf800000, v0
	v_cndmask_b32_e32 v0, v0, v1, vcc_lo
	s_delay_alu instid0(VALU_DEP_1) | instskip(SKIP_3) | instid1(VALU_DEP_2)
	v_sqrt_f32_e32 v1, v0
	s_waitcnt_depctr 0xfff
	v_add_nc_u32_e32 v2, -1, v1
	v_add_nc_u32_e32 v3, 1, v1
	v_fma_f32 v4, -v2, v1, v0
	s_delay_alu instid0(VALU_DEP_2) | instskip(NEXT) | instid1(VALU_DEP_2)
	v_fma_f32 v5, -v3, v1, v0
	v_cmp_ge_f32_e64 s0, 0, v4
	s_delay_alu instid0(VALU_DEP_1) | instskip(NEXT) | instid1(VALU_DEP_3)
	v_cndmask_b32_e64 v1, v1, v2, s0
	v_cmp_lt_f32_e64 s0, 0, v5
	s_delay_alu instid0(VALU_DEP_1) | instskip(SKIP_1) | instid1(VALU_DEP_2)
	v_cndmask_b32_e64 v1, v1, v3, s0
	v_cmp_ge_f32_e64 s0, s12, 0
	v_mul_f32_e32 v2, 0x37800000, v1
	s_delay_alu instid0(VALU_DEP_1) | instskip(SKIP_1) | instid1(VALU_DEP_2)
	v_cndmask_b32_e32 v1, v1, v2, vcc_lo
	v_cmp_class_f32_e64 vcc_lo, v0, 0x260
	v_cndmask_b32_e32 v0, v1, v0, vcc_lo
	s_delay_alu instid0(VALU_DEP_1) | instskip(SKIP_1) | instid1(VALU_DEP_1)
	v_cndmask_b32_e64 v0, v0, -v0, s0
	s_mov_b32 s0, s1
	v_sub_f32_e32 v1, s12, v0
	s_mov_b32 s12, s8
	s_delay_alu instid0(VALU_DEP_1) | instskip(SKIP_1) | instid1(VALU_DEP_2)
	v_div_scale_f32 v2, null, v1, v1, 1.0
	v_div_scale_f32 v5, vcc_lo, 1.0, v1, 1.0
	v_rcp_f32_e32 v3, v2
	s_waitcnt_depctr 0xfff
	v_fma_f32 v4, -v2, v3, 1.0
	s_delay_alu instid0(VALU_DEP_1) | instskip(NEXT) | instid1(VALU_DEP_1)
	v_fmac_f32_e32 v3, v4, v3
	v_mul_f32_e32 v4, v5, v3
	s_delay_alu instid0(VALU_DEP_1) | instskip(NEXT) | instid1(VALU_DEP_1)
	v_fma_f32 v6, -v2, v4, v5
	v_fmac_f32_e32 v4, v6, v3
	s_delay_alu instid0(VALU_DEP_1) | instskip(NEXT) | instid1(VALU_DEP_1)
	v_fma_f32 v2, -v2, v4, v5
	v_div_fmas_f32 v2, v2, v3, v4
	v_mov_b32_e32 v3, 0
	s_delay_alu instid0(VALU_DEP_2) | instskip(SKIP_4) | instid1(VALU_DEP_1)
	v_div_fixup_f32 v1, v2, v1, 1.0
	global_store_b32 v3, v1, s[6:7]
	global_load_b32 v1, v3, s[10:11]
	s_waitcnt vmcnt(0)
	v_sub_f32_e32 v1, v0, v1
	v_div_scale_f32 v2, null, v0, v0, v1
	s_delay_alu instid0(VALU_DEP_1) | instskip(SKIP_2) | instid1(VALU_DEP_1)
	v_rcp_f32_e32 v4, v2
	s_waitcnt_depctr 0xfff
	v_fma_f32 v5, -v2, v4, 1.0
	v_fmac_f32_e32 v4, v5, v4
	v_div_scale_f32 v5, vcc_lo, v1, v0, v1
	s_delay_alu instid0(VALU_DEP_1) | instskip(NEXT) | instid1(VALU_DEP_1)
	v_mul_f32_e32 v6, v5, v4
	v_fma_f32 v7, -v2, v6, v5
	s_delay_alu instid0(VALU_DEP_1) | instskip(NEXT) | instid1(VALU_DEP_1)
	v_fmac_f32_e32 v6, v7, v4
	v_fma_f32 v2, -v2, v6, v5
	s_delay_alu instid0(VALU_DEP_1) | instskip(NEXT) | instid1(VALU_DEP_1)
	v_div_fmas_f32 v2, v2, v4, v6
	v_div_fixup_f32 v1, v2, v0, v1
	global_store_b32 v3, v1, s[4:5]
.LBB7_8:
	s_and_not1_b32 vcc_lo, exec_lo, s12
	s_cbranch_vccz .LBB7_11
; %bb.9:
	s_and_not1_b32 vcc_lo, exec_lo, s0
	s_cbranch_vccz .LBB7_12
; %bb.10:
	s_endpgm
.LBB7_11:
	v_dual_mov_b32 v1, s2 :: v_dual_mov_b32 v2, s3
	s_waitcnt vmcnt(0)
	flat_store_b32 v[1:2], v0
	v_mov_b32_e32 v0, 1.0
.LBB7_12:
	v_mov_b32_e32 v1, 0
	s_waitcnt vmcnt(0) lgkmcnt(0)
	global_store_b32 v1, v0, s[10:11]
	s_endpgm
	.section	.rodata,"a",@progbits
	.p2align	6, 0x0
	.amdhsa_kernel _ZN9rocsolver6v33100L11set_taubetaIfifPfEEvPT_lS4_T2_llPT1_ll
		.amdhsa_group_segment_fixed_size 0
		.amdhsa_private_segment_fixed_size 0
		.amdhsa_kernarg_size 72
		.amdhsa_user_sgpr_count 15
		.amdhsa_user_sgpr_dispatch_ptr 0
		.amdhsa_user_sgpr_queue_ptr 0
		.amdhsa_user_sgpr_kernarg_segment_ptr 1
		.amdhsa_user_sgpr_dispatch_id 0
		.amdhsa_user_sgpr_private_segment_size 0
		.amdhsa_wavefront_size32 1
		.amdhsa_uses_dynamic_stack 0
		.amdhsa_enable_private_segment 0
		.amdhsa_system_sgpr_workgroup_id_x 1
		.amdhsa_system_sgpr_workgroup_id_y 0
		.amdhsa_system_sgpr_workgroup_id_z 0
		.amdhsa_system_sgpr_workgroup_info 0
		.amdhsa_system_vgpr_workitem_id 0
		.amdhsa_next_free_vgpr 8
		.amdhsa_next_free_sgpr 22
		.amdhsa_reserve_vcc 1
		.amdhsa_float_round_mode_32 0
		.amdhsa_float_round_mode_16_64 0
		.amdhsa_float_denorm_mode_32 3
		.amdhsa_float_denorm_mode_16_64 3
		.amdhsa_dx10_clamp 1
		.amdhsa_ieee_mode 1
		.amdhsa_fp16_overflow 0
		.amdhsa_workgroup_processor_mode 1
		.amdhsa_memory_ordered 1
		.amdhsa_forward_progress 0
		.amdhsa_shared_vgpr_count 0
		.amdhsa_exception_fp_ieee_invalid_op 0
		.amdhsa_exception_fp_denorm_src 0
		.amdhsa_exception_fp_ieee_div_zero 0
		.amdhsa_exception_fp_ieee_overflow 0
		.amdhsa_exception_fp_ieee_underflow 0
		.amdhsa_exception_fp_ieee_inexact 0
		.amdhsa_exception_int_div_zero 0
	.end_amdhsa_kernel
	.section	.text._ZN9rocsolver6v33100L11set_taubetaIfifPfEEvPT_lS4_T2_llPT1_ll,"axG",@progbits,_ZN9rocsolver6v33100L11set_taubetaIfifPfEEvPT_lS4_T2_llPT1_ll,comdat
.Lfunc_end7:
	.size	_ZN9rocsolver6v33100L11set_taubetaIfifPfEEvPT_lS4_T2_llPT1_ll, .Lfunc_end7-_ZN9rocsolver6v33100L11set_taubetaIfifPfEEvPT_lS4_T2_llPT1_ll
                                        ; -- End function
	.section	.AMDGPU.csdata,"",@progbits
; Kernel info:
; codeLenInByte = 816
; NumSgprs: 24
; NumVgprs: 8
; ScratchSize: 0
; MemoryBound: 0
; FloatMode: 240
; IeeeMode: 1
; LDSByteSize: 0 bytes/workgroup (compile time only)
; SGPRBlocks: 2
; VGPRBlocks: 0
; NumSGPRsForWavesPerEU: 24
; NumVGPRsForWavesPerEU: 8
; Occupancy: 16
; WaveLimiterHint : 0
; COMPUTE_PGM_RSRC2:SCRATCH_EN: 0
; COMPUTE_PGM_RSRC2:USER_SGPR: 15
; COMPUTE_PGM_RSRC2:TRAP_HANDLER: 0
; COMPUTE_PGM_RSRC2:TGID_X_EN: 1
; COMPUTE_PGM_RSRC2:TGID_Y_EN: 0
; COMPUTE_PGM_RSRC2:TGID_Z_EN: 0
; COMPUTE_PGM_RSRC2:TIDIG_COMP_CNT: 0
	.section	.text._ZN9rocsolver6v33100L20latrd_dot_scale_axpyILi64EfiPfEEvT1_T2_llPT0_llS6_l,"axG",@progbits,_ZN9rocsolver6v33100L20latrd_dot_scale_axpyILi64EfiPfEEvT1_T2_llPT0_llS6_l,comdat
	.globl	_ZN9rocsolver6v33100L20latrd_dot_scale_axpyILi64EfiPfEEvT1_T2_llPT0_llS6_l ; -- Begin function _ZN9rocsolver6v33100L20latrd_dot_scale_axpyILi64EfiPfEEvT1_T2_llPT0_llS6_l
	.p2align	8
	.type	_ZN9rocsolver6v33100L20latrd_dot_scale_axpyILi64EfiPfEEvT1_T2_llPT0_llS6_l,@function
_ZN9rocsolver6v33100L20latrd_dot_scale_axpyILi64EfiPfEEvT1_T2_llPT0_llS6_l: ; @_ZN9rocsolver6v33100L20latrd_dot_scale_axpyILi64EfiPfEEvT1_T2_llPT0_llS6_l
; %bb.0:
	s_clause 0x1
	s_load_b32 s6, s[0:1], 0x0
	s_load_b512 s[16:31], s[0:1], 0x8
	v_dual_mov_b32 v6, 0 :: v_dual_lshlrev_b32 v5, 2, v0
	s_ashr_i32 s13, s15, 31
	s_waitcnt lgkmcnt(0)
	v_cmp_gt_i32_e32 vcc_lo, s6, v0
	s_mul_i32 s10, s20, s13
	s_mul_hi_u32 s11, s20, s15
	s_mul_i32 s12, s21, s15
	s_mul_i32 s4, s20, s15
	;; [unrolled: 1-line block ×3, first 2 shown]
	s_mul_hi_u32 s9, s26, s15
	s_mul_i32 s8, s27, s15
	s_mul_i32 s2, s26, s15
	s_and_saveexec_b32 s14, vcc_lo
	s_cbranch_execz .LBB8_6
; %bb.1:
	s_add_i32 s0, s11, s10
	v_dual_mov_b32 v6, 0 :: v_dual_lshlrev_b32 v7, 2, v0
	s_add_i32 s5, s0, s12
	s_lshl_b64 s[0:1], s[18:19], 2
	s_lshl_b64 s[20:21], s[4:5], 2
	v_mov_b32_e32 v8, v0
	s_add_u32 s0, s20, s0
	s_addc_u32 s1, s21, s1
	s_add_u32 s5, s16, s0
	s_addc_u32 s26, s17, s1
	s_add_i32 s0, s9, s7
	s_delay_alu instid0(SALU_CYCLE_1)
	s_add_i32 s3, s0, s8
	s_lshl_b64 s[0:1], s[24:25], 2
	s_lshl_b64 s[20:21], s[2:3], 2
	v_add_co_u32 v1, s3, s5, v7
	s_add_u32 s0, s20, s0
	s_addc_u32 s1, s21, s1
	s_add_u32 s0, s22, s0
	s_addc_u32 s1, s23, s1
	v_add_co_u32 v3, s0, s0, v7
	v_add_co_ci_u32_e64 v2, null, s26, 0, s3
	v_add_co_ci_u32_e64 v4, null, s1, 0, s0
	s_mov_b32 s3, 0
	s_set_inst_prefetch_distance 0x1
	s_branch .LBB8_3
	.p2align	6
.LBB8_2:                                ;   in Loop: Header=BB8_3 Depth=1
	s_or_b32 exec_lo, exec_lo, s1
	s_waitcnt vmcnt(0)
	v_dual_mul_f32 v9, v9, v10 :: v_dual_add_nc_u32 v8, 64, v8
	v_add_co_u32 v1, s0, 0x100, v1
	s_delay_alu instid0(VALU_DEP_1) | instskip(NEXT) | instid1(VALU_DEP_3)
	v_add_co_ci_u32_e64 v2, s0, 0, v2, s0
	v_cmp_le_i32_e64 s0, s6, v8
	v_add_co_u32 v3, s1, 0x100, v3
	v_dual_add_f32 v6, v6, v9 :: v_dual_add_nc_u32 v7, 0x100, v7
	v_add_co_ci_u32_e64 v4, s1, 0, v4, s1
	s_delay_alu instid0(VALU_DEP_4) | instskip(NEXT) | instid1(SALU_CYCLE_1)
	s_or_b32 s3, s0, s3
	s_and_not1_b32 exec_lo, exec_lo, s3
	s_cbranch_execz .LBB8_5
.LBB8_3:                                ; =>This Inner Loop Header: Depth=1
	global_load_b32 v9, v[1:2], off
	global_load_b32 v10, v[3:4], off
	s_mov_b32 s1, exec_lo
	v_cmpx_gt_u32_e32 64, v8
	s_cbranch_execz .LBB8_2
; %bb.4:                                ;   in Loop: Header=BB8_3 Depth=1
	s_waitcnt vmcnt(0)
	ds_store_2addr_stride64_b32 v7, v9, v10 offset1:1
	s_branch .LBB8_2
.LBB8_5:
	s_set_inst_prefetch_distance 0x2
	s_or_b32 exec_lo, exec_lo, s3
.LBB8_6:
	s_delay_alu instid0(SALU_CYCLE_1) | instskip(SKIP_2) | instid1(VALU_DEP_1)
	s_or_b32 exec_lo, exec_lo, s14
	v_mbcnt_lo_u32_b32 v1, -1, 0
	s_mov_b32 s1, exec_lo
	v_cmp_ne_u32_e64 s0, 31, v1
	s_delay_alu instid0(VALU_DEP_1) | instskip(SKIP_1) | instid1(VALU_DEP_2)
	v_add_co_ci_u32_e64 v2, s0, 0, v1, s0
	v_cmp_gt_u32_e64 s0, 30, v1
	v_lshlrev_b32_e32 v2, 2, v2
	s_delay_alu instid0(VALU_DEP_2)
	v_cndmask_b32_e64 v3, 0, 1, s0
	v_cmp_gt_u32_e64 s0, 28, v1
	ds_bpermute_b32 v2, v2, v6
	v_lshlrev_b32_e32 v3, 1, v3
	v_cndmask_b32_e64 v4, 0, 1, s0
	v_cmp_gt_u32_e64 s0, 24, v1
	s_delay_alu instid0(VALU_DEP_2) | instskip(NEXT) | instid1(VALU_DEP_1)
	v_lshlrev_b32_e32 v4, 2, v4
	v_add_lshl_u32 v4, v4, v1, 2
	s_waitcnt lgkmcnt(0)
	v_add_f32_e32 v2, v6, v2
	v_add_lshl_u32 v3, v3, v1, 2
	ds_bpermute_b32 v3, v3, v2
	s_waitcnt lgkmcnt(0)
	v_add_f32_e32 v2, v2, v3
	ds_bpermute_b32 v3, v4, v2
	v_cndmask_b32_e64 v4, 0, 1, s0
	v_cmp_gt_u32_e64 s0, 16, v1
	s_delay_alu instid0(VALU_DEP_2) | instskip(NEXT) | instid1(VALU_DEP_1)
	v_lshlrev_b32_e32 v4, 3, v4
	v_add_lshl_u32 v4, v4, v1, 2
	s_waitcnt lgkmcnt(0)
	v_add_f32_e32 v2, v2, v3
	ds_bpermute_b32 v3, v4, v2
	v_cndmask_b32_e64 v4, 0, 1, s0
	s_delay_alu instid0(VALU_DEP_1) | instskip(NEXT) | instid1(VALU_DEP_1)
	v_lshlrev_b32_e32 v4, 4, v4
	v_add_lshl_u32 v1, v4, v1, 2
	s_waitcnt lgkmcnt(0)
	v_dual_add_f32 v2, v2, v3 :: v_dual_and_b32 v3, 31, v0
	ds_bpermute_b32 v1, v1, v2
	s_waitcnt lgkmcnt(0)
	v_add_f32_e32 v1, v2, v1
	v_cmpx_eq_u32_e32 0, v3
	s_cbranch_execz .LBB8_8
; %bb.7:
	v_lshrrev_b32_e32 v2, 3, v0
	ds_store_b32 v2, v1 offset:512
.LBB8_8:
	s_or_b32 exec_lo, exec_lo, s1
	s_delay_alu instid0(SALU_CYCLE_1)
	s_mov_b32 s1, exec_lo
	s_waitcnt lgkmcnt(0)
	s_barrier
	buffer_gl0_inv
	v_cmpx_eq_u32_e32 0, v0
	s_cbranch_execz .LBB8_10
; %bb.9:
	s_mul_i32 s0, s15, s31
	s_mul_hi_u32 s3, s15, s30
	s_mul_i32 s14, s15, s30
	s_add_i32 s0, s3, s0
	s_mul_i32 s3, s13, s30
	v_mov_b32_e32 v6, 0
	s_add_i32 s15, s0, s3
	s_delay_alu instid0(SALU_CYCLE_1) | instskip(NEXT) | instid1(SALU_CYCLE_1)
	s_lshl_b64 s[14:15], s[14:15], 2
	s_add_u32 s14, s28, s14
	s_addc_u32 s15, s29, s15
	ds_load_b32 v4, v6 offset:516
	s_load_b32 s0, s[14:15], 0x0
	s_waitcnt lgkmcnt(0)
	v_add_f32_e32 v4, v1, v4
	v_cvt_f64_f32_e32 v[2:3], s0
	s_delay_alu instid0(VALU_DEP_1) | instskip(NEXT) | instid1(VALU_DEP_3)
	v_mul_f64 v[1:2], v[2:3], -0.5
	v_cvt_f64_f32_e32 v[3:4], v4
	s_delay_alu instid0(VALU_DEP_1) | instskip(NEXT) | instid1(VALU_DEP_1)
	v_mul_f64 v[1:2], v[1:2], v[3:4]
	v_cvt_f32_f64_e32 v1, v[1:2]
	ds_store_b32 v6, v1 offset:512
.LBB8_10:
	s_or_b32 exec_lo, exec_lo, s1
	s_waitcnt lgkmcnt(0)
	s_barrier
	buffer_gl0_inv
	s_and_saveexec_b32 s0, vcc_lo
	s_cbranch_execz .LBB8_17
; %bb.11:
	s_add_i32 s0, s11, s10
	v_mov_b32_e32 v1, 0
	s_add_i32 s5, s0, s12
	s_lshl_b64 s[0:1], s[18:19], 2
	s_lshl_b64 s[4:5], s[4:5], 2
	ds_load_b32 v6, v1 offset:512
	s_add_u32 s0, s4, s0
	s_addc_u32 s1, s5, s1
	s_add_u32 s4, s16, s0
	s_addc_u32 s5, s17, s1
	s_add_i32 s0, s9, s7
	v_add_co_u32 v1, s4, s4, v5
	s_add_i32 s3, s0, s8
	s_lshl_b64 s[0:1], s[24:25], 2
	s_lshl_b64 s[2:3], s[2:3], 2
	v_add_co_ci_u32_e64 v2, null, s5, 0, s4
	s_add_u32 s0, s2, s0
	s_addc_u32 s1, s3, s1
	s_add_u32 s0, s22, s0
	s_addc_u32 s1, s23, s1
	v_add_co_u32 v3, s0, s0, v5
	s_delay_alu instid0(VALU_DEP_1)
	v_add_co_ci_u32_e64 v4, null, s1, 0, s0
	s_mov_b32 s1, 0
	s_set_inst_prefetch_distance 0x1
	s_branch .LBB8_13
	.p2align	6
.LBB8_12:                               ;   in Loop: Header=BB8_13 Depth=1
	s_or_b32 exec_lo, exec_lo, s0
	v_add_nc_u32_e32 v0, 64, v0
	v_add_co_u32 v1, vcc_lo, 0x100, v1
	v_add_co_ci_u32_e32 v2, vcc_lo, 0, v2, vcc_lo
	s_delay_alu instid0(VALU_DEP_3) | instskip(SKIP_1) | instid1(VALU_DEP_1)
	v_cmp_le_i32_e32 vcc_lo, s6, v0
	v_add_co_u32 v3, s0, 0x100, v3
	v_add_co_ci_u32_e64 v4, s0, 0, v4, s0
	v_add_nc_u32_e32 v5, 0x100, v5
	s_or_b32 s1, vcc_lo, s1
	s_delay_alu instid0(SALU_CYCLE_1)
	s_and_not1_b32 exec_lo, exec_lo, s1
	s_cbranch_execz .LBB8_17
.LBB8_13:                               ; =>This Inner Loop Header: Depth=1
	s_mov_b32 s0, exec_lo
	v_cmpx_lt_u32_e32 63, v0
	s_xor_b32 s0, exec_lo, s0
	s_cbranch_execz .LBB8_15
; %bb.14:                               ;   in Loop: Header=BB8_13 Depth=1
	global_load_b32 v7, v[3:4], off
	global_load_b32 v8, v[1:2], off
	s_waitcnt vmcnt(0) lgkmcnt(0)
	v_fmac_f32_e32 v7, v6, v8
	global_store_b32 v[3:4], v7, off
.LBB8_15:                               ;   in Loop: Header=BB8_13 Depth=1
	s_and_not1_saveexec_b32 s0, s0
	s_cbranch_execz .LBB8_12
; %bb.16:                               ;   in Loop: Header=BB8_13 Depth=1
	ds_load_2addr_stride64_b32 v[7:8], v5 offset1:1
	s_waitcnt lgkmcnt(0)
	v_fmac_f32_e32 v8, v6, v7
	global_store_b32 v[3:4], v8, off
	s_branch .LBB8_12
.LBB8_17:
	s_set_inst_prefetch_distance 0x2
	s_nop 0
	s_sendmsg sendmsg(MSG_DEALLOC_VGPRS)
	s_endpgm
	.section	.rodata,"a",@progbits
	.p2align	6, 0x0
	.amdhsa_kernel _ZN9rocsolver6v33100L20latrd_dot_scale_axpyILi64EfiPfEEvT1_T2_llPT0_llS6_l
		.amdhsa_group_segment_fixed_size 520
		.amdhsa_private_segment_fixed_size 0
		.amdhsa_kernarg_size 72
		.amdhsa_user_sgpr_count 14
		.amdhsa_user_sgpr_dispatch_ptr 0
		.amdhsa_user_sgpr_queue_ptr 0
		.amdhsa_user_sgpr_kernarg_segment_ptr 1
		.amdhsa_user_sgpr_dispatch_id 0
		.amdhsa_user_sgpr_private_segment_size 0
		.amdhsa_wavefront_size32 1
		.amdhsa_uses_dynamic_stack 0
		.amdhsa_enable_private_segment 0
		.amdhsa_system_sgpr_workgroup_id_x 1
		.amdhsa_system_sgpr_workgroup_id_y 0
		.amdhsa_system_sgpr_workgroup_id_z 1
		.amdhsa_system_sgpr_workgroup_info 0
		.amdhsa_system_vgpr_workitem_id 0
		.amdhsa_next_free_vgpr 11
		.amdhsa_next_free_sgpr 32
		.amdhsa_reserve_vcc 1
		.amdhsa_float_round_mode_32 0
		.amdhsa_float_round_mode_16_64 0
		.amdhsa_float_denorm_mode_32 3
		.amdhsa_float_denorm_mode_16_64 3
		.amdhsa_dx10_clamp 1
		.amdhsa_ieee_mode 1
		.amdhsa_fp16_overflow 0
		.amdhsa_workgroup_processor_mode 1
		.amdhsa_memory_ordered 1
		.amdhsa_forward_progress 0
		.amdhsa_shared_vgpr_count 0
		.amdhsa_exception_fp_ieee_invalid_op 0
		.amdhsa_exception_fp_denorm_src 0
		.amdhsa_exception_fp_ieee_div_zero 0
		.amdhsa_exception_fp_ieee_overflow 0
		.amdhsa_exception_fp_ieee_underflow 0
		.amdhsa_exception_fp_ieee_inexact 0
		.amdhsa_exception_int_div_zero 0
	.end_amdhsa_kernel
	.section	.text._ZN9rocsolver6v33100L20latrd_dot_scale_axpyILi64EfiPfEEvT1_T2_llPT0_llS6_l,"axG",@progbits,_ZN9rocsolver6v33100L20latrd_dot_scale_axpyILi64EfiPfEEvT1_T2_llPT0_llS6_l,comdat
.Lfunc_end8:
	.size	_ZN9rocsolver6v33100L20latrd_dot_scale_axpyILi64EfiPfEEvT1_T2_llPT0_llS6_l, .Lfunc_end8-_ZN9rocsolver6v33100L20latrd_dot_scale_axpyILi64EfiPfEEvT1_T2_llPT0_llS6_l
                                        ; -- End function
	.section	.AMDGPU.csdata,"",@progbits
; Kernel info:
; codeLenInByte = 1104
; NumSgprs: 34
; NumVgprs: 11
; ScratchSize: 0
; MemoryBound: 0
; FloatMode: 240
; IeeeMode: 1
; LDSByteSize: 520 bytes/workgroup (compile time only)
; SGPRBlocks: 4
; VGPRBlocks: 1
; NumSGPRsForWavesPerEU: 34
; NumVGPRsForWavesPerEU: 11
; Occupancy: 16
; WaveLimiterHint : 0
; COMPUTE_PGM_RSRC2:SCRATCH_EN: 0
; COMPUTE_PGM_RSRC2:USER_SGPR: 14
; COMPUTE_PGM_RSRC2:TRAP_HANDLER: 0
; COMPUTE_PGM_RSRC2:TGID_X_EN: 1
; COMPUTE_PGM_RSRC2:TGID_Y_EN: 0
; COMPUTE_PGM_RSRC2:TGID_Z_EN: 1
; COMPUTE_PGM_RSRC2:TIDIG_COMP_CNT: 0
	.section	.text._ZN9rocsolver6v33100L7set_tauIfEEviPT_S3_l,"axG",@progbits,_ZN9rocsolver6v33100L7set_tauIfEEviPT_S3_l,comdat
	.globl	_ZN9rocsolver6v33100L7set_tauIfEEviPT_S3_l ; -- Begin function _ZN9rocsolver6v33100L7set_tauIfEEviPT_S3_l
	.p2align	8
	.type	_ZN9rocsolver6v33100L7set_tauIfEEviPT_S3_l,@function
_ZN9rocsolver6v33100L7set_tauIfEEviPT_S3_l: ; @_ZN9rocsolver6v33100L7set_tauIfEEviPT_S3_l
; %bb.0:
	s_clause 0x1
	s_load_b32 s2, s[0:1], 0x2c
	s_load_b32 s3, s[0:1], 0x0
	s_waitcnt lgkmcnt(0)
	s_and_b32 s2, s2, 0xffff
	s_delay_alu instid0(SALU_CYCLE_1) | instskip(SKIP_1) | instid1(VALU_DEP_1)
	v_mad_u64_u32 v[1:2], null, s15, s2, v[0:1]
	s_mov_b32 s2, exec_lo
	v_cmpx_gt_i32_e64 s3, v1
	s_cbranch_execz .LBB9_2
; %bb.1:
	s_load_b128 s[4:7], s[0:1], 0x8
	v_ashrrev_i32_e32 v2, 31, v1
	s_load_b64 s[0:1], s[0:1], 0x18
	s_delay_alu instid0(VALU_DEP_1) | instskip(SKIP_1) | instid1(VALU_DEP_1)
	v_lshlrev_b64 v[3:4], 2, v[1:2]
	s_waitcnt lgkmcnt(0)
	v_add_co_u32 v3, vcc_lo, s4, v3
	s_delay_alu instid0(VALU_DEP_2) | instskip(SKIP_4) | instid1(VALU_DEP_1)
	v_add_co_ci_u32_e32 v4, vcc_lo, s5, v4, vcc_lo
	v_mul_lo_u32 v0, v1, s1
	v_mul_lo_u32 v5, v2, s0
	global_load_b32 v4, v[3:4], off
	v_mad_u64_u32 v[2:3], null, v1, s0, 0
	v_add3_u32 v3, v3, v0, v5
	s_delay_alu instid0(VALU_DEP_1) | instskip(NEXT) | instid1(VALU_DEP_1)
	v_lshlrev_b64 v[0:1], 2, v[2:3]
	v_add_co_u32 v0, vcc_lo, s6, v0
	s_delay_alu instid0(VALU_DEP_2)
	v_add_co_ci_u32_e32 v1, vcc_lo, s7, v1, vcc_lo
	s_waitcnt vmcnt(0)
	global_store_b32 v[0:1], v4, off
.LBB9_2:
	s_nop 0
	s_sendmsg sendmsg(MSG_DEALLOC_VGPRS)
	s_endpgm
	.section	.rodata,"a",@progbits
	.p2align	6, 0x0
	.amdhsa_kernel _ZN9rocsolver6v33100L7set_tauIfEEviPT_S3_l
		.amdhsa_group_segment_fixed_size 0
		.amdhsa_private_segment_fixed_size 0
		.amdhsa_kernarg_size 288
		.amdhsa_user_sgpr_count 15
		.amdhsa_user_sgpr_dispatch_ptr 0
		.amdhsa_user_sgpr_queue_ptr 0
		.amdhsa_user_sgpr_kernarg_segment_ptr 1
		.amdhsa_user_sgpr_dispatch_id 0
		.amdhsa_user_sgpr_private_segment_size 0
		.amdhsa_wavefront_size32 1
		.amdhsa_uses_dynamic_stack 0
		.amdhsa_enable_private_segment 0
		.amdhsa_system_sgpr_workgroup_id_x 1
		.amdhsa_system_sgpr_workgroup_id_y 0
		.amdhsa_system_sgpr_workgroup_id_z 0
		.amdhsa_system_sgpr_workgroup_info 0
		.amdhsa_system_vgpr_workitem_id 0
		.amdhsa_next_free_vgpr 6
		.amdhsa_next_free_sgpr 16
		.amdhsa_reserve_vcc 1
		.amdhsa_float_round_mode_32 0
		.amdhsa_float_round_mode_16_64 0
		.amdhsa_float_denorm_mode_32 3
		.amdhsa_float_denorm_mode_16_64 3
		.amdhsa_dx10_clamp 1
		.amdhsa_ieee_mode 1
		.amdhsa_fp16_overflow 0
		.amdhsa_workgroup_processor_mode 1
		.amdhsa_memory_ordered 1
		.amdhsa_forward_progress 0
		.amdhsa_shared_vgpr_count 0
		.amdhsa_exception_fp_ieee_invalid_op 0
		.amdhsa_exception_fp_denorm_src 0
		.amdhsa_exception_fp_ieee_div_zero 0
		.amdhsa_exception_fp_ieee_overflow 0
		.amdhsa_exception_fp_ieee_underflow 0
		.amdhsa_exception_fp_ieee_inexact 0
		.amdhsa_exception_int_div_zero 0
	.end_amdhsa_kernel
	.section	.text._ZN9rocsolver6v33100L7set_tauIfEEviPT_S3_l,"axG",@progbits,_ZN9rocsolver6v33100L7set_tauIfEEviPT_S3_l,comdat
.Lfunc_end9:
	.size	_ZN9rocsolver6v33100L7set_tauIfEEviPT_S3_l, .Lfunc_end9-_ZN9rocsolver6v33100L7set_tauIfEEviPT_S3_l
                                        ; -- End function
	.section	.AMDGPU.csdata,"",@progbits
; Kernel info:
; codeLenInByte = 204
; NumSgprs: 18
; NumVgprs: 6
; ScratchSize: 0
; MemoryBound: 0
; FloatMode: 240
; IeeeMode: 1
; LDSByteSize: 0 bytes/workgroup (compile time only)
; SGPRBlocks: 2
; VGPRBlocks: 0
; NumSGPRsForWavesPerEU: 18
; NumVGPRsForWavesPerEU: 6
; Occupancy: 16
; WaveLimiterHint : 0
; COMPUTE_PGM_RSRC2:SCRATCH_EN: 0
; COMPUTE_PGM_RSRC2:USER_SGPR: 15
; COMPUTE_PGM_RSRC2:TRAP_HANDLER: 0
; COMPUTE_PGM_RSRC2:TGID_X_EN: 1
; COMPUTE_PGM_RSRC2:TGID_Y_EN: 0
; COMPUTE_PGM_RSRC2:TGID_Z_EN: 0
; COMPUTE_PGM_RSRC2:TIDIG_COMP_CNT: 0
	.section	.text._ZN9rocsolver6v33100L24sytd2_upper_kernel_smallILi256EfifPfEEvT1_T3_lS3_lPT2_lS6_lPT0_l,"axG",@progbits,_ZN9rocsolver6v33100L24sytd2_upper_kernel_smallILi256EfifPfEEvT1_T3_lS3_lPT2_lS6_lPT0_l,comdat
	.globl	_ZN9rocsolver6v33100L24sytd2_upper_kernel_smallILi256EfifPfEEvT1_T3_lS3_lPT2_lS6_lPT0_l ; -- Begin function _ZN9rocsolver6v33100L24sytd2_upper_kernel_smallILi256EfifPfEEvT1_T3_lS3_lPT2_lS6_lPT0_l
	.p2align	8
	.type	_ZN9rocsolver6v33100L24sytd2_upper_kernel_smallILi256EfifPfEEvT1_T3_lS3_lPT2_lS6_lPT0_l,@function
_ZN9rocsolver6v33100L24sytd2_upper_kernel_smallILi256EfifPfEEvT1_T3_lS3_lPT2_lS6_lPT0_l: ; @_ZN9rocsolver6v33100L24sytd2_upper_kernel_smallILi256EfifPfEEvT1_T3_lS3_lPT2_lS6_lPT0_l
; %bb.0:
	s_clause 0x3
	s_load_b64 s[2:3], s[0:1], 0x20
	s_load_b32 s12, s[0:1], 0x0
	s_load_b128 s[4:7], s[0:1], 0x8
	s_load_b32 s16, s[0:1], 0x18
	s_ashr_i32 s17, s15, 31
	v_and_b32_e32 v1, 0x7f, v0
	v_lshrrev_b32_e32 v5, 7, v0
	s_delay_alu instid0(VALU_DEP_2)
	v_lshlrev_b32_e32 v6, 2, v1
	s_waitcnt lgkmcnt(0)
	s_mul_i32 s3, s15, s3
	s_mul_hi_u32 s8, s15, s2
	s_mul_i32 s9, s17, s2
	s_add_i32 s3, s8, s3
	s_mul_i32 s2, s15, s2
	s_add_i32 s3, s3, s9
	s_delay_alu instid0(SALU_CYCLE_1) | instskip(SKIP_4) | instid1(SALU_CYCLE_1)
	s_lshl_b64 s[8:9], s[2:3], 2
	v_cmp_gt_i32_e64 s2, s12, v1
	s_add_u32 s3, s4, s8
	s_addc_u32 s8, s5, s9
	s_lshl_b64 s[4:5], s[6:7], 2
	s_add_u32 s13, s3, s4
	s_addc_u32 s14, s8, s5
	s_and_saveexec_b32 s4, s2
	s_cbranch_execz .LBB10_6
; %bb.1:
	v_lshrrev_b32_e32 v7, 7, v0
	v_mov_b32_e32 v9, v1
	s_mov_b32 s5, 0
	s_lshl_b32 s6, s12, 3
	s_lshl_b32 s7, s16, 1
	v_mul_lo_u32 v2, s12, v7
	v_cmp_gt_u32_e32 vcc_lo, s12, v7
	s_delay_alu instid0(VALU_DEP_2) | instskip(SKIP_1) | instid1(VALU_DEP_2)
	v_lshl_add_u32 v4, v2, 2, v6
	v_mad_u64_u32 v[2:3], null, s16, v7, v[1:2]
	v_add3_u32 v8, v4, 0, 4
	s_set_inst_prefetch_distance 0x1
	s_branch .LBB10_3
	.p2align	6
.LBB10_2:                               ;   in Loop: Header=BB10_3 Depth=1
	s_or_b32 exec_lo, exec_lo, s8
	v_add_nc_u32_e32 v9, 0x80, v9
	v_add_nc_u32_e32 v8, 0x200, v8
	;; [unrolled: 1-line block ×3, first 2 shown]
	s_delay_alu instid0(VALU_DEP_3) | instskip(NEXT) | instid1(VALU_DEP_1)
	v_cmp_le_i32_e64 s3, s12, v9
	s_or_b32 s5, s3, s5
	s_delay_alu instid0(SALU_CYCLE_1)
	s_and_not1_b32 exec_lo, exec_lo, s5
	s_cbranch_execz .LBB10_6
.LBB10_3:                               ; =>This Loop Header: Depth=1
                                        ;     Child Loop BB10_5 Depth 2
	s_and_saveexec_b32 s8, vcc_lo
	s_cbranch_execz .LBB10_2
; %bb.4:                                ;   in Loop: Header=BB10_3 Depth=1
	s_delay_alu instid0(VALU_DEP_2)
	v_dual_mov_b32 v3, v2 :: v_dual_mov_b32 v10, v8
	v_mov_b32_e32 v11, v7
	s_mov_b32 s9, 0
	.p2align	6
.LBB10_5:                               ;   Parent Loop BB10_3 Depth=1
                                        ; =>  This Inner Loop Header: Depth=2
	s_delay_alu instid0(VALU_DEP_2) | instskip(NEXT) | instid1(VALU_DEP_2)
	v_ashrrev_i32_e32 v4, 31, v3
	v_add_nc_u32_e32 v11, 2, v11
	s_delay_alu instid0(VALU_DEP_2) | instskip(SKIP_1) | instid1(VALU_DEP_2)
	v_lshlrev_b64 v[12:13], 2, v[3:4]
	v_add_nc_u32_e32 v3, s7, v3
	v_add_co_u32 v12, s3, s13, v12
	s_delay_alu instid0(VALU_DEP_1)
	v_add_co_ci_u32_e64 v13, s3, s14, v13, s3
	v_cmp_le_i32_e64 s3, s12, v11
	global_load_b32 v4, v[12:13], off
	s_or_b32 s9, s3, s9
	s_waitcnt vmcnt(0)
	ds_store_b32 v10, v4
	v_add_nc_u32_e32 v10, s6, v10
	s_and_not1_b32 exec_lo, exec_lo, s9
	s_cbranch_execnz .LBB10_5
	s_branch .LBB10_2
.LBB10_6:
	s_set_inst_prefetch_distance 0x2
	s_or_b32 exec_lo, exec_lo, s4
	s_waitcnt lgkmcnt(0)
	s_barrier
	buffer_gl0_inv
	s_and_saveexec_b32 s4, s2
	s_cbranch_execz .LBB10_14
; %bb.7:
	v_lshrrev_b32_e32 v2, 7, v0
	v_mul_lo_u32 v3, s12, v1
	s_mov_b32 s5, 0
	s_lshl_b32 s6, s12, 9
	s_lshl_b32 s7, s12, 3
	v_mul_lo_u32 v4, s12, v2
	v_lshlrev_b32_e32 v7, 2, v2
	v_cmp_gt_u32_e32 vcc_lo, s12, v2
	s_delay_alu instid0(VALU_DEP_2) | instskip(SKIP_2) | instid1(VALU_DEP_3)
	v_lshl_add_u32 v3, v3, 2, v7
	v_mov_b32_e32 v7, v1
	v_lshl_add_u32 v4, v4, 2, v6
	v_add3_u32 v3, v3, 0, 4
	s_delay_alu instid0(VALU_DEP_2)
	v_add3_u32 v4, v4, 0, 4
	s_set_inst_prefetch_distance 0x1
	s_branch .LBB10_9
	.p2align	6
.LBB10_8:                               ;   in Loop: Header=BB10_9 Depth=1
	s_or_b32 exec_lo, exec_lo, s8
	v_add_nc_u32_e32 v7, 0x80, v7
	v_add_nc_u32_e32 v3, s6, v3
	;; [unrolled: 1-line block ×3, first 2 shown]
	s_delay_alu instid0(VALU_DEP_3) | instskip(NEXT) | instid1(VALU_DEP_1)
	v_cmp_le_i32_e64 s3, s12, v7
	s_or_b32 s5, s3, s5
	s_delay_alu instid0(SALU_CYCLE_1)
	s_and_not1_b32 exec_lo, exec_lo, s5
	s_cbranch_execz .LBB10_14
.LBB10_9:                               ; =>This Loop Header: Depth=1
                                        ;     Child Loop BB10_12 Depth 2
	s_and_saveexec_b32 s8, vcc_lo
	s_cbranch_execz .LBB10_8
; %bb.10:                               ;   in Loop: Header=BB10_9 Depth=1
	v_dual_mov_b32 v8, v4 :: v_dual_mov_b32 v9, v3
	v_mov_b32_e32 v10, v2
	s_mov_b32 s9, 0
	s_branch .LBB10_12
	.p2align	6
.LBB10_11:                              ;   in Loop: Header=BB10_12 Depth=2
	s_or_b32 exec_lo, exec_lo, s10
	v_add_nc_u32_e32 v10, 2, v10
	v_add_nc_u32_e32 v9, 8, v9
	;; [unrolled: 1-line block ×3, first 2 shown]
	s_delay_alu instid0(VALU_DEP_3) | instskip(NEXT) | instid1(VALU_DEP_1)
	v_cmp_le_i32_e64 s3, s12, v10
	s_or_b32 s9, s3, s9
	s_delay_alu instid0(SALU_CYCLE_1)
	s_and_not1_b32 exec_lo, exec_lo, s9
	s_cbranch_execz .LBB10_8
.LBB10_12:                              ;   Parent Loop BB10_9 Depth=1
                                        ; =>  This Inner Loop Header: Depth=2
	s_mov_b32 s10, exec_lo
	s_delay_alu instid0(VALU_DEP_1)
	v_cmpx_gt_u32_e64 v7, v10
	s_cbranch_execz .LBB10_11
; %bb.13:                               ;   in Loop: Header=BB10_12 Depth=2
	ds_load_b32 v11, v9
	s_waitcnt lgkmcnt(0)
	ds_store_b32 v8, v11
	s_branch .LBB10_11
.LBB10_14:
	s_set_inst_prefetch_distance 0x2
	s_or_b32 exec_lo, exec_lo, s4
	s_cmp_lt_i32 s12, 2
	s_waitcnt lgkmcnt(0)
	s_barrier
	buffer_gl0_inv
	s_cbranch_scc1 .LBB10_64
; %bb.15:
	s_load_b256 s[4:11], s[0:1], 0x38
	v_mbcnt_lo_u32_b32 v8, -1, 0
	s_mul_i32 s3, s12, s12
	v_and_b32_e32 v10, 31, v0
	v_lshrrev_b32_e32 v13, 3, v0
	s_mov_b32 s23, s12
	v_cmp_ne_u32_e32 vcc_lo, 31, v8
	v_mov_b32_e32 v14, 0
	v_add_co_ci_u32_e32 v2, vcc_lo, 0, v8, vcc_lo
	v_cmp_gt_u32_e32 vcc_lo, 30, v8
	s_delay_alu instid0(VALU_DEP_2)
	v_lshlrev_b32_e32 v2, 2, v2
	v_cndmask_b32_e64 v3, 0, 1, vcc_lo
	v_cmp_gt_u32_e32 vcc_lo, 28, v8
	s_waitcnt lgkmcnt(0)
	s_mul_i32 s1, s15, s7
	s_mul_hi_u32 s7, s15, s6
	s_mul_i32 s18, s17, s6
	s_add_i32 s1, s7, s1
	v_cndmask_b32_e64 v4, 0, 1, vcc_lo
	v_cmp_gt_u32_e32 vcc_lo, 24, v8
	s_mul_i32 s0, s15, s6
	s_add_i32 s1, s1, s18
	s_mul_i32 s6, s15, s11
	s_lshl_b64 s[0:1], s[0:1], 2
	s_mul_hi_u32 s7, s15, s10
	v_cndmask_b32_e64 v7, 0, 1, vcc_lo
	v_cmp_gt_u32_e32 vcc_lo, 16, v8
	s_add_u32 s11, s4, s0
	s_mul_i32 s18, s17, s10
	s_addc_u32 s17, s5, s1
	s_add_i32 s1, s7, s6
	s_mul_i32 s0, s15, s10
	s_add_i32 s1, s1, s18
	v_cndmask_b32_e64 v9, 0, 1, vcc_lo
	s_lshl_b64 s[0:1], s[0:1], 2
	v_lshlrev_b32_e32 v3, 1, v3
	s_add_u32 s8, s8, s0
	s_addc_u32 s9, s9, s1
	s_lshl_b32 s0, s3, 2
	v_lshlrev_b32_e32 v4, 2, v4
	v_lshlrev_b32_e32 v7, 3, v7
	s_lshl_b32 s10, s12, 2
	s_add_i32 s0, s0, 0
	v_lshlrev_b32_e32 v9, 4, v9
	s_add_i32 s21, s0, s10
	s_add_i32 s15, s0, 4
	;; [unrolled: 1-line block ×3, first 2 shown]
	v_add_lshl_u32 v3, v3, v8, 2
	v_add_lshl_u32 v4, v4, v8, 2
	;; [unrolled: 1-line block ×4, first 2 shown]
	s_cmp_eq_u64 s[4:5], 0
	v_lshlrev_b32_e32 v9, 2, v0
	s_cselect_b32 s19, -1, 0
	s_cmp_lg_u64 s[4:5], 0
	v_cmp_eq_u32_e64 s0, 0, v10
	s_cselect_b32 s20, -1, 0
	s_add_i32 s3, s12, -1
	v_add_nc_u32_e32 v12, 4, v9
	s_mul_i32 s3, s12, s3
	s_add_i32 s4, s10, 4
	s_lshl_b32 s3, s3, 2
	v_cmp_eq_u32_e64 s1, 0, v0
	v_add3_u32 v10, 0, s3, v12
	s_mul_i32 s3, s12, s4
	v_add_nc_u32_e32 v9, s15, v9
	v_add_nc_u32_e32 v11, 0, v12
	v_add3_u32 v12, 0, s3, v12
	v_add_nc_u32_e32 v13, s18, v13
	s_add_i32 s21, s21, 4
	s_sub_i32 s22, 0, s10
	s_branch .LBB10_17
.LBB10_16:                              ;   in Loop: Header=BB10_17 Depth=1
	s_set_inst_prefetch_distance 0x2
	s_or_b32 exec_lo, exec_lo, s4
	v_add_nc_u32_e32 v10, s22, v10
	s_cmp_lt_i32 s23, 3
	s_mov_b32 s23, s24
	s_waitcnt lgkmcnt(0)
	s_barrier
	buffer_gl0_inv
	s_cbranch_scc1 .LBB10_64
.LBB10_17:                              ; =>This Loop Header: Depth=1
                                        ;     Child Loop BB10_19 Depth 2
                                        ;     Child Loop BB10_22 Depth 2
	;; [unrolled: 1-line block ×4, first 2 shown]
                                        ;       Child Loop BB10_44 Depth 3
                                        ;     Child Loop BB10_47 Depth 2
                                        ;     Child Loop BB10_50 Depth 2
	;; [unrolled: 1-line block ×4, first 2 shown]
                                        ;       Child Loop BB10_62 Depth 3
	s_add_i32 s24, s23, -1
	s_delay_alu instid0(SALU_CYCLE_1) | instskip(NEXT) | instid1(VALU_DEP_1)
	v_cmp_gt_i32_e64 s3, s24, v0
	s_and_saveexec_b32 s4, s3
	s_cbranch_execz .LBB10_20
; %bb.18:                               ;   in Loop: Header=BB10_17 Depth=1
	v_dual_mov_b32 v15, v10 :: v_dual_mov_b32 v16, v9
	v_mov_b32_e32 v17, v0
	s_mov_b32 s5, 0
.LBB10_19:                              ;   Parent Loop BB10_17 Depth=1
                                        ; =>  This Inner Loop Header: Depth=2
	ds_load_b32 v18, v15
	v_add_nc_u32_e32 v17, 0x100, v17
	v_add_nc_u32_e32 v15, 0x400, v15
	s_delay_alu instid0(VALU_DEP_2)
	v_cmp_le_i32_e32 vcc_lo, s24, v17
	s_or_b32 s5, vcc_lo, s5
	s_waitcnt lgkmcnt(0)
	ds_store_b32 v16, v18
	v_add_nc_u32_e32 v16, 0x400, v16
	s_and_not1_b32 exec_lo, exec_lo, s5
	s_cbranch_execnz .LBB10_19
.LBB10_20:                              ;   in Loop: Header=BB10_17 Depth=1
	s_or_b32 exec_lo, exec_lo, s4
	s_add_i32 s6, s23, -2
	v_mov_b32_e32 v15, 0
	v_cmp_gt_i32_e64 s4, s6, v0
	s_waitcnt lgkmcnt(0)
	s_barrier
	buffer_gl0_inv
	s_and_saveexec_b32 s5, s4
	s_cbranch_execz .LBB10_24
; %bb.21:                               ;   in Loop: Header=BB10_17 Depth=1
	v_dual_mov_b32 v15, 0 :: v_dual_mov_b32 v16, v9
	v_mov_b32_e32 v17, v0
	s_mov_b32 s7, 0
.LBB10_22:                              ;   Parent Loop BB10_17 Depth=1
                                        ; =>  This Inner Loop Header: Depth=2
	ds_load_b32 v18, v16
	s_waitcnt lgkmcnt(0)
	v_dual_mul_f32 v18, v18, v18 :: v_dual_add_nc_u32 v17, 0x100, v17
	s_delay_alu instid0(VALU_DEP_1) | instskip(NEXT) | instid1(VALU_DEP_2)
	v_cmp_le_i32_e32 vcc_lo, s6, v17
	v_dual_add_f32 v15, v15, v18 :: v_dual_add_nc_u32 v16, 0x400, v16
	s_or_b32 s7, vcc_lo, s7
	s_delay_alu instid0(SALU_CYCLE_1)
	s_and_not1_b32 exec_lo, exec_lo, s7
	s_cbranch_execnz .LBB10_22
; %bb.23:                               ;   in Loop: Header=BB10_17 Depth=1
	s_or_b32 exec_lo, exec_lo, s7
.LBB10_24:                              ;   in Loop: Header=BB10_17 Depth=1
	s_delay_alu instid0(SALU_CYCLE_1)
	s_or_b32 exec_lo, exec_lo, s5
	ds_bpermute_b32 v16, v2, v15
	s_waitcnt lgkmcnt(0)
	v_add_f32_e32 v15, v15, v16
	ds_bpermute_b32 v16, v3, v15
	s_waitcnt lgkmcnt(0)
	v_add_f32_e32 v15, v15, v16
	;; [unrolled: 3-line block ×5, first 2 shown]
	s_and_saveexec_b32 s5, s0
	s_cbranch_execz .LBB10_26
; %bb.25:                               ;   in Loop: Header=BB10_17 Depth=1
	ds_store_b32 v13, v15 offset:4
.LBB10_26:                              ;   in Loop: Header=BB10_17 Depth=1
	s_or_b32 exec_lo, exec_lo, s5
	s_waitcnt lgkmcnt(0)
	s_barrier
	buffer_gl0_inv
	s_and_saveexec_b32 s25, s1
	s_cbranch_execz .LBB10_38
; %bb.27:                               ;   in Loop: Header=BB10_17 Depth=1
	v_mov_b32_e32 v22, s18
	s_lshl_b32 s5, s6, 2
	s_mov_b32 s7, 0
	s_add_i32 s26, s15, s5
	s_mov_b32 s29, s7
	ds_load_2addr_b32 v[16:17], v22 offset0:2 offset1:3
	ds_load_2addr_b32 v[18:19], v22 offset0:4 offset1:5
	;; [unrolled: 1-line block ×3, first 2 shown]
	ds_load_b32 v22, v22 offset:32
	s_mov_b32 s30, exec_lo
                                        ; implicit-def: $sgpr28
                                        ; implicit-def: $sgpr27
                                        ; implicit-def: $sgpr5
	s_waitcnt lgkmcnt(3)
	v_add_f32_e32 v15, v15, v16
	s_delay_alu instid0(VALU_DEP_1) | instskip(SKIP_1) | instid1(VALU_DEP_1)
	v_add_f32_e32 v15, v15, v17
	s_waitcnt lgkmcnt(2)
	v_add_f32_e32 v15, v15, v18
	s_delay_alu instid0(VALU_DEP_1) | instskip(SKIP_1) | instid1(VALU_DEP_1)
	v_add_f32_e32 v15, v15, v19
	;; [unrolled: 4-line block ×3, first 2 shown]
	s_waitcnt lgkmcnt(0)
	v_add_f32_e32 v17, v15, v22
                                        ; implicit-def: $vgpr15
	s_delay_alu instid0(VALU_DEP_1)
	v_cmpx_nlt_f32_e32 0, v17
	s_xor_b32 s30, exec_lo, s30
	s_cbranch_execz .LBB10_31
; %bb.28:                               ;   in Loop: Header=BB10_17 Depth=1
	s_mov_b32 s27, 0
	s_and_b32 vcc_lo, exec_lo, s20
	s_mov_b32 s29, 0
	ds_store_b32 v14, v14
                                        ; implicit-def: $vgpr15
                                        ; implicit-def: $sgpr5
	s_cbranch_vccz .LBB10_30
; %bb.29:                               ;   in Loop: Header=BB10_17 Depth=1
	v_mov_b32_e32 v15, s26
	s_mov_b32 s29, -1
	s_mov_b32 s5, 1.0
	ds_load_b32 v15, v15
.LBB10_30:                              ;   in Loop: Header=BB10_17 Depth=1
	s_mov_b32 s28, 1.0
	s_and_b32 s29, s29, exec_lo
                                        ; implicit-def: $vgpr17
.LBB10_31:                              ;   in Loop: Header=BB10_17 Depth=1
	s_or_saveexec_b32 s30, s30
	v_mov_b32_e32 v16, s5
	s_mov_b32 s5, 0
	s_xor_b32 exec_lo, exec_lo, s30
	s_cbranch_execz .LBB10_33
; %bb.32:                               ;   in Loop: Header=BB10_17 Depth=1
	s_waitcnt lgkmcnt(0)
	v_mov_b32_e32 v15, s26
	s_and_not1_b32 s29, s29, exec_lo
	s_and_b32 s31, s20, exec_lo
	s_delay_alu instid0(SALU_CYCLE_1) | instskip(SKIP_3) | instid1(VALU_DEP_1)
	s_or_b32 s29, s29, s31
	ds_load_b32 v16, v15
	s_waitcnt lgkmcnt(0)
	v_fmac_f32_e32 v17, v16, v16
	v_mul_f32_e32 v15, 0x4f800000, v17
	v_cmp_gt_f32_e32 vcc_lo, 0xf800000, v17
	s_delay_alu instid0(VALU_DEP_2) | instskip(NEXT) | instid1(VALU_DEP_1)
	v_cndmask_b32_e32 v15, v17, v15, vcc_lo
	v_sqrt_f32_e32 v17, v15
	s_waitcnt_depctr 0xfff
	v_add_nc_u32_e32 v18, -1, v17
	v_add_nc_u32_e32 v19, 1, v17
	s_delay_alu instid0(VALU_DEP_2) | instskip(NEXT) | instid1(VALU_DEP_2)
	v_fma_f32 v20, -v18, v17, v15
	v_fma_f32 v21, -v19, v17, v15
	s_delay_alu instid0(VALU_DEP_2) | instskip(NEXT) | instid1(VALU_DEP_1)
	v_cmp_ge_f32_e64 s5, 0, v20
	v_cndmask_b32_e64 v17, v17, v18, s5
	s_delay_alu instid0(VALU_DEP_3) | instskip(NEXT) | instid1(VALU_DEP_1)
	v_cmp_lt_f32_e64 s5, 0, v21
	v_cndmask_b32_e64 v17, v17, v19, s5
	s_delay_alu instid0(VALU_DEP_1) | instskip(NEXT) | instid1(VALU_DEP_1)
	v_mul_f32_e32 v18, 0x37800000, v17
	v_cndmask_b32_e32 v17, v17, v18, vcc_lo
	v_cmp_class_f32_e64 vcc_lo, v15, 0x260
	s_delay_alu instid0(VALU_DEP_2) | instskip(SKIP_1) | instid1(VALU_DEP_2)
	v_cndmask_b32_e32 v15, v17, v15, vcc_lo
	v_cmp_le_f32_e32 vcc_lo, 0, v16
	v_cndmask_b32_e64 v15, v15, -v15, vcc_lo
	s_delay_alu instid0(VALU_DEP_1) | instskip(NEXT) | instid1(VALU_DEP_1)
	v_dual_sub_f32 v18, v15, v16 :: v_dual_sub_f32 v17, v16, v15
	v_div_scale_f32 v19, null, v15, v15, v18
	s_delay_alu instid0(VALU_DEP_2) | instskip(SKIP_1) | instid1(VALU_DEP_3)
	v_div_scale_f32 v16, null, v17, v17, 1.0
	v_div_scale_f32 v24, vcc_lo, 1.0, v17, 1.0
	v_rcp_f32_e32 v21, v19
	s_delay_alu instid0(VALU_DEP_2) | instskip(SKIP_3) | instid1(VALU_DEP_1)
	v_rcp_f32_e32 v20, v16
	s_waitcnt_depctr 0xfff
	v_fma_f32 v23, -v19, v21, 1.0
	v_fma_f32 v22, -v16, v20, 1.0
	v_dual_fmac_f32 v21, v23, v21 :: v_dual_fmac_f32 v20, v22, v20
	v_div_scale_f32 v22, s5, v18, v15, v18
	s_delay_alu instid0(VALU_DEP_2) | instskip(NEXT) | instid1(VALU_DEP_2)
	v_mul_f32_e32 v23, v24, v20
	v_mul_f32_e32 v25, v22, v21
	s_delay_alu instid0(VALU_DEP_2) | instskip(NEXT) | instid1(VALU_DEP_2)
	v_fma_f32 v26, -v16, v23, v24
	v_fma_f32 v27, -v19, v25, v22
	s_delay_alu instid0(VALU_DEP_2) | instskip(NEXT) | instid1(VALU_DEP_2)
	v_fmac_f32_e32 v23, v26, v20
	v_fmac_f32_e32 v25, v27, v21
	s_delay_alu instid0(VALU_DEP_2) | instskip(NEXT) | instid1(VALU_DEP_2)
	v_fma_f32 v16, -v16, v23, v24
	v_fma_f32 v19, -v19, v25, v22
	s_delay_alu instid0(VALU_DEP_2) | instskip(SKIP_2) | instid1(VALU_DEP_2)
	v_div_fmas_f32 v16, v16, v20, v23
	s_mov_b32 vcc_lo, s5
	s_and_b32 s5, s19, exec_lo
	v_div_fmas_f32 v19, v19, v21, v25
	s_delay_alu instid0(VALU_DEP_2) | instskip(NEXT) | instid1(VALU_DEP_2)
	v_div_fixup_f32 v16, v16, v17, 1.0
	v_div_fixup_f32 v17, v19, v15, v18
	ds_store_b32 v14, v17
.LBB10_33:                              ;   in Loop: Header=BB10_17 Depth=1
	s_or_b32 exec_lo, exec_lo, s30
	s_and_saveexec_b32 s30, s29
	s_cbranch_execz .LBB10_35
; %bb.34:                               ;   in Loop: Header=BB10_17 Depth=1
	s_lshl_b64 s[34:35], s[6:7], 2
	s_delay_alu instid0(SALU_CYCLE_1)
	s_add_u32 s34, s11, s34
	s_addc_u32 s35, s17, s35
	s_or_b32 s5, s5, exec_lo
	s_waitcnt lgkmcnt(0)
	global_store_b32 v14, v15, s[34:35]
	v_mov_b32_e32 v15, 1.0
.LBB10_35:                              ;   in Loop: Header=BB10_17 Depth=1
	s_or_b32 exec_lo, exec_lo, s30
	v_dual_mov_b32 v17, s27 :: v_dual_mov_b32 v18, s28
	s_and_saveexec_b32 s27, s5
	s_cbranch_execz .LBB10_37
; %bb.36:                               ;   in Loop: Header=BB10_17 Depth=1
	v_dual_mov_b32 v17, s26 :: v_dual_mov_b32 v18, v16
	s_waitcnt lgkmcnt(0)
	ds_store_b32 v17, v15
	ds_load_b32 v17, v14
.LBB10_37:                              ;   in Loop: Header=BB10_17 Depth=1
	s_or_b32 exec_lo, exec_lo, s27
	s_lshl_b64 s[26:27], s[6:7], 2
	s_waitcnt lgkmcnt(0)
	v_mov_b32_e32 v15, s18
	s_add_u32 s26, s8, s26
	s_addc_u32 s27, s9, s27
	global_store_b32 v14, v17, s[26:27]
	ds_store_b32 v15, v18 offset:4
.LBB10_38:                              ;   in Loop: Header=BB10_17 Depth=1
	s_or_b32 exec_lo, exec_lo, s25
	s_waitcnt lgkmcnt(0)
	s_waitcnt_vscnt null, 0x0
	s_barrier
	buffer_gl0_inv
	s_and_saveexec_b32 s5, s4
	s_cbranch_execz .LBB10_41
; %bb.39:                               ;   in Loop: Header=BB10_17 Depth=1
	v_dual_mov_b32 v15, v9 :: v_dual_mov_b32 v16, v0
	s_mov_b32 s4, 0
.LBB10_40:                              ;   Parent Loop BB10_17 Depth=1
                                        ; =>  This Inner Loop Header: Depth=2
	s_delay_alu instid0(VALU_DEP_1)
	v_dual_mov_b32 v17, s18 :: v_dual_add_nc_u32 v16, 0x100, v16
	ds_load_b32 v18, v15
	ds_load_b32 v17, v17 offset:4
	v_cmp_le_i32_e32 vcc_lo, s6, v16
	s_or_b32 s4, vcc_lo, s4
	s_waitcnt lgkmcnt(0)
	v_mul_f32_e32 v17, v17, v18
	ds_store_b32 v15, v17
	v_add_nc_u32_e32 v15, 0x400, v15
	s_and_not1_b32 exec_lo, exec_lo, s4
	s_cbranch_execnz .LBB10_40
.LBB10_41:                              ;   in Loop: Header=BB10_17 Depth=1
	s_or_b32 exec_lo, exec_lo, s5
	s_waitcnt lgkmcnt(0)
	s_barrier
	buffer_gl0_inv
	s_and_saveexec_b32 s4, s3
	s_cbranch_execz .LBB10_48
; %bb.42:                               ;   in Loop: Header=BB10_17 Depth=1
	v_dual_mov_b32 v15, v11 :: v_dual_mov_b32 v16, v0
	s_mov_b32 s5, 0
	.p2align	6
.LBB10_43:                              ;   Parent Loop BB10_17 Depth=1
                                        ; =>  This Loop Header: Depth=2
                                        ;       Child Loop BB10_44 Depth 3
	s_delay_alu instid0(VALU_DEP_1)
	v_dual_mov_b32 v17, 0 :: v_dual_mov_b32 v18, v15
	s_mov_b32 s6, s15
	s_mov_b32 s7, 0
.LBB10_44:                              ;   Parent Loop BB10_17 Depth=1
                                        ;     Parent Loop BB10_43 Depth=2
                                        ; =>    This Inner Loop Header: Depth=3
	v_mov_b32_e32 v19, s6
	s_add_i32 s7, s7, 1
	s_add_i32 s6, s6, 4
	s_cmp_ge_i32 s7, s24
	ds_load_b32 v20, v18
	ds_load_b32 v19, v19
	s_waitcnt lgkmcnt(0)
	v_dual_fmac_f32 v17, v20, v19 :: v_dual_add_nc_u32 v18, s10, v18
	s_cbranch_scc0 .LBB10_44
; %bb.45:                               ;   in Loop: Header=BB10_43 Depth=2
	ds_load_b32 v18, v14
	v_lshl_add_u32 v19, v16, 2, s21
	v_add_nc_u32_e32 v16, 0x100, v16
	v_add_nc_u32_e32 v15, 0x400, v15
	s_waitcnt lgkmcnt(0)
	v_mul_f32_e32 v17, v17, v18
	s_delay_alu instid0(VALU_DEP_3) | instskip(SKIP_2) | instid1(SALU_CYCLE_1)
	v_cmp_le_i32_e32 vcc_lo, s24, v16
	ds_store_b32 v19, v17
	s_or_b32 s5, vcc_lo, s5
	s_and_not1_b32 exec_lo, exec_lo, s5
	s_cbranch_execnz .LBB10_43
; %bb.46:                               ;   in Loop: Header=BB10_17 Depth=1
	s_or_b32 exec_lo, exec_lo, s5
	v_mov_b32_e32 v15, v0
	s_mov_b32 s5, 0
	s_mov_b32 s6, 0
.LBB10_47:                              ;   Parent Loop BB10_17 Depth=1
                                        ; =>  This Inner Loop Header: Depth=2
	s_delay_alu instid0(SALU_CYCLE_1) | instskip(NEXT) | instid1(VALU_DEP_2)
	v_add_nc_u32_e32 v16, s6, v9
	v_add_nc_u32_e32 v15, 0x100, v15
	;; [unrolled: 1-line block ×3, first 2 shown]
	s_addk_i32 s6, 0x400
	ds_load_b32 v16, v16
	v_cmp_le_i32_e32 vcc_lo, s24, v15
	s_or_b32 s5, vcc_lo, s5
	s_waitcnt lgkmcnt(0)
	ds_store_b32 v17, v16
	s_and_not1_b32 exec_lo, exec_lo, s5
	s_cbranch_execnz .LBB10_47
.LBB10_48:                              ;   in Loop: Header=BB10_17 Depth=1
	s_or_b32 exec_lo, exec_lo, s4
	v_mov_b32_e32 v15, 0
	s_waitcnt lgkmcnt(0)
	s_barrier
	buffer_gl0_inv
	s_and_saveexec_b32 s4, s3
	s_cbranch_execz .LBB10_52
; %bb.49:                               ;   in Loop: Header=BB10_17 Depth=1
	v_dual_mov_b32 v15, 0 :: v_dual_mov_b32 v16, v9
	v_mov_b32_e32 v17, v12
	v_mov_b32_e32 v18, v0
	s_mov_b32 s5, 0
.LBB10_50:                              ;   Parent Loop BB10_17 Depth=1
                                        ; =>  This Inner Loop Header: Depth=2
	ds_load_b32 v19, v16
	ds_load_b32 v20, v17
	v_add_nc_u32_e32 v18, 0x100, v18
	v_add_nc_u32_e32 v17, 0x400, v17
	s_waitcnt lgkmcnt(0)
	v_mul_f32_e32 v19, v19, v20
	s_delay_alu instid0(VALU_DEP_3) | instskip(NEXT) | instid1(VALU_DEP_2)
	v_cmp_le_i32_e32 vcc_lo, s24, v18
	v_dual_add_f32 v15, v15, v19 :: v_dual_add_nc_u32 v16, 0x400, v16
	s_or_b32 s5, vcc_lo, s5
	s_delay_alu instid0(SALU_CYCLE_1)
	s_and_not1_b32 exec_lo, exec_lo, s5
	s_cbranch_execnz .LBB10_50
; %bb.51:                               ;   in Loop: Header=BB10_17 Depth=1
	s_or_b32 exec_lo, exec_lo, s5
.LBB10_52:                              ;   in Loop: Header=BB10_17 Depth=1
	s_delay_alu instid0(SALU_CYCLE_1)
	s_or_b32 exec_lo, exec_lo, s4
	ds_bpermute_b32 v16, v2, v15
	s_waitcnt lgkmcnt(0)
	v_add_f32_e32 v15, v15, v16
	ds_bpermute_b32 v16, v3, v15
	s_waitcnt lgkmcnt(0)
	v_add_f32_e32 v15, v15, v16
	;; [unrolled: 3-line block ×5, first 2 shown]
	s_and_saveexec_b32 s4, s0
	s_cbranch_execz .LBB10_54
; %bb.53:                               ;   in Loop: Header=BB10_17 Depth=1
	ds_store_b32 v13, v15 offset:4
.LBB10_54:                              ;   in Loop: Header=BB10_17 Depth=1
	s_or_b32 exec_lo, exec_lo, s4
	s_waitcnt lgkmcnt(0)
	s_barrier
	buffer_gl0_inv
	s_and_saveexec_b32 s4, s1
	s_cbranch_execz .LBB10_56
; %bb.55:                               ;   in Loop: Header=BB10_17 Depth=1
	v_mov_b32_e32 v24, s18
	ds_load_2addr_b32 v[16:17], v24 offset0:4 offset1:5
	ds_load_2addr_b32 v[18:19], v24 offset0:6 offset1:7
	ds_load_b32 v22, v14
	ds_load_2addr_b32 v[20:21], v24 offset0:2 offset1:3
	s_waitcnt lgkmcnt(1)
	v_cvt_f64_f32_e32 v[22:23], v22
	s_waitcnt lgkmcnt(0)
	v_add_f32_e32 v15, v15, v20
	ds_load_b32 v20, v24 offset:32
	v_add_f32_e32 v15, v15, v21
	s_delay_alu instid0(VALU_DEP_1) | instskip(NEXT) | instid1(VALU_DEP_1)
	v_add_f32_e32 v15, v15, v16
	v_add_f32_e32 v15, v15, v17
	s_delay_alu instid0(VALU_DEP_1) | instskip(NEXT) | instid1(VALU_DEP_1)
	v_add_f32_e32 v15, v15, v18
	v_add_f32_e32 v15, v15, v19
	s_waitcnt lgkmcnt(0)
	s_delay_alu instid0(VALU_DEP_1) | instskip(NEXT) | instid1(VALU_DEP_1)
	v_add_f32_e32 v17, v15, v20
	v_cvt_f64_f32_e32 v[17:18], v17
	v_mul_f64 v[15:16], v[22:23], -0.5
	s_delay_alu instid0(VALU_DEP_1) | instskip(NEXT) | instid1(VALU_DEP_1)
	v_mul_f64 v[15:16], v[15:16], v[17:18]
	v_cvt_f32_f64_e32 v15, v[15:16]
	ds_store_b32 v24, v15 offset:4
.LBB10_56:                              ;   in Loop: Header=BB10_17 Depth=1
	s_or_b32 exec_lo, exec_lo, s4
	s_waitcnt lgkmcnt(0)
	s_barrier
	buffer_gl0_inv
	s_and_saveexec_b32 s4, s3
	s_cbranch_execz .LBB10_59
; %bb.57:                               ;   in Loop: Header=BB10_17 Depth=1
	v_dual_mov_b32 v15, v9 :: v_dual_mov_b32 v16, v12
	v_mov_b32_e32 v17, v0
	s_mov_b32 s5, 0
	.p2align	6
.LBB10_58:                              ;   Parent Loop BB10_17 Depth=1
                                        ; =>  This Inner Loop Header: Depth=2
	s_delay_alu instid0(VALU_DEP_1)
	v_dual_mov_b32 v18, s18 :: v_dual_add_nc_u32 v17, 0x100, v17
	ds_load_b32 v19, v15
	ds_load_b32 v20, v16
	ds_load_b32 v18, v18 offset:4
	v_add_nc_u32_e32 v15, 0x400, v15
	v_cmp_le_i32_e32 vcc_lo, s24, v17
	s_or_b32 s5, vcc_lo, s5
	s_waitcnt lgkmcnt(0)
	v_fmac_f32_e32 v20, v18, v19
	ds_store_b32 v16, v20
	v_add_nc_u32_e32 v16, 0x400, v16
	s_and_not1_b32 exec_lo, exec_lo, s5
	s_cbranch_execnz .LBB10_58
.LBB10_59:                              ;   in Loop: Header=BB10_17 Depth=1
	s_or_b32 exec_lo, exec_lo, s4
	s_waitcnt lgkmcnt(0)
	s_barrier
	buffer_gl0_inv
	s_and_saveexec_b32 s4, s3
	s_cbranch_execz .LBB10_16
; %bb.60:                               ;   in Loop: Header=BB10_17 Depth=1
	v_dual_mov_b32 v15, v11 :: v_dual_mov_b32 v16, v0
	s_mov_b32 s3, 0
	s_set_inst_prefetch_distance 0x1
	.p2align	6
.LBB10_61:                              ;   Parent Loop BB10_17 Depth=1
                                        ; =>  This Loop Header: Depth=2
                                        ;       Child Loop BB10_62 Depth 3
	s_delay_alu instid0(VALU_DEP_1) | instskip(SKIP_3) | instid1(VALU_DEP_1)
	v_dual_mov_b32 v19, v15 :: v_dual_lshlrev_b32 v18, 2, v16
	s_mov_b32 s5, s21
	s_mov_b32 s6, s15
	;; [unrolled: 1-line block ×3, first 2 shown]
	v_add_nc_u32_e32 v17, s15, v18
	v_add_nc_u32_e32 v18, s21, v18
	.p2align	6
.LBB10_62:                              ;   Parent Loop BB10_17 Depth=1
                                        ;     Parent Loop BB10_61 Depth=2
                                        ; =>    This Inner Loop Header: Depth=3
	v_mov_b32_e32 v20, s5
	ds_load_b32 v21, v19
	v_mov_b32_e32 v22, s6
	s_add_i32 s7, s7, 1
	ds_load_b32 v23, v17
	ds_load_b32 v20, v20
	;; [unrolled: 1-line block ×4, first 2 shown]
	s_add_i32 s6, s6, 4
	s_add_i32 s5, s5, 4
	s_cmp_ge_i32 s7, s24
	s_waitcnt lgkmcnt(2)
	v_fma_f32 v20, -v23, v20, v21
	s_waitcnt lgkmcnt(0)
	s_delay_alu instid0(VALU_DEP_1)
	v_fma_f32 v20, -v24, v22, v20
	ds_store_b32 v19, v20
	v_add_nc_u32_e32 v19, s10, v19
	s_cbranch_scc0 .LBB10_62
; %bb.63:                               ;   in Loop: Header=BB10_61 Depth=2
	v_add_nc_u32_e32 v16, 0x100, v16
	v_add_nc_u32_e32 v15, 0x400, v15
	s_delay_alu instid0(VALU_DEP_2) | instskip(SKIP_1) | instid1(SALU_CYCLE_1)
	v_cmp_le_i32_e32 vcc_lo, s24, v16
	s_or_b32 s3, vcc_lo, s3
	s_and_not1_b32 exec_lo, exec_lo, s3
	s_cbranch_execnz .LBB10_61
	s_branch .LBB10_16
.LBB10_64:
	s_and_saveexec_b32 s0, s2
	s_cbranch_execz .LBB10_72
; %bb.65:
	v_mul_lo_u32 v0, s12, v5
	v_mad_u64_u32 v[2:3], null, s16, v5, v[1:2]
	v_cmp_gt_u32_e32 vcc_lo, s12, v5
	s_lshl_b32 s1, s16, 1
	s_mov_b32 s2, 0
	s_lshl_b32 s3, s12, 3
	s_delay_alu instid0(VALU_DEP_3) | instskip(NEXT) | instid1(VALU_DEP_1)
	v_lshl_add_u32 v0, v0, 2, v6
	v_add3_u32 v0, v0, 0, 4
	s_set_inst_prefetch_distance 0x1
	s_branch .LBB10_67
	.p2align	6
.LBB10_66:                              ;   in Loop: Header=BB10_67 Depth=1
	s_or_b32 exec_lo, exec_lo, s4
	v_add_nc_u32_e32 v1, 0x80, v1
	v_add_nc_u32_e32 v2, 0x80, v2
	;; [unrolled: 1-line block ×3, first 2 shown]
	s_delay_alu instid0(VALU_DEP_3) | instskip(NEXT) | instid1(VALU_DEP_1)
	v_cmp_le_i32_e64 s0, s12, v1
	s_or_b32 s2, s0, s2
	s_delay_alu instid0(SALU_CYCLE_1)
	s_and_not1_b32 exec_lo, exec_lo, s2
	s_cbranch_execz .LBB10_72
.LBB10_67:                              ; =>This Loop Header: Depth=1
                                        ;     Child Loop BB10_70 Depth 2
	s_and_saveexec_b32 s4, vcc_lo
	s_cbranch_execz .LBB10_66
; %bb.68:                               ;   in Loop: Header=BB10_67 Depth=1
	v_dual_mov_b32 v6, v0 :: v_dual_mov_b32 v3, v2
	v_mov_b32_e32 v7, v5
	s_mov_b32 s5, 0
	s_branch .LBB10_70
	.p2align	6
.LBB10_69:                              ;   in Loop: Header=BB10_70 Depth=2
	s_or_b32 exec_lo, exec_lo, s6
	v_add_nc_u32_e32 v7, 2, v7
	v_add_nc_u32_e32 v3, s1, v3
	;; [unrolled: 1-line block ×3, first 2 shown]
	s_delay_alu instid0(VALU_DEP_3) | instskip(NEXT) | instid1(VALU_DEP_1)
	v_cmp_le_i32_e64 s0, s12, v7
	s_or_b32 s5, s0, s5
	s_delay_alu instid0(SALU_CYCLE_1)
	s_and_not1_b32 exec_lo, exec_lo, s5
	s_cbranch_execz .LBB10_66
.LBB10_70:                              ;   Parent Loop BB10_67 Depth=1
                                        ; =>  This Inner Loop Header: Depth=2
	s_mov_b32 s6, exec_lo
	s_delay_alu instid0(VALU_DEP_1)
	v_cmpx_le_u32_e64 v1, v7
	s_cbranch_execz .LBB10_69
; %bb.71:                               ;   in Loop: Header=BB10_70 Depth=2
	ds_load_b32 v10, v6
	v_ashrrev_i32_e32 v4, 31, v3
	s_delay_alu instid0(VALU_DEP_1) | instskip(NEXT) | instid1(VALU_DEP_1)
	v_lshlrev_b64 v[8:9], 2, v[3:4]
	v_add_co_u32 v8, s0, s13, v8
	s_delay_alu instid0(VALU_DEP_1)
	v_add_co_ci_u32_e64 v9, s0, s14, v9, s0
	s_waitcnt lgkmcnt(0)
	global_store_b32 v[8:9], v10, off
	s_branch .LBB10_69
.LBB10_72:
	s_set_inst_prefetch_distance 0x2
	s_nop 0
	s_sendmsg sendmsg(MSG_DEALLOC_VGPRS)
	s_endpgm
	.section	.rodata,"a",@progbits
	.p2align	6, 0x0
	.amdhsa_kernel _ZN9rocsolver6v33100L24sytd2_upper_kernel_smallILi256EfifPfEEvT1_T3_lS3_lPT2_lS6_lPT0_l
		.amdhsa_group_segment_fixed_size 0
		.amdhsa_private_segment_fixed_size 0
		.amdhsa_kernarg_size 88
		.amdhsa_user_sgpr_count 14
		.amdhsa_user_sgpr_dispatch_ptr 0
		.amdhsa_user_sgpr_queue_ptr 0
		.amdhsa_user_sgpr_kernarg_segment_ptr 1
		.amdhsa_user_sgpr_dispatch_id 0
		.amdhsa_user_sgpr_private_segment_size 0
		.amdhsa_wavefront_size32 1
		.amdhsa_uses_dynamic_stack 0
		.amdhsa_enable_private_segment 0
		.amdhsa_system_sgpr_workgroup_id_x 1
		.amdhsa_system_sgpr_workgroup_id_y 0
		.amdhsa_system_sgpr_workgroup_id_z 1
		.amdhsa_system_sgpr_workgroup_info 0
		.amdhsa_system_vgpr_workitem_id 0
		.amdhsa_next_free_vgpr 28
		.amdhsa_next_free_sgpr 36
		.amdhsa_reserve_vcc 1
		.amdhsa_float_round_mode_32 0
		.amdhsa_float_round_mode_16_64 0
		.amdhsa_float_denorm_mode_32 3
		.amdhsa_float_denorm_mode_16_64 3
		.amdhsa_dx10_clamp 1
		.amdhsa_ieee_mode 1
		.amdhsa_fp16_overflow 0
		.amdhsa_workgroup_processor_mode 1
		.amdhsa_memory_ordered 1
		.amdhsa_forward_progress 0
		.amdhsa_shared_vgpr_count 0
		.amdhsa_exception_fp_ieee_invalid_op 0
		.amdhsa_exception_fp_denorm_src 0
		.amdhsa_exception_fp_ieee_div_zero 0
		.amdhsa_exception_fp_ieee_overflow 0
		.amdhsa_exception_fp_ieee_underflow 0
		.amdhsa_exception_fp_ieee_inexact 0
		.amdhsa_exception_int_div_zero 0
	.end_amdhsa_kernel
	.section	.text._ZN9rocsolver6v33100L24sytd2_upper_kernel_smallILi256EfifPfEEvT1_T3_lS3_lPT2_lS6_lPT0_l,"axG",@progbits,_ZN9rocsolver6v33100L24sytd2_upper_kernel_smallILi256EfifPfEEvT1_T3_lS3_lPT2_lS6_lPT0_l,comdat
.Lfunc_end10:
	.size	_ZN9rocsolver6v33100L24sytd2_upper_kernel_smallILi256EfifPfEEvT1_T3_lS3_lPT2_lS6_lPT0_l, .Lfunc_end10-_ZN9rocsolver6v33100L24sytd2_upper_kernel_smallILi256EfifPfEEvT1_T3_lS3_lPT2_lS6_lPT0_l
                                        ; -- End function
	.section	.AMDGPU.csdata,"",@progbits
; Kernel info:
; codeLenInByte = 3600
; NumSgprs: 38
; NumVgprs: 28
; ScratchSize: 0
; MemoryBound: 0
; FloatMode: 240
; IeeeMode: 1
; LDSByteSize: 0 bytes/workgroup (compile time only)
; SGPRBlocks: 4
; VGPRBlocks: 3
; NumSGPRsForWavesPerEU: 38
; NumVGPRsForWavesPerEU: 28
; Occupancy: 16
; WaveLimiterHint : 0
; COMPUTE_PGM_RSRC2:SCRATCH_EN: 0
; COMPUTE_PGM_RSRC2:USER_SGPR: 14
; COMPUTE_PGM_RSRC2:TRAP_HANDLER: 0
; COMPUTE_PGM_RSRC2:TGID_X_EN: 1
; COMPUTE_PGM_RSRC2:TGID_Y_EN: 0
; COMPUTE_PGM_RSRC2:TGID_Z_EN: 1
; COMPUTE_PGM_RSRC2:TIDIG_COMP_CNT: 0
	.section	.text._ZN9rocsolver6v33100L8copy_matIfPfNS0_7no_maskEEEvNS0_17copymat_directionEiiT0_iilPT_T1_13rocblas_fill_17rocblas_diagonal_,"axG",@progbits,_ZN9rocsolver6v33100L8copy_matIfPfNS0_7no_maskEEEvNS0_17copymat_directionEiiT0_iilPT_T1_13rocblas_fill_17rocblas_diagonal_,comdat
	.globl	_ZN9rocsolver6v33100L8copy_matIfPfNS0_7no_maskEEEvNS0_17copymat_directionEiiT0_iilPT_T1_13rocblas_fill_17rocblas_diagonal_ ; -- Begin function _ZN9rocsolver6v33100L8copy_matIfPfNS0_7no_maskEEEvNS0_17copymat_directionEiiT0_iilPT_T1_13rocblas_fill_17rocblas_diagonal_
	.p2align	8
	.type	_ZN9rocsolver6v33100L8copy_matIfPfNS0_7no_maskEEEvNS0_17copymat_directionEiiT0_iilPT_T1_13rocblas_fill_17rocblas_diagonal_,@function
_ZN9rocsolver6v33100L8copy_matIfPfNS0_7no_maskEEEvNS0_17copymat_directionEiiT0_iilPT_T1_13rocblas_fill_17rocblas_diagonal_: ; @_ZN9rocsolver6v33100L8copy_matIfPfNS0_7no_maskEEEvNS0_17copymat_directionEiiT0_iilPT_T1_13rocblas_fill_17rocblas_diagonal_
; %bb.0:
	s_clause 0x1
	s_load_b32 s2, s[0:1], 0x4c
	s_load_b128 s[8:11], s[0:1], 0x0
	v_and_b32_e32 v2, 0x3ff, v0
	v_bfe_u32 v3, v0, 10, 10
	s_waitcnt lgkmcnt(0)
	s_lshr_b32 s3, s2, 16
	s_and_b32 s2, s2, 0xffff
	s_delay_alu instid0(VALU_DEP_1) | instid1(SALU_CYCLE_1)
	v_mad_u64_u32 v[0:1], null, s13, s2, v[2:3]
	v_mad_u64_u32 v[1:2], null, s14, s3, v[3:4]
	s_delay_alu instid0(VALU_DEP_2) | instskip(NEXT) | instid1(VALU_DEP_2)
	v_cmp_gt_u32_e32 vcc_lo, s9, v0
	v_cmp_gt_u32_e64 s2, s10, v1
	s_delay_alu instid0(VALU_DEP_1) | instskip(NEXT) | instid1(SALU_CYCLE_1)
	s_and_b32 s2, s2, vcc_lo
	s_and_saveexec_b32 s3, s2
	s_cbranch_execz .LBB11_14
; %bb.1:
	s_load_b64 s[4:5], s[0:1], 0x34
	s_waitcnt lgkmcnt(0)
	s_cmpk_lt_i32 s4, 0x7a
	s_cbranch_scc1 .LBB11_4
; %bb.2:
	s_cmpk_gt_i32 s4, 0x7a
	s_cbranch_scc0 .LBB11_5
; %bb.3:
	s_cmpk_lg_i32 s4, 0x7b
	s_mov_b32 s3, -1
	s_cselect_b32 s6, -1, 0
	s_cbranch_execz .LBB11_6
	s_branch .LBB11_7
.LBB11_4:
	s_mov_b32 s6, 0
	s_mov_b32 s3, 0
	s_cbranch_execnz .LBB11_8
	s_branch .LBB11_10
.LBB11_5:
	s_mov_b32 s3, 0
	s_mov_b32 s6, 0
.LBB11_6:
	v_cmp_gt_u32_e32 vcc_lo, v0, v1
	v_cmp_le_u32_e64 s2, v0, v1
	s_and_not1_b32 s3, s3, exec_lo
	s_and_not1_b32 s6, s6, exec_lo
	s_and_b32 s7, vcc_lo, exec_lo
	s_delay_alu instid0(VALU_DEP_1)
	s_and_b32 s2, s2, exec_lo
	s_or_b32 s3, s3, s7
	s_or_b32 s6, s6, s2
.LBB11_7:
	s_branch .LBB11_10
.LBB11_8:
	s_cmpk_eq_i32 s4, 0x79
	s_mov_b32 s6, -1
	s_cbranch_scc0 .LBB11_10
; %bb.9:
	v_cmp_gt_u32_e32 vcc_lo, v1, v0
	v_cmp_le_u32_e64 s2, v1, v0
	s_and_not1_b32 s3, s3, exec_lo
	s_and_b32 s4, vcc_lo, exec_lo
	s_delay_alu instid0(VALU_DEP_1)
	s_or_not1_b32 s6, s2, exec_lo
	s_or_b32 s3, s3, s4
.LBB11_10:
	s_and_saveexec_b32 s2, s6
; %bb.11:
	v_cmp_eq_u32_e32 vcc_lo, v0, v1
	s_cmpk_eq_i32 s5, 0x83
	s_cselect_b32 s4, -1, 0
	s_and_not1_b32 s3, s3, exec_lo
	s_and_b32 s4, s4, vcc_lo
	s_delay_alu instid0(SALU_CYCLE_1) | instskip(NEXT) | instid1(SALU_CYCLE_1)
	s_and_b32 s4, s4, exec_lo
	s_or_b32 s3, s3, s4
; %bb.12:
	s_or_b32 exec_lo, exec_lo, s2
	s_delay_alu instid0(SALU_CYCLE_1)
	s_and_b32 exec_lo, exec_lo, s3
	s_cbranch_execz .LBB11_14
; %bb.13:
	s_load_b256 s[0:7], s[0:1], 0x10
	s_ashr_i32 s12, s10, 31
	s_mul_i32 s16, s9, s15
	s_ashr_i32 s11, s9, 31
	s_mul_i32 s17, s16, s12
	s_mul_hi_u32 s14, s9, s15
	s_mul_i32 s11, s11, s15
	s_waitcnt lgkmcnt(0)
	s_mul_i32 s5, s15, s5
	s_mul_hi_u32 s12, s15, s4
	s_mul_i32 s4, s15, s4
	s_add_i32 s5, s12, s5
	s_ashr_i32 s13, s2, 31
	s_lshl_b64 s[4:5], s[4:5], 2
	s_mov_b32 s12, s2
	s_add_u32 s2, s0, s4
	s_addc_u32 s4, s1, s5
	s_lshl_b64 s[0:1], s[12:13], 2
	s_mul_hi_u32 s5, s16, s10
	s_add_u32 s2, s2, s0
	s_addc_u32 s4, s4, s1
	s_add_i32 s0, s14, s11
	s_add_i32 s1, s5, s17
	s_mul_i32 s5, s0, s10
	s_mul_i32 s0, s16, s10
	s_add_i32 s1, s1, s5
	s_delay_alu instid0(SALU_CYCLE_1) | instskip(NEXT) | instid1(SALU_CYCLE_1)
	s_lshl_b64 s[0:1], s[0:1], 2
	s_add_u32 s0, s6, s0
	s_addc_u32 s1, s7, s1
	s_cmp_eq_u32 s8, 0
	s_cselect_b32 s5, s3, s9
	s_cselect_b32 s6, s2, s0
	v_mad_u64_u32 v[2:3], null, v1, s5, v[0:1]
	v_mov_b32_e32 v3, 0
	s_cselect_b32 s5, s4, s1
	s_cselect_b32 s3, s9, s3
	;; [unrolled: 1-line block ×4, first 2 shown]
	s_delay_alu instid0(VALU_DEP_2) | instskip(NEXT) | instid1(VALU_DEP_1)
	v_lshlrev_b64 v[4:5], 2, v[2:3]
	v_add_co_u32 v4, vcc_lo, s6, v4
	s_delay_alu instid0(VALU_DEP_2) | instskip(SKIP_3) | instid1(VALU_DEP_1)
	v_add_co_ci_u32_e32 v5, vcc_lo, s5, v5, vcc_lo
	global_load_b32 v2, v[4:5], off
	v_mad_u64_u32 v[4:5], null, v1, s3, v[0:1]
	v_mov_b32_e32 v5, v3
	v_lshlrev_b64 v[0:1], 2, v[4:5]
	s_delay_alu instid0(VALU_DEP_1) | instskip(NEXT) | instid1(VALU_DEP_2)
	v_add_co_u32 v0, vcc_lo, s0, v0
	v_add_co_ci_u32_e32 v1, vcc_lo, s1, v1, vcc_lo
	s_waitcnt vmcnt(0)
	global_store_b32 v[0:1], v2, off
.LBB11_14:
	s_nop 0
	s_sendmsg sendmsg(MSG_DEALLOC_VGPRS)
	s_endpgm
	.section	.rodata,"a",@progbits
	.p2align	6, 0x0
	.amdhsa_kernel _ZN9rocsolver6v33100L8copy_matIfPfNS0_7no_maskEEEvNS0_17copymat_directionEiiT0_iilPT_T1_13rocblas_fill_17rocblas_diagonal_
		.amdhsa_group_segment_fixed_size 0
		.amdhsa_private_segment_fixed_size 0
		.amdhsa_kernarg_size 320
		.amdhsa_user_sgpr_count 13
		.amdhsa_user_sgpr_dispatch_ptr 0
		.amdhsa_user_sgpr_queue_ptr 0
		.amdhsa_user_sgpr_kernarg_segment_ptr 1
		.amdhsa_user_sgpr_dispatch_id 0
		.amdhsa_user_sgpr_private_segment_size 0
		.amdhsa_wavefront_size32 1
		.amdhsa_uses_dynamic_stack 0
		.amdhsa_enable_private_segment 0
		.amdhsa_system_sgpr_workgroup_id_x 1
		.amdhsa_system_sgpr_workgroup_id_y 1
		.amdhsa_system_sgpr_workgroup_id_z 1
		.amdhsa_system_sgpr_workgroup_info 0
		.amdhsa_system_vgpr_workitem_id 1
		.amdhsa_next_free_vgpr 6
		.amdhsa_next_free_sgpr 18
		.amdhsa_reserve_vcc 1
		.amdhsa_float_round_mode_32 0
		.amdhsa_float_round_mode_16_64 0
		.amdhsa_float_denorm_mode_32 3
		.amdhsa_float_denorm_mode_16_64 3
		.amdhsa_dx10_clamp 1
		.amdhsa_ieee_mode 1
		.amdhsa_fp16_overflow 0
		.amdhsa_workgroup_processor_mode 1
		.amdhsa_memory_ordered 1
		.amdhsa_forward_progress 0
		.amdhsa_shared_vgpr_count 0
		.amdhsa_exception_fp_ieee_invalid_op 0
		.amdhsa_exception_fp_denorm_src 0
		.amdhsa_exception_fp_ieee_div_zero 0
		.amdhsa_exception_fp_ieee_overflow 0
		.amdhsa_exception_fp_ieee_underflow 0
		.amdhsa_exception_fp_ieee_inexact 0
		.amdhsa_exception_int_div_zero 0
	.end_amdhsa_kernel
	.section	.text._ZN9rocsolver6v33100L8copy_matIfPfNS0_7no_maskEEEvNS0_17copymat_directionEiiT0_iilPT_T1_13rocblas_fill_17rocblas_diagonal_,"axG",@progbits,_ZN9rocsolver6v33100L8copy_matIfPfNS0_7no_maskEEEvNS0_17copymat_directionEiiT0_iilPT_T1_13rocblas_fill_17rocblas_diagonal_,comdat
.Lfunc_end11:
	.size	_ZN9rocsolver6v33100L8copy_matIfPfNS0_7no_maskEEEvNS0_17copymat_directionEiiT0_iilPT_T1_13rocblas_fill_17rocblas_diagonal_, .Lfunc_end11-_ZN9rocsolver6v33100L8copy_matIfPfNS0_7no_maskEEEvNS0_17copymat_directionEiiT0_iilPT_T1_13rocblas_fill_17rocblas_diagonal_
                                        ; -- End function
	.section	.AMDGPU.csdata,"",@progbits
; Kernel info:
; codeLenInByte = 576
; NumSgprs: 20
; NumVgprs: 6
; ScratchSize: 0
; MemoryBound: 0
; FloatMode: 240
; IeeeMode: 1
; LDSByteSize: 0 bytes/workgroup (compile time only)
; SGPRBlocks: 2
; VGPRBlocks: 0
; NumSGPRsForWavesPerEU: 20
; NumVGPRsForWavesPerEU: 6
; Occupancy: 16
; WaveLimiterHint : 0
; COMPUTE_PGM_RSRC2:SCRATCH_EN: 0
; COMPUTE_PGM_RSRC2:USER_SGPR: 13
; COMPUTE_PGM_RSRC2:TRAP_HANDLER: 0
; COMPUTE_PGM_RSRC2:TGID_X_EN: 1
; COMPUTE_PGM_RSRC2:TGID_Y_EN: 1
; COMPUTE_PGM_RSRC2:TGID_Z_EN: 1
; COMPUTE_PGM_RSRC2:TIDIG_COMP_CNT: 1
	.section	.text._ZN9rocsolver6v33100L26latrd_lower_updateA_kernelIfPfEEviiT0_iilPT_iil,"axG",@progbits,_ZN9rocsolver6v33100L26latrd_lower_updateA_kernelIfPfEEviiT0_iilPT_iil,comdat
	.globl	_ZN9rocsolver6v33100L26latrd_lower_updateA_kernelIfPfEEviiT0_iilPT_iil ; -- Begin function _ZN9rocsolver6v33100L26latrd_lower_updateA_kernelIfPfEEviiT0_iilPT_iil
	.p2align	8
	.type	_ZN9rocsolver6v33100L26latrd_lower_updateA_kernelIfPfEEviiT0_iilPT_iil,@function
_ZN9rocsolver6v33100L26latrd_lower_updateA_kernelIfPfEEviiT0_iilPT_iil: ; @_ZN9rocsolver6v33100L26latrd_lower_updateA_kernelIfPfEEviiT0_iilPT_iil
; %bb.0:
	s_clause 0x2
	s_load_b32 s2, s[0:1], 0x44
	s_load_b64 s[22:23], s[0:1], 0x38
	s_load_b64 s[20:21], s[0:1], 0x0
	s_mov_b32 s25, 0
	s_waitcnt lgkmcnt(0)
	s_and_b32 s12, s2, 0xffff
	s_sub_i32 s20, s20, s21
	v_cvt_f32_u32_e32 v1, s12
	s_sub_i32 s4, 0, s12
	s_add_i32 s5, s20, -1
	s_delay_alu instid0(SALU_CYCLE_1) | instskip(NEXT) | instid1(VALU_DEP_1)
	s_abs_i32 s6, s5
	v_rcp_iflag_f32_e32 v1, v1
	s_ashr_i32 s5, s5, 31
	s_waitcnt_depctr 0xfff
	v_mul_f32_e32 v1, 0x4f7ffffe, v1
	s_delay_alu instid0(VALU_DEP_1) | instskip(NEXT) | instid1(VALU_DEP_1)
	v_cvt_u32_f32_e32 v1, v1
	v_readfirstlane_b32 s3, v1
	s_delay_alu instid0(VALU_DEP_1) | instskip(NEXT) | instid1(SALU_CYCLE_1)
	s_mul_i32 s4, s4, s3
	s_mul_hi_u32 s4, s3, s4
	s_delay_alu instid0(SALU_CYCLE_1) | instskip(NEXT) | instid1(SALU_CYCLE_1)
	s_add_i32 s3, s3, s4
	s_mul_hi_u32 s3, s6, s3
	s_delay_alu instid0(SALU_CYCLE_1) | instskip(NEXT) | instid1(SALU_CYCLE_1)
	s_mul_i32 s4, s3, s12
	s_sub_i32 s4, s6, s4
	s_add_i32 s6, s3, 1
	s_sub_i32 s7, s4, s12
	s_cmp_ge_u32 s4, s12
	s_cselect_b32 s3, s6, s3
	s_cselect_b32 s4, s7, s4
	s_add_i32 s6, s3, 1
	s_cmp_ge_u32 s4, s12
	s_cselect_b32 s3, s6, s3
	s_abs_i32 s4, s22
	s_xor_b32 s3, s3, s5
	v_cvt_f32_u32_e32 v1, s4
	s_sub_i32 s7, 0, s4
	s_sub_i32 s3, s3, s5
	s_delay_alu instid0(VALU_DEP_1) | instskip(SKIP_2) | instid1(VALU_DEP_1)
	v_rcp_iflag_f32_e32 v1, v1
	s_waitcnt_depctr 0xfff
	v_mul_f32_e32 v1, 0x4f7ffffe, v1
	v_cvt_u32_f32_e32 v1, v1
	s_delay_alu instid0(VALU_DEP_1) | instskip(NEXT) | instid1(VALU_DEP_1)
	v_readfirstlane_b32 s6, v1
	s_mul_i32 s7, s7, s6
	s_delay_alu instid0(SALU_CYCLE_1)
	s_mul_hi_u32 s5, s6, s7
	s_abs_i32 s7, s3
	s_add_i32 s6, s6, s5
	s_xor_b32 s3, s3, s22
	s_mul_hi_u32 s5, s7, s6
	s_ashr_i32 s3, s3, 31
	s_mul_i32 s6, s5, s4
	s_delay_alu instid0(SALU_CYCLE_1)
	s_sub_i32 s6, s7, s6
	s_add_i32 s7, s5, 1
	s_sub_i32 s8, s6, s4
	s_cmp_ge_u32 s6, s4
	s_cselect_b32 s5, s7, s5
	s_cselect_b32 s6, s8, s6
	s_add_i32 s7, s5, 1
	s_cmp_ge_u32 s6, s4
	s_cselect_b32 s4, s7, s5
	s_delay_alu instid0(SALU_CYCLE_1) | instskip(NEXT) | instid1(SALU_CYCLE_1)
	s_xor_b32 s4, s4, s3
	s_sub_i32 s24, s4, s3
	s_delay_alu instid0(SALU_CYCLE_1)
	s_cmp_lt_i32 s24, 0
	s_cbranch_scc1 .LBB12_20
; %bb.1:
	s_clause 0x1
	s_load_b256 s[4:11], s[0:1], 0x8
	s_load_b128 s[16:19], s[0:1], 0x28
	s_lshr_b32 s26, s2, 16
	s_ashr_i32 s27, s15, 31
	v_cvt_f32_u32_e32 v1, s26
	s_delay_alu instid0(VALU_DEP_1)
	v_rcp_iflag_f32_e32 v1, v1
	s_waitcnt_depctr 0xfff
	v_mul_f32_e32 v1, 0x4f7ffffe, v1
	s_waitcnt lgkmcnt(0)
	s_mul_i32 s2, s15, s9
	s_mul_hi_u32 s3, s15, s8
	s_ashr_i32 s1, s6, 31
	s_mov_b32 s0, s6
	s_mul_i32 s6, s27, s8
	s_add_i32 s3, s3, s2
	s_mul_i32 s2, s15, s8
	s_add_i32 s3, s3, s6
	s_mul_i32 s6, s15, s19
	s_lshl_b64 s[2:3], s[2:3], 2
	s_mul_hi_u32 s8, s15, s18
	s_add_u32 s2, s4, s2
	s_addc_u32 s3, s5, s3
	s_lshl_b64 s[0:1], s[0:1], 2
	s_mul_i32 s27, s27, s18
	s_add_u32 s9, s2, s0
	s_addc_u32 s19, s3, s1
	s_add_i32 s1, s8, s6
	s_mul_i32 s0, s15, s18
	s_add_i32 s1, s1, s27
	s_mov_b32 s2, s16
	s_lshl_b64 s[0:1], s[0:1], 2
	s_ashr_i32 s3, s16, 31
	s_add_u32 s4, s10, s0
	s_addc_u32 s5, s11, s1
	s_lshl_b64 s[0:1], s[2:3], 2
	v_cvt_u32_f32_e32 v1, v1
	s_add_u32 s10, s4, s0
	s_addc_u32 s11, s5, s1
	s_ashr_i32 s1, s21, 31
	s_ashr_i32 s0, s7, 31
	s_add_u32 s2, s7, 1
	s_addc_u32 s0, s0, 0
	s_mul_i32 s3, s2, s1
	s_mul_hi_u32 s4, s2, s21
	s_mul_i32 s0, s0, s21
	s_add_i32 s3, s4, s3
	s_mul_i32 s2, s2, s21
	s_add_i32 s3, s3, s0
	s_mov_b32 s0, s21
	s_lshl_b64 s[2:3], s[2:3], 2
	s_mul_i32 s18, s22, s12
	s_add_u32 s4, s9, s2
	s_addc_u32 s5, s19, s3
	s_lshl_b64 s[0:1], s[0:1], 2
	v_readfirstlane_b32 s2, v1
	s_add_u32 s6, s9, s0
	s_addc_u32 s8, s19, s1
	s_add_u32 s9, s10, s0
	s_addc_u32 s10, s11, s1
	s_sub_i32 s0, 0, s26
	s_add_i32 s1, s21, -1
	s_mul_i32 s0, s0, s2
	s_abs_i32 s3, s1
	s_mul_hi_u32 s0, s2, s0
	s_ashr_i32 s1, s1, 31
	s_add_i32 s2, s2, s0
	s_delay_alu instid0(SALU_CYCLE_1) | instskip(NEXT) | instid1(SALU_CYCLE_1)
	s_mul_hi_u32 s0, s3, s2
	s_mul_i32 s2, s0, s26
	s_delay_alu instid0(SALU_CYCLE_1)
	s_sub_i32 s2, s3, s2
	s_add_i32 s3, s0, 1
	s_sub_i32 s11, s2, s26
	s_cmp_ge_u32 s2, s26
	s_cselect_b32 s0, s3, s0
	s_cselect_b32 s2, s11, s2
	s_add_i32 s3, s0, 1
	s_cmp_ge_u32 s2, s26
	s_mul_i32 s11, s23, s26
	s_cselect_b32 s0, s3, s0
	s_abs_i32 s2, s23
	s_xor_b32 s0, s0, s1
	v_cvt_f32_u32_e32 v1, s2
	s_sub_i32 s0, s0, s1
	s_delay_alu instid0(VALU_DEP_1) | instskip(SKIP_2) | instid1(VALU_DEP_1)
	v_rcp_iflag_f32_e32 v1, v1
	s_waitcnt_depctr 0xfff
	v_mul_f32_e32 v1, 0x4f7ffffe, v1
	v_cvt_u32_f32_e32 v2, v1
	v_bfe_u32 v1, v0, 10, 10
	v_and_b32_e32 v0, 0x3ff, v0
	s_delay_alu instid0(VALU_DEP_3) | instskip(NEXT) | instid1(VALU_DEP_3)
	v_readfirstlane_b32 s3, v2
	v_mad_u64_u32 v[2:3], null, s14, s26, v[1:2]
	s_sub_i32 s14, 0, s2
	v_mul_u32_u24_e32 v5, s12, v1
	s_delay_alu instid0(VALU_DEP_3)
	s_mul_i32 s14, s14, s3
	v_lshl_add_u32 v10, v0, 2, 0
	s_mul_hi_u32 s1, s3, s14
	s_abs_i32 s14, s0
	s_add_i32 s3, s3, s1
	s_xor_b32 s0, s0, s23
	s_mul_hi_u32 s1, s14, s3
	s_ashr_i32 s15, s0, 31
	s_mul_i32 s3, s1, s2
	v_mad_u64_u32 v[3:4], null, s13, s12, v[0:1]
	s_sub_i32 s3, s14, s3
	s_add_i32 s14, s1, 1
	s_sub_i32 s16, s3, s2
	s_cmp_ge_u32 s3, s2
	v_mul_lo_u32 v12, s7, v2
	s_cselect_b32 s1, s14, s1
	s_cselect_b32 s3, s16, s3
	s_add_i32 s14, s1, 1
	s_cmp_ge_u32 s3, s2
	v_mul_lo_u32 v13, s17, v2
	s_cselect_b32 s1, s14, s1
	v_cmp_eq_u32_e64 s0, 0, v1
	s_xor_b32 s2, s1, s15
	v_lshl_add_u32 v11, v5, 2, v10
	s_sub_i32 s15, s2, s15
	v_cmp_eq_u32_e64 s1, 0, v2
	v_cmp_gt_u16_e64 s16, s26, 1
	s_cmp_gt_i32 s15, -1
	s_mul_i32 s7, s11, s7
	s_cselect_b32 s14, -1, 0
	s_add_i32 s15, s15, 1
	s_mul_i32 s17, s11, s17
	s_branch .LBB12_3
.LBB12_2:                               ;   in Loop: Header=BB12_3 Depth=1
	s_or_b32 exec_lo, exec_lo, s2
	v_add_nc_u32_e32 v3, s18, v3
	s_add_i32 s2, s25, 1
	s_cmp_eq_u32 s25, s24
	s_mov_b32 s25, s2
	s_cbranch_scc1 .LBB12_20
.LBB12_3:                               ; =>This Loop Header: Depth=1
                                        ;     Child Loop BB12_12 Depth 2
                                        ;     Child Loop BB12_9 Depth 2
	s_mul_i32 s2, s25, s22
	v_mov_b32_e32 v14, 0
	s_add_i32 s2, s2, s13
	s_delay_alu instid0(SALU_CYCLE_1) | instskip(NEXT) | instid1(VALU_DEP_1)
	v_mad_u64_u32 v[4:5], null, s2, s12, v[0:1]
	v_cmp_gt_i32_e64 s2, s20, v4
	v_ashrrev_i32_e32 v5, 31, v4
	s_delay_alu instid0(VALU_DEP_2) | instskip(NEXT) | instid1(SALU_CYCLE_1)
	s_and_b32 s19, s1, s2
	s_and_saveexec_b32 s3, s19
	s_cbranch_execz .LBB12_5
; %bb.4:                                ;   in Loop: Header=BB12_3 Depth=1
	s_delay_alu instid0(VALU_DEP_1) | instskip(NEXT) | instid1(VALU_DEP_1)
	v_lshlrev_b64 v[6:7], 2, v[4:5]
	v_add_co_u32 v6, vcc_lo, s4, v6
	s_delay_alu instid0(VALU_DEP_2)
	v_add_co_ci_u32_e32 v7, vcc_lo, s5, v7, vcc_lo
	global_load_b32 v14, v[6:7], off
.LBB12_5:                               ;   in Loop: Header=BB12_3 Depth=1
	s_or_b32 exec_lo, exec_lo, s3
	v_dual_mov_b32 v15, v2 :: v_dual_mov_b32 v6, v13
	v_mov_b32_e32 v8, v12
	s_and_not1_b32 vcc_lo, exec_lo, s14
	s_mov_b32 s19, s15
	s_cbranch_vccz .LBB12_12
.LBB12_6:                               ;   in Loop: Header=BB12_3 Depth=1
	s_and_not1_b32 vcc_lo, exec_lo, s16
	s_mov_b32 s3, s26
	s_waitcnt vmcnt(0)
	ds_store_b32 v11, v14
	s_waitcnt lgkmcnt(0)
	s_waitcnt_vscnt null, 0x0
	s_barrier
	buffer_gl0_inv
	s_cbranch_vccnz .LBB12_18
	.p2align	6
; %bb.7:                                ;   in Loop: Header=BB12_3 Depth=1
	s_lshr_b32 s19, s3, 1
	s_mov_b32 s23, exec_lo
	v_cmpx_gt_u32_e64 s19, v1
	s_cbranch_execz .LBB12_9
.LBB12_8:                               ;   in Loop: Header=BB12_3 Depth=1
	v_add_nc_u32_e32 v6, s19, v1
	s_delay_alu instid0(VALU_DEP_1) | instskip(NEXT) | instid1(VALU_DEP_1)
	v_mul_u32_u24_e32 v6, s12, v6
	v_lshl_add_u32 v6, v6, 2, v10
	ds_load_b32 v6, v6
	s_waitcnt lgkmcnt(0)
	v_add_f32_e32 v14, v14, v6
	ds_store_b32 v11, v14
.LBB12_9:                               ;   Parent Loop BB12_3 Depth=1
                                        ; =>  This Inner Loop Header: Depth=2
	s_or_b32 exec_lo, exec_lo, s23
	s_cmp_lt_u32 s3, 4
	s_waitcnt lgkmcnt(0)
	s_barrier
	buffer_gl0_inv
	s_cbranch_scc1 .LBB12_18
; %bb.10:                               ;   in Loop: Header=BB12_9 Depth=2
	s_mov_b32 s3, s19
	s_delay_alu instid0(SALU_CYCLE_1)
	s_lshr_b32 s19, s3, 1
	s_mov_b32 s23, exec_lo
	v_cmpx_gt_u32_e64 s19, v1
	s_cbranch_execnz .LBB12_8
	s_branch .LBB12_9
.LBB12_11:                              ;   in Loop: Header=BB12_12 Depth=2
	s_or_b32 exec_lo, exec_lo, s3
	v_add_nc_u32_e32 v8, s7, v8
	v_add_nc_u32_e32 v6, s17, v6
	v_add_nc_u32_e32 v15, s11, v15
	s_add_i32 s19, s19, -1
	s_delay_alu instid0(SALU_CYCLE_1)
	s_cmp_eq_u32 s19, 0
	s_cbranch_scc1 .LBB12_6
.LBB12_12:                              ;   Parent Loop BB12_3 Depth=1
                                        ; =>  This Inner Loop Header: Depth=2
	s_delay_alu instid0(VALU_DEP_1)
	v_cmp_gt_i32_e32 vcc_lo, s21, v15
	s_waitcnt vmcnt(0)
	v_mov_b32_e32 v9, 0
	v_mov_b32_e32 v7, 0
	s_and_saveexec_b32 s23, vcc_lo
	s_cbranch_execnz .LBB12_15
; %bb.13:                               ;   in Loop: Header=BB12_12 Depth=2
	s_or_b32 exec_lo, exec_lo, s23
	s_and_saveexec_b32 s23, vcc_lo
	s_cbranch_execnz .LBB12_16
.LBB12_14:                              ;   in Loop: Header=BB12_12 Depth=2
	s_or_b32 exec_lo, exec_lo, s23
	s_and_b32 s23, s2, vcc_lo
	s_delay_alu instid0(SALU_CYCLE_1)
	s_and_saveexec_b32 s3, s23
	s_cbranch_execz .LBB12_11
	s_branch .LBB12_17
.LBB12_15:                              ;   in Loop: Header=BB12_12 Depth=2
	v_ashrrev_i32_e32 v7, 31, v6
	s_delay_alu instid0(VALU_DEP_1) | instskip(NEXT) | instid1(VALU_DEP_1)
	v_lshlrev_b64 v[16:17], 2, v[6:7]
	v_add_co_u32 v16, s3, s9, v16
	s_delay_alu instid0(VALU_DEP_1)
	v_add_co_ci_u32_e64 v17, s3, s10, v17, s3
	global_load_b32 v7, v[16:17], off
	s_or_b32 exec_lo, exec_lo, s23
	s_and_saveexec_b32 s23, vcc_lo
	s_cbranch_execz .LBB12_14
.LBB12_16:                              ;   in Loop: Header=BB12_12 Depth=2
	v_ashrrev_i32_e32 v9, 31, v8
	s_delay_alu instid0(VALU_DEP_1) | instskip(NEXT) | instid1(VALU_DEP_1)
	v_lshlrev_b64 v[16:17], 2, v[8:9]
	v_add_co_u32 v16, s3, s6, v16
	s_delay_alu instid0(VALU_DEP_1) | instskip(SKIP_3) | instid1(SALU_CYCLE_1)
	v_add_co_ci_u32_e64 v17, s3, s8, v17, s3
	global_load_b32 v9, v[16:17], off
	s_or_b32 exec_lo, exec_lo, s23
	s_and_b32 s23, s2, vcc_lo
	s_and_saveexec_b32 s3, s23
	s_cbranch_execz .LBB12_11
.LBB12_17:                              ;   in Loop: Header=BB12_12 Depth=2
	v_add_nc_u32_e32 v16, v3, v6
	v_add_nc_u32_e32 v18, v3, v8
	s_delay_alu instid0(VALU_DEP_2) | instskip(NEXT) | instid1(VALU_DEP_2)
	v_ashrrev_i32_e32 v17, 31, v16
	v_ashrrev_i32_e32 v19, 31, v18
	s_delay_alu instid0(VALU_DEP_2) | instskip(NEXT) | instid1(VALU_DEP_2)
	v_lshlrev_b64 v[16:17], 2, v[16:17]
	v_lshlrev_b64 v[18:19], 2, v[18:19]
	s_delay_alu instid0(VALU_DEP_2) | instskip(NEXT) | instid1(VALU_DEP_3)
	v_add_co_u32 v16, vcc_lo, s9, v16
	v_add_co_ci_u32_e32 v17, vcc_lo, s10, v17, vcc_lo
	s_delay_alu instid0(VALU_DEP_3) | instskip(NEXT) | instid1(VALU_DEP_4)
	v_add_co_u32 v18, vcc_lo, s6, v18
	v_add_co_ci_u32_e32 v19, vcc_lo, s8, v19, vcc_lo
	global_load_b32 v16, v[16:17], off
	global_load_b32 v17, v[18:19], off
	s_waitcnt vmcnt(1)
	v_mul_f32_e32 v9, v9, v16
	s_waitcnt vmcnt(0)
	s_delay_alu instid0(VALU_DEP_1) | instskip(NEXT) | instid1(VALU_DEP_1)
	v_fmac_f32_e32 v9, v7, v17
	v_sub_f32_e32 v14, v14, v9
	s_branch .LBB12_11
.LBB12_18:                              ;   in Loop: Header=BB12_3 Depth=1
	s_and_b32 s3, s0, s2
	s_delay_alu instid0(SALU_CYCLE_1)
	s_and_saveexec_b32 s2, s3
	s_cbranch_execz .LBB12_2
; %bb.19:                               ;   in Loop: Header=BB12_3 Depth=1
	v_lshlrev_b64 v[4:5], 2, v[4:5]
	s_delay_alu instid0(VALU_DEP_1) | instskip(NEXT) | instid1(VALU_DEP_2)
	v_add_co_u32 v4, vcc_lo, s4, v4
	v_add_co_ci_u32_e32 v5, vcc_lo, s5, v5, vcc_lo
	global_store_b32 v[4:5], v14, off
	s_branch .LBB12_2
.LBB12_20:
	s_nop 0
	s_sendmsg sendmsg(MSG_DEALLOC_VGPRS)
	s_endpgm
	.section	.rodata,"a",@progbits
	.p2align	6, 0x0
	.amdhsa_kernel _ZN9rocsolver6v33100L26latrd_lower_updateA_kernelIfPfEEviiT0_iilPT_iil
		.amdhsa_group_segment_fixed_size 0
		.amdhsa_private_segment_fixed_size 0
		.amdhsa_kernarg_size 312
		.amdhsa_user_sgpr_count 13
		.amdhsa_user_sgpr_dispatch_ptr 0
		.amdhsa_user_sgpr_queue_ptr 0
		.amdhsa_user_sgpr_kernarg_segment_ptr 1
		.amdhsa_user_sgpr_dispatch_id 0
		.amdhsa_user_sgpr_private_segment_size 0
		.amdhsa_wavefront_size32 1
		.amdhsa_uses_dynamic_stack 0
		.amdhsa_enable_private_segment 0
		.amdhsa_system_sgpr_workgroup_id_x 1
		.amdhsa_system_sgpr_workgroup_id_y 1
		.amdhsa_system_sgpr_workgroup_id_z 1
		.amdhsa_system_sgpr_workgroup_info 0
		.amdhsa_system_vgpr_workitem_id 1
		.amdhsa_next_free_vgpr 20
		.amdhsa_next_free_sgpr 28
		.amdhsa_reserve_vcc 1
		.amdhsa_float_round_mode_32 0
		.amdhsa_float_round_mode_16_64 0
		.amdhsa_float_denorm_mode_32 3
		.amdhsa_float_denorm_mode_16_64 3
		.amdhsa_dx10_clamp 1
		.amdhsa_ieee_mode 1
		.amdhsa_fp16_overflow 0
		.amdhsa_workgroup_processor_mode 1
		.amdhsa_memory_ordered 1
		.amdhsa_forward_progress 0
		.amdhsa_shared_vgpr_count 0
		.amdhsa_exception_fp_ieee_invalid_op 0
		.amdhsa_exception_fp_denorm_src 0
		.amdhsa_exception_fp_ieee_div_zero 0
		.amdhsa_exception_fp_ieee_overflow 0
		.amdhsa_exception_fp_ieee_underflow 0
		.amdhsa_exception_fp_ieee_inexact 0
		.amdhsa_exception_int_div_zero 0
	.end_amdhsa_kernel
	.section	.text._ZN9rocsolver6v33100L26latrd_lower_updateA_kernelIfPfEEviiT0_iilPT_iil,"axG",@progbits,_ZN9rocsolver6v33100L26latrd_lower_updateA_kernelIfPfEEviiT0_iilPT_iil,comdat
.Lfunc_end12:
	.size	_ZN9rocsolver6v33100L26latrd_lower_updateA_kernelIfPfEEviiT0_iilPT_iil, .Lfunc_end12-_ZN9rocsolver6v33100L26latrd_lower_updateA_kernelIfPfEEviiT0_iilPT_iil
                                        ; -- End function
	.section	.AMDGPU.csdata,"",@progbits
; Kernel info:
; codeLenInByte = 1608
; NumSgprs: 30
; NumVgprs: 20
; ScratchSize: 0
; MemoryBound: 0
; FloatMode: 240
; IeeeMode: 1
; LDSByteSize: 0 bytes/workgroup (compile time only)
; SGPRBlocks: 3
; VGPRBlocks: 2
; NumSGPRsForWavesPerEU: 30
; NumVGPRsForWavesPerEU: 20
; Occupancy: 16
; WaveLimiterHint : 0
; COMPUTE_PGM_RSRC2:SCRATCH_EN: 0
; COMPUTE_PGM_RSRC2:USER_SGPR: 13
; COMPUTE_PGM_RSRC2:TRAP_HANDLER: 0
; COMPUTE_PGM_RSRC2:TGID_X_EN: 1
; COMPUTE_PGM_RSRC2:TGID_Y_EN: 1
; COMPUTE_PGM_RSRC2:TGID_Z_EN: 1
; COMPUTE_PGM_RSRC2:TIDIG_COMP_CNT: 1
	.section	.text._ZN9rocsolver6v33100L33latrd_lower_computeW_gemvt_kernelILi256EfPfEEviiT1_iilPT0_iilS5_iilS5_l,"axG",@progbits,_ZN9rocsolver6v33100L33latrd_lower_computeW_gemvt_kernelILi256EfPfEEviiT1_iilPT0_iilS5_iilS5_l,comdat
	.globl	_ZN9rocsolver6v33100L33latrd_lower_computeW_gemvt_kernelILi256EfPfEEviiT1_iilPT0_iilS5_iilS5_l ; -- Begin function _ZN9rocsolver6v33100L33latrd_lower_computeW_gemvt_kernelILi256EfPfEEviiT1_iilPT0_iilS5_iilS5_l
	.p2align	8
	.type	_ZN9rocsolver6v33100L33latrd_lower_computeW_gemvt_kernelILi256EfPfEEviiT1_iilPT0_iilS5_iilS5_l,@function
_ZN9rocsolver6v33100L33latrd_lower_computeW_gemvt_kernelILi256EfPfEEviiT1_iilPT0_iilS5_iilS5_l: ; @_ZN9rocsolver6v33100L33latrd_lower_computeW_gemvt_kernelILi256EfPfEEviiT1_iilPT0_iilS5_iilS5_l
; %bb.0:
	s_clause 0x1
	s_load_b64 s[24:25], s[0:1], 0x0
	s_load_b128 s[16:19], s[0:1], 0x30
	s_ashr_i32 s27, s15, 31
	s_waitcnt lgkmcnt(0)
	s_cmp_lt_i32 s14, s25
	s_cselect_b32 s26, -1, 0
	s_delay_alu instid0(SALU_CYCLE_1) | instskip(SKIP_1) | instid1(SALU_CYCLE_1)
	s_and_b32 s2, s26, exec_lo
	s_cselect_b32 s2, 0, s25
	s_sub_i32 s2, s14, s2
	s_delay_alu instid0(SALU_CYCLE_1)
	s_ashr_i32 s3, s2, 31
	s_cmp_eq_u32 s2, s25
	s_cbranch_scc1 .LBB13_12
; %bb.1:
	s_clause 0x1
	s_load_b256 s[4:11], s[0:1], 0x8
	s_load_b64 s[28:29], s[0:1], 0x28
	s_mul_i32 s30, s15, s17
	s_mul_hi_u32 s31, s15, s16
	v_mov_b32_e32 v5, 0
	s_waitcnt lgkmcnt(0)
	s_mul_i32 s9, s15, s9
	s_mul_hi_u32 s12, s15, s8
	s_mul_i32 s13, s27, s8
	s_add_i32 s9, s12, s9
	s_mul_i32 s8, s15, s8
	s_add_i32 s9, s9, s13
	s_ashr_i32 s13, s6, 31
	s_lshl_b64 s[20:21], s[8:9], 2
	s_mov_b32 s12, s6
	s_add_u32 s6, s4, s20
	s_addc_u32 s8, s5, s21
	s_lshl_b64 s[22:23], s[12:13], 2
	s_mul_i32 s9, s27, s16
	s_add_u32 s14, s6, s22
	s_addc_u32 s17, s8, s23
	s_add_i32 s6, s31, s30
	s_mul_i32 s8, s15, s16
	s_add_i32 s9, s6, s9
	s_mov_b32 s12, s28
	s_lshl_b64 s[8:9], s[8:9], 2
	s_ashr_i32 s13, s28, 31
	s_add_u32 s6, s10, s8
	s_addc_u32 s11, s11, s9
	s_lshl_b64 s[8:9], s[12:13], 2
	s_mov_b32 s10, s25
	s_add_u32 s6, s6, s8
	s_addc_u32 s8, s11, s9
	s_not_b32 s16, s25
	s_ashr_i32 s13, s7, 31
	s_add_i32 s16, s16, s24
	s_ashr_i32 s11, s25, 31
	s_and_b32 s9, s26, exec_lo
	v_cmp_gt_i32_e32 vcc_lo, s16, v0
	s_cselect_b32 s12, s8, s17
	s_cselect_b32 s6, s6, s14
	s_lshl_b64 s[8:9], s[10:11], 2
	s_delay_alu instid0(SALU_CYCLE_1) | instskip(SKIP_4) | instid1(SALU_CYCLE_1)
	s_add_u32 s6, s6, s8
	s_addc_u32 s12, s12, s9
	s_and_b32 s24, s26, exec_lo
	v_cndmask_b32_e32 v1, 0, v0, vcc_lo
	s_cselect_b32 s24, s29, s7
	s_mul_hi_i32 s25, s24, s2
	s_mul_i32 s24, s24, s2
	s_delay_alu instid0(VALU_DEP_1) | instskip(SKIP_1) | instid1(SALU_CYCLE_1)
	v_lshlrev_b32_e32 v1, 2, v1
	s_lshl_b64 s[24:25], s[24:25], 2
	s_add_u32 s6, s24, s6
	s_addc_u32 s12, s25, s12
	s_ashr_i32 s24, s16, 31
	v_add_co_u32 v6, s6, s6, v1
	s_lshr_b32 s24, s24, 24
	v_add_co_ci_u32_e64 v7, null, s12, 0, s6
	s_add_i32 s24, s16, s24
	s_mov_b32 s12, s7
	s_and_b32 s6, s24, 0xffffff00
	s_cmpk_lt_i32 s16, 0x100
	s_cbranch_scc1 .LBB13_4
; %bb.2:
	s_lshl_b64 s[24:25], s[12:13], 2
	v_lshlrev_b32_e32 v3, 2, v0
	s_add_u32 s7, s24, 4
	s_addc_u32 s24, s25, 0
	s_mul_i32 s11, s7, s11
	s_mul_hi_u32 s13, s7, s10
	s_mul_i32 s24, s24, s10
	s_add_i32 s11, s13, s11
	s_mul_i32 s7, s7, s10
	s_add_i32 s11, s11, s24
	s_add_u32 s7, s20, s7
	s_addc_u32 s11, s21, s11
	s_add_u32 s7, s7, s22
	s_addc_u32 s11, s11, s23
	;; [unrolled: 2-line block ×3, first 2 shown]
	v_add_co_u32 v3, s4, s4, v3
	v_add_co_u32 v1, vcc_lo, v6, 4
	v_add_co_ci_u32_e64 v4, null, s5, 0, s4
	v_add_co_ci_u32_e32 v2, vcc_lo, 0, v7, vcc_lo
	s_delay_alu instid0(VALU_DEP_4) | instskip(SKIP_1) | instid1(VALU_DEP_4)
	v_add_co_u32 v3, vcc_lo, v3, 4
	v_mov_b32_e32 v5, 0
	v_add_co_ci_u32_e32 v4, vcc_lo, 0, v4, vcc_lo
	s_mov_b32 s4, 0
.LBB13_3:                               ; =>This Inner Loop Header: Depth=1
	global_load_b32 v8, v[1:2], off
	global_load_b32 v9, v[3:4], off
	v_add_co_u32 v3, vcc_lo, 0x400, v3
	v_add_co_ci_u32_e32 v4, vcc_lo, 0, v4, vcc_lo
	v_add_co_u32 v1, vcc_lo, 0x400, v1
	v_add_co_ci_u32_e32 v2, vcc_lo, 0, v2, vcc_lo
	s_addk_i32 s4, 0x100
	s_delay_alu instid0(SALU_CYCLE_1)
	s_cmp_ge_i32 s4, s6
	s_waitcnt vmcnt(0)
	v_fmac_f32_e32 v5, v8, v9
	s_cbranch_scc0 .LBB13_3
.LBB13_4:
	v_add_nc_u32_e32 v1, s6, v0
	s_mov_b32 s4, exec_lo
	s_delay_alu instid0(VALU_DEP_1)
	v_cmpx_gt_i32_e64 s16, v1
	s_cbranch_execz .LBB13_6
; %bb.5:
	s_mul_hi_i32 s11, s12, s10
	s_mul_i32 s10, s12, s10
	v_ashrrev_i32_e32 v2, 31, v1
	s_lshl_b64 s[10:11], s[10:11], 2
	s_delay_alu instid0(SALU_CYCLE_1)
	s_add_u32 s5, s14, s10
	s_addc_u32 s7, s17, s11
	s_add_u32 s5, s5, s8
	s_addc_u32 s8, s7, s9
	s_ashr_i32 s7, s6, 31
	v_lshlrev_b64 v[1:2], 2, v[1:2]
	s_lshl_b64 s[6:7], s[6:7], 2
	s_delay_alu instid0(SALU_CYCLE_1) | instskip(SKIP_1) | instid1(VALU_DEP_3)
	v_add_co_u32 v3, vcc_lo, v6, s6
	v_add_co_ci_u32_e32 v4, vcc_lo, s7, v7, vcc_lo
	v_add_co_u32 v1, vcc_lo, s5, v1
	s_delay_alu instid0(VALU_DEP_4)
	v_add_co_ci_u32_e32 v2, vcc_lo, s8, v2, vcc_lo
	global_load_b32 v3, v[3:4], off offset:4
	global_load_b32 v1, v[1:2], off offset:4
	s_waitcnt vmcnt(0)
	v_fmac_f32_e32 v5, v3, v1
.LBB13_6:
	s_or_b32 exec_lo, exec_lo, s4
	v_mbcnt_lo_u32_b32 v1, -1, 0
	s_mov_b32 s4, 0
	s_mov_b32 s5, exec_lo
	s_delay_alu instid0(VALU_DEP_1) | instskip(SKIP_2) | instid1(VALU_DEP_2)
	v_cmp_ne_u32_e32 vcc_lo, 31, v1
	v_add_co_ci_u32_e32 v2, vcc_lo, 0, v1, vcc_lo
	v_cmp_gt_u32_e32 vcc_lo, 30, v1
	v_lshlrev_b32_e32 v2, 2, v2
	v_cndmask_b32_e64 v3, 0, 1, vcc_lo
	v_cmp_gt_u32_e32 vcc_lo, 28, v1
	ds_bpermute_b32 v2, v2, v5
	v_lshlrev_b32_e32 v3, 1, v3
	v_cndmask_b32_e64 v4, 0, 1, vcc_lo
	v_cmp_gt_u32_e32 vcc_lo, 24, v1
	s_delay_alu instid0(VALU_DEP_2) | instskip(NEXT) | instid1(VALU_DEP_1)
	v_lshlrev_b32_e32 v4, 2, v4
	v_add_lshl_u32 v4, v4, v1, 2
	s_waitcnt lgkmcnt(0)
	v_add_f32_e32 v2, v5, v2
	v_add_lshl_u32 v3, v3, v1, 2
	ds_bpermute_b32 v3, v3, v2
	s_waitcnt lgkmcnt(0)
	v_add_f32_e32 v2, v2, v3
	ds_bpermute_b32 v3, v4, v2
	v_cndmask_b32_e64 v4, 0, 1, vcc_lo
	v_cmp_gt_u32_e32 vcc_lo, 16, v1
	s_delay_alu instid0(VALU_DEP_2) | instskip(NEXT) | instid1(VALU_DEP_1)
	v_lshlrev_b32_e32 v4, 3, v4
	v_add_lshl_u32 v4, v4, v1, 2
	s_waitcnt lgkmcnt(0)
	v_add_f32_e32 v2, v2, v3
	ds_bpermute_b32 v3, v4, v2
	v_cndmask_b32_e64 v4, 0, 1, vcc_lo
	s_delay_alu instid0(VALU_DEP_1) | instskip(NEXT) | instid1(VALU_DEP_1)
	v_lshlrev_b32_e32 v4, 4, v4
	v_add_lshl_u32 v1, v4, v1, 2
	s_waitcnt lgkmcnt(0)
	v_dual_add_f32 v2, v2, v3 :: v_dual_and_b32 v3, 31, v0
	ds_bpermute_b32 v1, v1, v2
	s_waitcnt lgkmcnt(0)
	v_add_f32_e32 v2, v2, v1
	v_cmpx_eq_u32_e32 0, v3
	s_cbranch_execz .LBB13_8
; %bb.7:
	v_lshrrev_b32_e32 v1, 3, v0
	ds_store_b32 v1, v2
.LBB13_8:
	s_or_b32 exec_lo, exec_lo, s5
	v_mov_b32_e32 v1, 0
	s_mov_b32 s5, exec_lo
	s_waitcnt lgkmcnt(0)
	s_barrier
	buffer_gl0_inv
	v_cmpx_eq_u32_e32 0, v0
	s_cbranch_execz .LBB13_10
; %bb.9:
	v_mov_b32_e32 v1, 0
	s_mov_b32 s4, exec_lo
	ds_load_2addr_b32 v[3:4], v1 offset0:1 offset1:2
	ds_load_2addr_b32 v[5:6], v1 offset0:3 offset1:4
	ds_load_2addr_b32 v[7:8], v1 offset0:5 offset1:6
	ds_load_b32 v1, v1 offset:28
	s_waitcnt lgkmcnt(3)
	v_add_f32_e32 v2, v2, v3
	s_delay_alu instid0(VALU_DEP_1) | instskip(SKIP_1) | instid1(VALU_DEP_1)
	v_add_f32_e32 v2, v2, v4
	s_waitcnt lgkmcnt(2)
	v_add_f32_e32 v2, v2, v5
	s_delay_alu instid0(VALU_DEP_1) | instskip(SKIP_1) | instid1(VALU_DEP_1)
	v_add_f32_e32 v2, v2, v6
	;; [unrolled: 4-line block ×3, first 2 shown]
	s_waitcnt lgkmcnt(0)
	v_add_f32_e32 v1, v2, v1
.LBB13_10:
	s_or_b32 exec_lo, exec_lo, s5
	s_and_saveexec_b32 s5, s4
	s_cbranch_execnz .LBB13_13
.LBB13_11:
	s_endpgm
.LBB13_12:
	v_mov_b32_e32 v1, 0
	s_mov_b32 s4, -1
	s_delay_alu instid0(SALU_CYCLE_1)
	s_and_saveexec_b32 s5, s4
	s_cbranch_execz .LBB13_11
.LBB13_13:
	v_cmp_eq_u32_e32 vcc_lo, 0, v0
	s_and_b32 exec_lo, exec_lo, vcc_lo
	s_cbranch_execz .LBB13_11
; %bb.14:
	s_clause 0x2
	s_load_b32 s8, s[0:1], 0x40
	s_load_b64 s[10:11], s[0:1], 0x58
	s_load_b128 s[4:7], s[0:1], 0x48
	v_mov_b32_e32 v0, 0
	s_waitcnt lgkmcnt(0)
	s_ashr_i32 s9, s8, 31
	s_mul_i32 s1, s15, s11
	s_mul_hi_u32 s11, s15, s10
	s_mul_i32 s12, s27, s10
	s_add_i32 s1, s11, s1
	s_mul_i32 s0, s15, s10
	s_add_i32 s1, s1, s12
	s_mul_i32 s5, s15, s5
	s_lshl_b64 s[0:1], s[0:1], 2
	s_mul_hi_u32 s10, s15, s4
	s_add_u32 s6, s6, s0
	s_mul_i32 s11, s27, s4
	s_addc_u32 s7, s7, s1
	s_add_i32 s1, s10, s5
	s_mul_i32 s0, s15, s4
	s_add_i32 s1, s1, s11
	s_delay_alu instid0(SALU_CYCLE_1) | instskip(NEXT) | instid1(SALU_CYCLE_1)
	s_lshl_b64 s[0:1], s[0:1], 2
	s_add_u32 s4, s18, s0
	s_addc_u32 s5, s19, s1
	s_lshl_b64 s[0:1], s[8:9], 2
	s_delay_alu instid0(SALU_CYCLE_1)
	s_add_u32 s0, s4, s0
	s_addc_u32 s1, s5, s1
	s_and_b32 s4, s26, exec_lo
	s_cselect_b32 s4, s7, s1
	s_cselect_b32 s5, s6, s0
	s_lshl_b64 s[0:1], s[2:3], 2
	s_delay_alu instid0(SALU_CYCLE_1)
	s_add_u32 s0, s5, s0
	s_addc_u32 s1, s4, s1
	global_store_b32 v0, v1, s[0:1]
	s_nop 0
	s_sendmsg sendmsg(MSG_DEALLOC_VGPRS)
	s_endpgm
	.section	.rodata,"a",@progbits
	.p2align	6, 0x0
	.amdhsa_kernel _ZN9rocsolver6v33100L33latrd_lower_computeW_gemvt_kernelILi256EfPfEEviiT1_iilPT0_iilS5_iilS5_l
		.amdhsa_group_segment_fixed_size 1024
		.amdhsa_private_segment_fixed_size 0
		.amdhsa_kernarg_size 96
		.amdhsa_user_sgpr_count 14
		.amdhsa_user_sgpr_dispatch_ptr 0
		.amdhsa_user_sgpr_queue_ptr 0
		.amdhsa_user_sgpr_kernarg_segment_ptr 1
		.amdhsa_user_sgpr_dispatch_id 0
		.amdhsa_user_sgpr_private_segment_size 0
		.amdhsa_wavefront_size32 1
		.amdhsa_uses_dynamic_stack 0
		.amdhsa_enable_private_segment 0
		.amdhsa_system_sgpr_workgroup_id_x 1
		.amdhsa_system_sgpr_workgroup_id_y 0
		.amdhsa_system_sgpr_workgroup_id_z 1
		.amdhsa_system_sgpr_workgroup_info 0
		.amdhsa_system_vgpr_workitem_id 0
		.amdhsa_next_free_vgpr 10
		.amdhsa_next_free_sgpr 32
		.amdhsa_reserve_vcc 1
		.amdhsa_float_round_mode_32 0
		.amdhsa_float_round_mode_16_64 0
		.amdhsa_float_denorm_mode_32 3
		.amdhsa_float_denorm_mode_16_64 3
		.amdhsa_dx10_clamp 1
		.amdhsa_ieee_mode 1
		.amdhsa_fp16_overflow 0
		.amdhsa_workgroup_processor_mode 1
		.amdhsa_memory_ordered 1
		.amdhsa_forward_progress 0
		.amdhsa_shared_vgpr_count 0
		.amdhsa_exception_fp_ieee_invalid_op 0
		.amdhsa_exception_fp_denorm_src 0
		.amdhsa_exception_fp_ieee_div_zero 0
		.amdhsa_exception_fp_ieee_overflow 0
		.amdhsa_exception_fp_ieee_underflow 0
		.amdhsa_exception_fp_ieee_inexact 0
		.amdhsa_exception_int_div_zero 0
	.end_amdhsa_kernel
	.section	.text._ZN9rocsolver6v33100L33latrd_lower_computeW_gemvt_kernelILi256EfPfEEviiT1_iilPT0_iilS5_iilS5_l,"axG",@progbits,_ZN9rocsolver6v33100L33latrd_lower_computeW_gemvt_kernelILi256EfPfEEviiT1_iilPT0_iilS5_iilS5_l,comdat
.Lfunc_end13:
	.size	_ZN9rocsolver6v33100L33latrd_lower_computeW_gemvt_kernelILi256EfPfEEviiT1_iilPT0_iilS5_iilS5_l, .Lfunc_end13-_ZN9rocsolver6v33100L33latrd_lower_computeW_gemvt_kernelILi256EfPfEEviiT1_iilPT0_iilS5_iilS5_l
                                        ; -- End function
	.section	.AMDGPU.csdata,"",@progbits
; Kernel info:
; codeLenInByte = 1276
; NumSgprs: 34
; NumVgprs: 10
; ScratchSize: 0
; MemoryBound: 0
; FloatMode: 240
; IeeeMode: 1
; LDSByteSize: 1024 bytes/workgroup (compile time only)
; SGPRBlocks: 4
; VGPRBlocks: 1
; NumSGPRsForWavesPerEU: 34
; NumVGPRsForWavesPerEU: 10
; Occupancy: 16
; WaveLimiterHint : 0
; COMPUTE_PGM_RSRC2:SCRATCH_EN: 0
; COMPUTE_PGM_RSRC2:USER_SGPR: 14
; COMPUTE_PGM_RSRC2:TRAP_HANDLER: 0
; COMPUTE_PGM_RSRC2:TGID_X_EN: 1
; COMPUTE_PGM_RSRC2:TGID_Y_EN: 0
; COMPUTE_PGM_RSRC2:TGID_Z_EN: 1
; COMPUTE_PGM_RSRC2:TIDIG_COMP_CNT: 0
	.section	.text._ZN9rocsolver6v33100L26latrd_lower_updateW_kernelIfPfEEviiT0_iilPT_iilS5_lS5_l,"axG",@progbits,_ZN9rocsolver6v33100L26latrd_lower_updateW_kernelIfPfEEviiT0_iilPT_iilS5_lS5_l,comdat
	.globl	_ZN9rocsolver6v33100L26latrd_lower_updateW_kernelIfPfEEviiT0_iilPT_iilS5_lS5_l ; -- Begin function _ZN9rocsolver6v33100L26latrd_lower_updateW_kernelIfPfEEviiT0_iilPT_iilS5_lS5_l
	.p2align	8
	.type	_ZN9rocsolver6v33100L26latrd_lower_updateW_kernelIfPfEEviiT0_iilPT_iilS5_lS5_l,@function
_ZN9rocsolver6v33100L26latrd_lower_updateW_kernelIfPfEEviiT0_iilPT_iilS5_lS5_l: ; @_ZN9rocsolver6v33100L26latrd_lower_updateW_kernelIfPfEEviiT0_iilPT_iilS5_lS5_l
; %bb.0:
	s_clause 0x2
	s_load_b32 s30, s[0:1], 0x64
	s_load_b64 s[26:27], s[0:1], 0x58
	s_load_b64 s[24:25], s[0:1], 0x0
	s_mov_b32 s29, 0
	s_waitcnt lgkmcnt(0)
	s_and_b32 s12, s30, 0xffff
	s_not_b32 s3, s25
	v_cvt_f32_u32_e32 v1, s12
	s_sub_i32 s4, 0, s12
	s_add_i32 s24, s3, s24
	s_delay_alu instid0(SALU_CYCLE_1) | instskip(NEXT) | instid1(VALU_DEP_1)
	s_add_i32 s3, s24, -1
	v_rcp_iflag_f32_e32 v1, v1
	s_abs_i32 s5, s3
	s_ashr_i32 s3, s3, 31
	s_waitcnt_depctr 0xfff
	v_mul_f32_e32 v1, 0x4f7ffffe, v1
	s_delay_alu instid0(VALU_DEP_1) | instskip(NEXT) | instid1(VALU_DEP_1)
	v_cvt_u32_f32_e32 v1, v1
	v_readfirstlane_b32 s2, v1
	s_delay_alu instid0(VALU_DEP_1) | instskip(NEXT) | instid1(SALU_CYCLE_1)
	s_mul_i32 s4, s4, s2
	s_mul_hi_u32 s4, s2, s4
	s_delay_alu instid0(SALU_CYCLE_1) | instskip(NEXT) | instid1(SALU_CYCLE_1)
	s_add_i32 s2, s2, s4
	s_mul_hi_u32 s2, s5, s2
	s_delay_alu instid0(SALU_CYCLE_1) | instskip(NEXT) | instid1(SALU_CYCLE_1)
	s_mul_i32 s4, s2, s12
	s_sub_i32 s4, s5, s4
	s_add_i32 s5, s2, 1
	s_sub_i32 s6, s4, s12
	s_cmp_ge_u32 s4, s12
	s_cselect_b32 s2, s5, s2
	s_cselect_b32 s4, s6, s4
	s_add_i32 s5, s2, 1
	s_cmp_ge_u32 s4, s12
	s_cselect_b32 s2, s5, s2
	s_abs_i32 s4, s26
	s_xor_b32 s2, s2, s3
	v_cvt_f32_u32_e32 v1, s4
	s_sub_i32 s6, 0, s4
	s_sub_i32 s2, s2, s3
	s_delay_alu instid0(VALU_DEP_1) | instskip(SKIP_2) | instid1(VALU_DEP_1)
	v_rcp_iflag_f32_e32 v1, v1
	s_waitcnt_depctr 0xfff
	v_mul_f32_e32 v1, 0x4f7ffffe, v1
	v_cvt_u32_f32_e32 v1, v1
	s_delay_alu instid0(VALU_DEP_1) | instskip(NEXT) | instid1(VALU_DEP_1)
	v_readfirstlane_b32 s5, v1
	s_mul_i32 s6, s6, s5
	s_delay_alu instid0(SALU_CYCLE_1)
	s_mul_hi_u32 s3, s5, s6
	s_abs_i32 s6, s2
	s_add_i32 s5, s5, s3
	s_xor_b32 s2, s2, s26
	s_mul_hi_u32 s3, s6, s5
	s_ashr_i32 s2, s2, 31
	s_mul_i32 s5, s3, s4
	s_delay_alu instid0(SALU_CYCLE_1)
	s_sub_i32 s5, s6, s5
	s_add_i32 s6, s3, 1
	s_sub_i32 s7, s5, s4
	s_cmp_ge_u32 s5, s4
	s_cselect_b32 s3, s6, s3
	s_cselect_b32 s5, s7, s5
	s_add_i32 s6, s3, 1
	s_cmp_ge_u32 s5, s4
	s_cselect_b32 s3, s6, s3
	s_delay_alu instid0(SALU_CYCLE_1) | instskip(NEXT) | instid1(SALU_CYCLE_1)
	s_xor_b32 s3, s3, s2
	s_sub_i32 s28, s3, s2
	s_delay_alu instid0(SALU_CYCLE_1)
	s_cmp_lt_i32 s28, 0
	s_cbranch_scc1 .LBB14_20
; %bb.1:
	s_clause 0x2
	s_load_b256 s[4:11], s[0:1], 0x8
	s_load_b64 s[2:3], s[0:1], 0x28
	s_load_b256 s[16:23], s[0:1], 0x30
	s_ashr_i32 s31, s15, 31
	s_lshr_b32 s30, s30, 16
	s_load_b64 s[0:1], s[0:1], 0x50
	v_cvt_f32_u32_e32 v1, s30
	v_mov_b32_e32 v11, 0
	s_delay_alu instid0(VALU_DEP_2)
	v_rcp_iflag_f32_e32 v1, v1
	s_waitcnt lgkmcnt(0)
	s_ashr_i32 s35, s6, 31
	s_mov_b32 s34, s6
	s_mul_i32 s6, s15, s9
	s_mul_hi_u32 s9, s15, s8
	s_mul_i32 s33, s31, s8
	s_add_i32 s6, s9, s6
	s_mul_i32 s8, s15, s8
	s_add_i32 s9, s6, s33
	s_mul_i32 s17, s15, s17
	s_lshl_b64 s[8:9], s[8:9], 2
	s_mul_hi_u32 s37, s15, s16
	s_add_u32 s8, s4, s8
	s_addc_u32 s9, s5, s9
	s_lshl_b64 s[4:5], s[34:35], 2
	s_mul_i32 s6, s31, s16
	s_add_u32 s33, s8, s4
	s_addc_u32 s34, s9, s5
	s_add_i32 s4, s37, s17
	s_mul_i32 s16, s15, s16
	s_add_i32 s17, s4, s6
	s_mov_b32 s36, s2
	s_lshl_b64 s[4:5], s[16:17], 2
	s_ashr_i32 s37, s2, 31
	s_add_u32 s2, s10, s4
	s_addc_u32 s10, s11, s5
	s_lshl_b64 s[4:5], s[36:37], 2
	s_mul_i32 s21, s15, s21
	s_mul_hi_u32 s9, s15, s20
	s_add_u32 s2, s2, s4
	s_mul_i32 s6, s31, s20
	s_addc_u32 s11, s10, s5
	s_add_i32 s4, s9, s21
	s_mul_i32 s8, s15, s20
	s_add_i32 s9, s4, s6
	s_mul_i32 s1, s15, s1
	s_lshl_b64 s[4:5], s[8:9], 2
	s_mul_hi_u32 s10, s15, s0
	s_add_u32 s6, s18, s4
	s_mul_i32 s31, s31, s0
	s_addc_u32 s8, s19, s5
	s_add_i32 s1, s10, s1
	s_mul_i32 s0, s15, s0
	s_add_i32 s1, s1, s31
	s_mul_hi_i32 s5, s3, s25
	s_lshl_b64 s[0:1], s[0:1], 2
	s_mul_i32 s4, s3, s25
	s_add_u32 s15, s22, s0
	s_addc_u32 s16, s23, s1
	s_lshl_b64 s[4:5], s[4:5], 2
	s_waitcnt_depctr 0xfff
	v_mul_f32_e32 v1, 0x4f7ffffe, v1
	s_ashr_i32 s1, s25, 31
	s_mov_b32 s0, s25
	s_add_u32 s9, s2, s4
	s_addc_u32 s10, s11, s5
	s_lshl_b64 s[0:1], s[0:1], 2
	v_cvt_u32_f32_e32 v1, v1
	s_add_u32 s17, s9, s0
	s_addc_u32 s18, s10, s1
	s_add_u32 s19, s33, s0
	s_addc_u32 s20, s34, s1
	;; [unrolled: 2-line block ×3, first 2 shown]
	v_readfirstlane_b32 s11, v1
	s_add_u32 s4, s15, s0
	s_addc_u32 s5, s16, s1
	s_sub_i32 s0, 0, s30
	s_add_i32 s1, s25, -1
	s_mul_i32 s0, s0, s11
	s_abs_i32 s15, s1
	s_mul_hi_u32 s0, s11, s0
	s_ashr_i32 s1, s1, 31
	s_add_i32 s11, s11, s0
	s_mul_i32 s31, s13, s12
	s_mul_hi_u32 s0, s15, s11
	s_delay_alu instid0(SALU_CYCLE_1) | instskip(NEXT) | instid1(SALU_CYCLE_1)
	s_mul_i32 s11, s0, s30
	s_sub_i32 s11, s15, s11
	s_add_i32 s15, s0, 1
	s_sub_i32 s16, s11, s30
	s_cmp_ge_u32 s11, s30
	s_cselect_b32 s0, s15, s0
	s_cselect_b32 s11, s16, s11
	s_add_i32 s15, s0, 1
	s_cmp_ge_u32 s11, s30
	v_cmp_gt_u16_e64 s16, s30, 1
	s_cselect_b32 s21, s15, s0
	s_abs_i32 s23, s27
	s_xor_b32 s21, s21, s1
	v_cvt_f32_u32_e32 v1, s23
	s_sub_i32 s33, 0, s23
	s_sub_i32 s1, s21, s1
	s_mul_i32 s15, s27, s30
	s_mul_i32 s11, s26, s12
	v_rcp_iflag_f32_e32 v2, v1
	v_and_b32_e32 v1, 0x3ff, v0
	v_bfe_u32 v0, v0, 10, 10
	s_delay_alu instid0(VALU_DEP_2) | instskip(NEXT) | instid1(VALU_DEP_2)
	v_lshl_add_u32 v12, v1, 2, 0
	v_cmp_eq_u32_e64 s0, 0, v0
	s_waitcnt_depctr 0xfff
	v_mul_f32_e32 v2, 0x4f7ffffe, v2
	s_delay_alu instid0(VALU_DEP_1) | instskip(SKIP_2) | instid1(VALU_DEP_3)
	v_cvt_u32_f32_e32 v4, v2
	v_mad_u64_u32 v[2:3], null, s14, s30, v[0:1]
	v_mul_u32_u24_e32 v3, s12, v0
	v_readfirstlane_b32 s14, v4
	s_delay_alu instid0(VALU_DEP_2) | instskip(NEXT) | instid1(VALU_DEP_4)
	v_lshl_add_u32 v13, v3, 2, v12
	v_mul_lo_u32 v3, s7, v2
	s_delay_alu instid0(VALU_DEP_3)
	s_mul_i32 s33, s33, s14
	v_mul_lo_u32 v4, s3, v2
	s_mul_hi_u32 s21, s14, s33
	s_abs_i32 s33, s1
	s_add_i32 s14, s14, s21
	s_xor_b32 s1, s1, s27
	s_mul_hi_u32 s14, s33, s14
	s_ashr_i32 s27, s1, 31
	s_mul_i32 s21, s14, s23
	v_add3_u32 v14, v1, v3, s31
	s_sub_i32 s1, s33, s21
	s_add_i32 s21, s14, 1
	s_sub_i32 s33, s1, s23
	s_cmp_ge_u32 s1, s23
	v_add3_u32 v15, v1, v4, s31
	s_cselect_b32 s14, s21, s14
	s_cselect_b32 s1, s33, s1
	s_add_i32 s21, s14, 1
	s_cmp_ge_u32 s1, s23
	v_cmp_eq_u32_e64 s1, 0, v2
	s_cselect_b32 s14, s21, s14
	s_mul_i32 s7, s15, s7
	s_xor_b32 s14, s14, s27
	s_delay_alu instid0(SALU_CYCLE_1)
	s_sub_i32 s23, s14, s27
	s_mul_i32 s27, s15, s3
	s_cmp_gt_i32 s23, -1
	s_cselect_b32 s14, -1, 0
	s_add_u32 s17, s17, 4
	s_addc_u32 s18, s18, 0
	s_add_u32 s19, s19, 4
	s_addc_u32 s20, s20, 0
	;; [unrolled: 2-line block ×3, first 2 shown]
	s_add_i32 s23, s23, 1
	s_branch .LBB14_3
.LBB14_2:                               ;   in Loop: Header=BB14_3 Depth=1
	s_or_b32 exec_lo, exec_lo, s2
	v_add_nc_u32_e32 v14, s11, v14
	v_add_nc_u32_e32 v15, s11, v15
	s_add_i32 s2, s29, 1
	s_cmp_eq_u32 s29, s28
	s_mov_b32 s29, s2
	s_cbranch_scc1 .LBB14_20
.LBB14_3:                               ; =>This Loop Header: Depth=1
                                        ;     Child Loop BB14_12 Depth 2
                                        ;     Child Loop BB14_9 Depth 2
	s_mul_i32 s2, s29, s26
	v_mov_b32_e32 v16, 0
	s_add_i32 s2, s2, s13
	s_delay_alu instid0(SALU_CYCLE_1) | instskip(NEXT) | instid1(VALU_DEP_1)
	v_mad_u64_u32 v[3:4], null, s2, s12, v[1:2]
	v_cmp_gt_i32_e64 s2, s24, v3
	v_ashrrev_i32_e32 v4, 31, v3
	s_delay_alu instid0(VALU_DEP_2) | instskip(NEXT) | instid1(SALU_CYCLE_1)
	s_and_b32 s31, s1, s2
	s_and_saveexec_b32 s3, s31
	s_cbranch_execz .LBB14_5
; %bb.4:                                ;   in Loop: Header=BB14_3 Depth=1
	s_delay_alu instid0(VALU_DEP_1) | instskip(NEXT) | instid1(VALU_DEP_1)
	v_lshlrev_b64 v[5:6], 2, v[3:4]
	v_add_co_u32 v5, vcc_lo, s17, v5
	s_delay_alu instid0(VALU_DEP_2)
	v_add_co_ci_u32_e32 v6, vcc_lo, s18, v6, vcc_lo
	global_load_b32 v16, v[5:6], off
.LBB14_5:                               ;   in Loop: Header=BB14_3 Depth=1
	s_or_b32 exec_lo, exec_lo, s3
	v_mov_b32_e32 v5, v2
	v_mov_b32_e32 v7, v15
	;; [unrolled: 1-line block ×3, first 2 shown]
	s_and_not1_b32 vcc_lo, exec_lo, s14
	s_mov_b32 s31, s23
	s_cbranch_vccz .LBB14_12
.LBB14_6:                               ;   in Loop: Header=BB14_3 Depth=1
	s_and_not1_b32 vcc_lo, exec_lo, s16
	s_mov_b32 s3, s30
	s_waitcnt vmcnt(0)
	ds_store_b32 v13, v16
	s_waitcnt lgkmcnt(0)
	s_waitcnt_vscnt null, 0x0
	s_barrier
	buffer_gl0_inv
	s_cbranch_vccnz .LBB14_18
	.p2align	6
; %bb.7:                                ;   in Loop: Header=BB14_3 Depth=1
	s_lshr_b32 s31, s3, 1
	s_mov_b32 s33, exec_lo
	v_cmpx_gt_u32_e64 s31, v0
	s_cbranch_execz .LBB14_9
.LBB14_8:                               ;   in Loop: Header=BB14_3 Depth=1
	v_add_nc_u32_e32 v5, s31, v0
	s_delay_alu instid0(VALU_DEP_1) | instskip(NEXT) | instid1(VALU_DEP_1)
	v_mul_u32_u24_e32 v5, s12, v5
	v_lshl_add_u32 v5, v5, 2, v12
	ds_load_b32 v5, v5
	s_waitcnt lgkmcnt(0)
	v_add_f32_e32 v16, v16, v5
	ds_store_b32 v13, v16
.LBB14_9:                               ;   Parent Loop BB14_3 Depth=1
                                        ; =>  This Inner Loop Header: Depth=2
	s_or_b32 exec_lo, exec_lo, s33
	s_cmp_lt_u32 s3, 4
	s_waitcnt lgkmcnt(0)
	s_barrier
	buffer_gl0_inv
	s_cbranch_scc1 .LBB14_18
; %bb.10:                               ;   in Loop: Header=BB14_9 Depth=2
	s_mov_b32 s3, s31
	s_delay_alu instid0(SALU_CYCLE_1)
	s_lshr_b32 s31, s3, 1
	s_mov_b32 s33, exec_lo
	v_cmpx_gt_u32_e64 s31, v0
	s_cbranch_execnz .LBB14_8
	s_branch .LBB14_9
.LBB14_11:                              ;   in Loop: Header=BB14_12 Depth=2
	s_or_b32 exec_lo, exec_lo, s3
	v_add_nc_u32_e32 v9, s7, v9
	v_add_nc_u32_e32 v7, s27, v7
	;; [unrolled: 1-line block ×3, first 2 shown]
	s_add_i32 s31, s31, -1
	s_delay_alu instid0(SALU_CYCLE_1)
	s_cmp_eq_u32 s31, 0
	s_cbranch_scc1 .LBB14_6
.LBB14_12:                              ;   Parent Loop BB14_3 Depth=1
                                        ; =>  This Inner Loop Header: Depth=2
	s_delay_alu instid0(VALU_DEP_1)
	v_cmp_gt_i32_e32 vcc_lo, s25, v5
	s_waitcnt vmcnt(0)
	v_dual_mov_b32 v18, 0 :: v_dual_mov_b32 v17, 0
	v_ashrrev_i32_e32 v6, 31, v5
	s_and_saveexec_b32 s33, vcc_lo
	s_cbranch_execnz .LBB14_15
; %bb.13:                               ;   in Loop: Header=BB14_12 Depth=2
	s_or_b32 exec_lo, exec_lo, s33
	s_and_saveexec_b32 s33, vcc_lo
	s_cbranch_execnz .LBB14_16
.LBB14_14:                              ;   in Loop: Header=BB14_12 Depth=2
	s_or_b32 exec_lo, exec_lo, s33
	s_and_b32 s33, s2, vcc_lo
	s_delay_alu instid0(SALU_CYCLE_1)
	s_and_saveexec_b32 s3, s33
	s_cbranch_execz .LBB14_11
	s_branch .LBB14_17
.LBB14_15:                              ;   in Loop: Header=BB14_12 Depth=2
	s_delay_alu instid0(VALU_DEP_1) | instskip(NEXT) | instid1(VALU_DEP_1)
	v_lshlrev_b64 v[19:20], 2, v[5:6]
	v_add_co_u32 v19, s3, s6, v19
	s_delay_alu instid0(VALU_DEP_1)
	v_add_co_ci_u32_e64 v20, s3, s8, v20, s3
	global_load_b32 v17, v[19:20], off
	s_or_b32 exec_lo, exec_lo, s33
	s_and_saveexec_b32 s33, vcc_lo
	s_cbranch_execz .LBB14_14
.LBB14_16:                              ;   in Loop: Header=BB14_12 Depth=2
	v_lshlrev_b64 v[18:19], 2, v[5:6]
	s_delay_alu instid0(VALU_DEP_1) | instskip(NEXT) | instid1(VALU_DEP_1)
	v_add_co_u32 v18, s3, s9, v18
	v_add_co_ci_u32_e64 v19, s3, s10, v19, s3
	global_load_b32 v18, v[18:19], off
	s_or_b32 exec_lo, exec_lo, s33
	s_and_b32 s33, s2, vcc_lo
	s_delay_alu instid0(SALU_CYCLE_1)
	s_and_saveexec_b32 s3, s33
	s_cbranch_execz .LBB14_11
.LBB14_17:                              ;   in Loop: Header=BB14_12 Depth=2
	v_ashrrev_i32_e32 v8, 31, v7
	v_ashrrev_i32_e32 v10, 31, v9
	s_delay_alu instid0(VALU_DEP_2) | instskip(NEXT) | instid1(VALU_DEP_2)
	v_lshlrev_b64 v[19:20], 2, v[7:8]
	v_lshlrev_b64 v[21:22], 2, v[9:10]
	s_delay_alu instid0(VALU_DEP_2) | instskip(NEXT) | instid1(VALU_DEP_3)
	v_add_co_u32 v19, vcc_lo, s21, v19
	v_add_co_ci_u32_e32 v20, vcc_lo, s22, v20, vcc_lo
	s_delay_alu instid0(VALU_DEP_3) | instskip(NEXT) | instid1(VALU_DEP_4)
	v_add_co_u32 v21, vcc_lo, s19, v21
	v_add_co_ci_u32_e32 v22, vcc_lo, s20, v22, vcc_lo
	global_load_b32 v6, v[19:20], off
	global_load_b32 v8, v[21:22], off
	s_waitcnt vmcnt(1)
	v_mul_f32_e32 v6, v18, v6
	s_waitcnt vmcnt(0)
	s_delay_alu instid0(VALU_DEP_1) | instskip(NEXT) | instid1(VALU_DEP_1)
	v_fmac_f32_e32 v6, v17, v8
	v_sub_f32_e32 v16, v16, v6
	s_branch .LBB14_11
.LBB14_18:                              ;   in Loop: Header=BB14_3 Depth=1
	s_and_b32 s3, s0, s2
	s_delay_alu instid0(SALU_CYCLE_1)
	s_and_saveexec_b32 s2, s3
	s_cbranch_execz .LBB14_2
; %bb.19:                               ;   in Loop: Header=BB14_3 Depth=1
	global_load_b32 v5, v11, s[4:5]
	v_lshlrev_b64 v[3:4], 2, v[3:4]
	s_delay_alu instid0(VALU_DEP_1) | instskip(NEXT) | instid1(VALU_DEP_2)
	v_add_co_u32 v3, vcc_lo, s17, v3
	v_add_co_ci_u32_e32 v4, vcc_lo, s18, v4, vcc_lo
	s_waitcnt vmcnt(0)
	v_mul_f32_e32 v5, v16, v5
	global_store_b32 v[3:4], v5, off
	s_branch .LBB14_2
.LBB14_20:
	s_nop 0
	s_sendmsg sendmsg(MSG_DEALLOC_VGPRS)
	s_endpgm
	.section	.rodata,"a",@progbits
	.p2align	6, 0x0
	.amdhsa_kernel _ZN9rocsolver6v33100L26latrd_lower_updateW_kernelIfPfEEviiT0_iilPT_iilS5_lS5_l
		.amdhsa_group_segment_fixed_size 0
		.amdhsa_private_segment_fixed_size 0
		.amdhsa_kernarg_size 344
		.amdhsa_user_sgpr_count 13
		.amdhsa_user_sgpr_dispatch_ptr 0
		.amdhsa_user_sgpr_queue_ptr 0
		.amdhsa_user_sgpr_kernarg_segment_ptr 1
		.amdhsa_user_sgpr_dispatch_id 0
		.amdhsa_user_sgpr_private_segment_size 0
		.amdhsa_wavefront_size32 1
		.amdhsa_uses_dynamic_stack 0
		.amdhsa_enable_private_segment 0
		.amdhsa_system_sgpr_workgroup_id_x 1
		.amdhsa_system_sgpr_workgroup_id_y 1
		.amdhsa_system_sgpr_workgroup_id_z 1
		.amdhsa_system_sgpr_workgroup_info 0
		.amdhsa_system_vgpr_workitem_id 1
		.amdhsa_next_free_vgpr 23
		.amdhsa_next_free_sgpr 38
		.amdhsa_reserve_vcc 1
		.amdhsa_float_round_mode_32 0
		.amdhsa_float_round_mode_16_64 0
		.amdhsa_float_denorm_mode_32 3
		.amdhsa_float_denorm_mode_16_64 3
		.amdhsa_dx10_clamp 1
		.amdhsa_ieee_mode 1
		.amdhsa_fp16_overflow 0
		.amdhsa_workgroup_processor_mode 1
		.amdhsa_memory_ordered 1
		.amdhsa_forward_progress 0
		.amdhsa_shared_vgpr_count 0
		.amdhsa_exception_fp_ieee_invalid_op 0
		.amdhsa_exception_fp_denorm_src 0
		.amdhsa_exception_fp_ieee_div_zero 0
		.amdhsa_exception_fp_ieee_overflow 0
		.amdhsa_exception_fp_ieee_underflow 0
		.amdhsa_exception_fp_ieee_inexact 0
		.amdhsa_exception_int_div_zero 0
	.end_amdhsa_kernel
	.section	.text._ZN9rocsolver6v33100L26latrd_lower_updateW_kernelIfPfEEviiT0_iilPT_iilS5_lS5_l,"axG",@progbits,_ZN9rocsolver6v33100L26latrd_lower_updateW_kernelIfPfEEviiT0_iilPT_iilS5_lS5_l,comdat
.Lfunc_end14:
	.size	_ZN9rocsolver6v33100L26latrd_lower_updateW_kernelIfPfEEviiT0_iilPT_iilS5_lS5_l, .Lfunc_end14-_ZN9rocsolver6v33100L26latrd_lower_updateW_kernelIfPfEEviiT0_iilPT_iilS5_lS5_l
                                        ; -- End function
	.section	.AMDGPU.csdata,"",@progbits
; Kernel info:
; codeLenInByte = 1736
; NumSgprs: 40
; NumVgprs: 23
; ScratchSize: 0
; MemoryBound: 0
; FloatMode: 240
; IeeeMode: 1
; LDSByteSize: 0 bytes/workgroup (compile time only)
; SGPRBlocks: 4
; VGPRBlocks: 2
; NumSGPRsForWavesPerEU: 40
; NumVGPRsForWavesPerEU: 23
; Occupancy: 16
; WaveLimiterHint : 0
; COMPUTE_PGM_RSRC2:SCRATCH_EN: 0
; COMPUTE_PGM_RSRC2:USER_SGPR: 13
; COMPUTE_PGM_RSRC2:TRAP_HANDLER: 0
; COMPUTE_PGM_RSRC2:TGID_X_EN: 1
; COMPUTE_PGM_RSRC2:TGID_Y_EN: 1
; COMPUTE_PGM_RSRC2:TGID_Z_EN: 1
; COMPUTE_PGM_RSRC2:TIDIG_COMP_CNT: 1
	.section	.text._ZN9rocsolver6v33100L20latrd_dot_scale_axpyILi1024EfiPfEEvT1_T2_llPT0_llS6_l,"axG",@progbits,_ZN9rocsolver6v33100L20latrd_dot_scale_axpyILi1024EfiPfEEvT1_T2_llPT0_llS6_l,comdat
	.globl	_ZN9rocsolver6v33100L20latrd_dot_scale_axpyILi1024EfiPfEEvT1_T2_llPT0_llS6_l ; -- Begin function _ZN9rocsolver6v33100L20latrd_dot_scale_axpyILi1024EfiPfEEvT1_T2_llPT0_llS6_l
	.p2align	8
	.type	_ZN9rocsolver6v33100L20latrd_dot_scale_axpyILi1024EfiPfEEvT1_T2_llPT0_llS6_l,@function
_ZN9rocsolver6v33100L20latrd_dot_scale_axpyILi1024EfiPfEEvT1_T2_llPT0_llS6_l: ; @_ZN9rocsolver6v33100L20latrd_dot_scale_axpyILi1024EfiPfEEvT1_T2_llPT0_llS6_l
; %bb.0:
	s_clause 0x1
	s_load_b512 s[16:31], s[0:1], 0x8
	s_load_b32 s14, s[0:1], 0x0
	s_ashr_i32 s33, s15, 31
	v_dual_mov_b32 v7, 0 :: v_dual_lshlrev_b32 v6, 2, v0
	v_or_b32_e32 v5, 0x400, v0
	s_waitcnt lgkmcnt(0)
	s_mul_i32 s1, s15, s27
	s_mul_hi_u32 s4, s15, s26
	s_mul_i32 s5, s33, s26
	s_add_i32 s1, s4, s1
	s_mul_i32 s2, s15, s21
	s_mul_hi_u32 s3, s15, s20
	s_mul_i32 s0, s15, s26
	s_add_i32 s1, s1, s5
	s_mul_i32 s6, s33, s20
	s_add_i32 s2, s3, s2
	s_lshl_b64 s[4:5], s[0:1], 2
	s_add_i32 s3, s2, s6
	s_add_u32 s0, s22, s4
	v_cmp_gt_i32_e32 vcc_lo, s14, v0
	s_addc_u32 s1, s23, s5
	s_lshl_b64 s[6:7], s[24:25], 2
	s_mul_i32 s2, s15, s20
	s_add_u32 s8, s0, s6
	s_addc_u32 s9, s1, s7
	s_and_saveexec_b32 s20, vcc_lo
	s_cbranch_execz .LBB15_6
; %bb.1:
	s_lshl_b64 s[10:11], s[2:3], 2
	v_or_b32_e32 v8, 0x400, v0
	s_add_u32 s0, s16, s10
	s_addc_u32 s1, s17, s11
	s_lshl_b64 s[12:13], s[18:19], 2
	s_mov_b32 s24, 0
	s_add_u32 s0, s0, s12
	s_addc_u32 s1, s1, s13
	s_clause 0x1
	global_load_b32 v1, v6, s[0:1]
	global_load_b32 v2, v6, s[8:9]
	s_mov_b32 s21, exec_lo
	s_waitcnt vmcnt(0)
	v_mul_f32_e32 v3, v1, v2
	ds_store_2addr_stride64_b32 v6, v1, v2 offset1:16
	v_add_f32_e32 v7, 0, v3
	v_cmpx_gt_u32_e64 s14, v8
	s_cbranch_execz .LBB15_5
; %bb.2:
	s_add_u32 s0, s10, s12
	s_addc_u32 s1, s11, s13
	s_add_u32 s0, s16, s0
	s_addc_u32 s1, s17, s1
	v_add_co_u32 v1, s0, s0, v6
	s_delay_alu instid0(VALU_DEP_1)
	v_add_co_ci_u32_e64 v2, null, s1, 0, s0
	s_add_u32 s0, s4, s6
	s_addc_u32 s1, s5, s7
	s_add_u32 s0, s22, s0
	s_addc_u32 s1, s23, s1
	v_add_co_u32 v3, s0, s0, v6
	s_delay_alu instid0(VALU_DEP_1) | instskip(SKIP_1) | instid1(VALU_DEP_1)
	v_add_co_ci_u32_e64 v4, null, s1, 0, s0
	v_add_co_u32 v1, s0, 0x1000, v1
	v_add_co_ci_u32_e64 v2, s0, 0, v2, s0
	s_delay_alu instid0(VALU_DEP_4) | instskip(NEXT) | instid1(VALU_DEP_1)
	v_add_co_u32 v3, s0, 0x1000, v3
	v_add_co_ci_u32_e64 v4, s0, 0, v4, s0
	.p2align	6
.LBB15_3:                               ; =>This Inner Loop Header: Depth=1
	global_load_b32 v9, v[3:4], off
	global_load_b32 v10, v[1:2], off
	v_add_nc_u32_e32 v8, 0x400, v8
	v_add_co_u32 v1, s0, 0x1000, v1
	s_delay_alu instid0(VALU_DEP_1) | instskip(SKIP_1) | instid1(VALU_DEP_1)
	v_add_co_ci_u32_e64 v2, s0, 0, v2, s0
	v_add_co_u32 v3, s0, 0x1000, v3
	v_add_co_ci_u32_e64 v4, s0, 0, v4, s0
	s_waitcnt vmcnt(0)
	v_mul_f32_e32 v9, v10, v9
	v_cmp_le_i32_e64 s1, s14, v8
	s_delay_alu instid0(VALU_DEP_2) | instskip(NEXT) | instid1(VALU_DEP_2)
	v_add_f32_e32 v7, v7, v9
	s_or_b32 s24, s1, s24
	s_delay_alu instid0(SALU_CYCLE_1)
	s_and_not1_b32 exec_lo, exec_lo, s24
	s_cbranch_execnz .LBB15_3
; %bb.4:
	s_or_b32 exec_lo, exec_lo, s24
.LBB15_5:
	s_delay_alu instid0(SALU_CYCLE_1)
	s_or_b32 exec_lo, exec_lo, s21
.LBB15_6:
	s_delay_alu instid0(SALU_CYCLE_1) | instskip(SKIP_2) | instid1(VALU_DEP_1)
	s_or_b32 exec_lo, exec_lo, s20
	v_mbcnt_lo_u32_b32 v1, -1, 0
	s_mov_b32 s1, exec_lo
	v_cmp_ne_u32_e64 s0, 31, v1
	s_delay_alu instid0(VALU_DEP_1) | instskip(SKIP_1) | instid1(VALU_DEP_2)
	v_add_co_ci_u32_e64 v2, s0, 0, v1, s0
	v_cmp_gt_u32_e64 s0, 30, v1
	v_lshlrev_b32_e32 v2, 2, v2
	s_delay_alu instid0(VALU_DEP_2)
	v_cndmask_b32_e64 v3, 0, 1, s0
	v_cmp_gt_u32_e64 s0, 28, v1
	ds_bpermute_b32 v2, v2, v7
	v_lshlrev_b32_e32 v3, 1, v3
	v_cndmask_b32_e64 v4, 0, 1, s0
	v_cmp_gt_u32_e64 s0, 24, v1
	s_delay_alu instid0(VALU_DEP_2) | instskip(NEXT) | instid1(VALU_DEP_1)
	v_lshlrev_b32_e32 v4, 2, v4
	v_add_lshl_u32 v4, v4, v1, 2
	s_waitcnt lgkmcnt(0)
	v_add_f32_e32 v2, v7, v2
	v_add_lshl_u32 v3, v3, v1, 2
	ds_bpermute_b32 v3, v3, v2
	s_waitcnt lgkmcnt(0)
	v_add_f32_e32 v2, v2, v3
	ds_bpermute_b32 v3, v4, v2
	v_cndmask_b32_e64 v4, 0, 1, s0
	v_cmp_gt_u32_e64 s0, 16, v1
	s_delay_alu instid0(VALU_DEP_2) | instskip(NEXT) | instid1(VALU_DEP_1)
	v_lshlrev_b32_e32 v4, 3, v4
	v_add_lshl_u32 v4, v4, v1, 2
	s_waitcnt lgkmcnt(0)
	v_add_f32_e32 v2, v2, v3
	ds_bpermute_b32 v3, v4, v2
	v_cndmask_b32_e64 v4, 0, 1, s0
	s_delay_alu instid0(VALU_DEP_1) | instskip(NEXT) | instid1(VALU_DEP_1)
	v_lshlrev_b32_e32 v4, 4, v4
	v_add_lshl_u32 v1, v4, v1, 2
	s_waitcnt lgkmcnt(0)
	v_dual_add_f32 v2, v2, v3 :: v_dual_and_b32 v3, 31, v0
	ds_bpermute_b32 v1, v1, v2
	s_waitcnt lgkmcnt(0)
	v_add_f32_e32 v1, v2, v1
	v_cmpx_eq_u32_e32 0, v3
	s_cbranch_execz .LBB15_8
; %bb.7:
	v_lshrrev_b32_e32 v2, 3, v0
	ds_store_b32 v2, v1 offset:8192
.LBB15_8:
	s_or_b32 exec_lo, exec_lo, s1
	s_delay_alu instid0(SALU_CYCLE_1)
	s_mov_b32 s1, exec_lo
	s_waitcnt lgkmcnt(0)
	s_barrier
	buffer_gl0_inv
	v_cmpx_eq_u32_e32 0, v0
	s_cbranch_execz .LBB15_10
; %bb.9:
	v_mov_b32_e32 v0, 0x2004
	v_mov_b32_e32 v4, 0x201c
	s_mul_i32 s0, s15, s31
	s_mul_hi_u32 s10, s15, s30
	s_mul_i32 s11, s33, s30
	ds_load_2addr_b32 v[2:3], v0 offset1:1
	v_mov_b32_e32 v0, 0x200c
	s_add_i32 s0, s10, s0
	s_mul_i32 s10, s15, s30
	s_add_i32 s11, s0, s11
	ds_load_2addr_b32 v[7:8], v0 offset1:1
	v_mov_b32_e32 v0, 0x2014
	s_lshl_b64 s[10:11], s[10:11], 2
	ds_load_2addr_b32 v[9:10], v0 offset1:1
	ds_load_2addr_b32 v[11:12], v4 offset1:1
	s_add_u32 s10, s28, s10
	s_addc_u32 s11, s29, s11
	s_waitcnt lgkmcnt(3)
	v_dual_add_f32 v0, v1, v2 :: v_dual_mov_b32 v1, 0x2024
	s_delay_alu instid0(VALU_DEP_1) | instskip(SKIP_1) | instid1(VALU_DEP_1)
	v_dual_add_f32 v0, v0, v3 :: v_dual_mov_b32 v3, 0x202c
	s_waitcnt lgkmcnt(2)
	v_dual_add_f32 v0, v0, v7 :: v_dual_mov_b32 v7, 0x2034
	s_delay_alu instid0(VALU_DEP_1) | instskip(SKIP_1) | instid1(VALU_DEP_1)
	v_add_f32_e32 v0, v0, v8
	s_waitcnt lgkmcnt(1)
	v_add_f32_e32 v2, v0, v9
	ds_load_2addr_b32 v[0:1], v1 offset1:1
	v_dual_mov_b32 v9, 0x203c :: v_dual_add_f32 v2, v2, v10
	s_waitcnt lgkmcnt(1)
	s_delay_alu instid0(VALU_DEP_1)
	v_add_f32_e32 v4, v2, v11
	ds_load_2addr_b32 v[2:3], v3 offset1:1
	ds_load_2addr_b32 v[7:8], v7 offset1:1
	;; [unrolled: 1-line block ×3, first 2 shown]
	v_dual_mov_b32 v11, 0 :: v_dual_add_f32 v4, v4, v12
	s_waitcnt lgkmcnt(3)
	s_delay_alu instid0(VALU_DEP_1) | instskip(NEXT) | instid1(VALU_DEP_1)
	v_add_f32_e32 v0, v4, v0
	v_dual_add_f32 v0, v0, v1 :: v_dual_mov_b32 v1, 0x2044
	s_waitcnt lgkmcnt(2)
	s_delay_alu instid0(VALU_DEP_1) | instskip(NEXT) | instid1(VALU_DEP_1)
	v_add_f32_e32 v0, v0, v2
	v_dual_add_f32 v0, v0, v3 :: v_dual_mov_b32 v3, 0x204c
	s_waitcnt lgkmcnt(1)
	s_delay_alu instid0(VALU_DEP_1) | instskip(SKIP_3) | instid1(VALU_DEP_1)
	v_add_f32_e32 v2, v0, v7
	ds_load_2addr_b32 v[0:1], v1 offset1:1
	v_dual_mov_b32 v7, 0x2054 :: v_dual_add_f32 v2, v2, v8
	s_waitcnt lgkmcnt(1)
	v_add_f32_e32 v4, v2, v9
	ds_load_2addr_b32 v[2:3], v3 offset1:1
	v_dual_mov_b32 v9, 0x205c :: v_dual_add_f32 v4, v4, v10
	ds_load_2addr_b32 v[7:8], v7 offset1:1
	ds_load_2addr_b32 v[9:10], v9 offset1:1
	s_load_b32 s0, s[10:11], 0x0
	s_waitcnt lgkmcnt(0)
	v_add_f32_e32 v0, v4, v0
	s_delay_alu instid0(VALU_DEP_1) | instskip(NEXT) | instid1(VALU_DEP_1)
	v_dual_add_f32 v0, v0, v1 :: v_dual_mov_b32 v1, 0x2064
	v_add_f32_e32 v0, v0, v2
	s_delay_alu instid0(VALU_DEP_1) | instskip(NEXT) | instid1(VALU_DEP_1)
	v_dual_add_f32 v0, v0, v3 :: v_dual_mov_b32 v3, 0x206c
	v_add_f32_e32 v2, v0, v7
	ds_load_2addr_b32 v[0:1], v1 offset1:1
	v_add_f32_e32 v2, v2, v8
	v_cvt_f64_f32_e32 v[7:8], s0
	s_delay_alu instid0(VALU_DEP_2)
	v_add_f32_e32 v4, v2, v9
	ds_load_2addr_b32 v[2:3], v3 offset1:1
	v_dual_mov_b32 v9, 0x2074 :: v_dual_add_f32 v4, v4, v10
	ds_load_2addr_b32 v[9:10], v9 offset1:1
	ds_load_b32 v12, v11 offset:8316
	s_waitcnt lgkmcnt(3)
	v_add_f32_e32 v0, v4, v0
	s_delay_alu instid0(VALU_DEP_1) | instskip(SKIP_1) | instid1(VALU_DEP_1)
	v_add_f32_e32 v0, v0, v1
	s_waitcnt lgkmcnt(2)
	v_add_f32_e32 v0, v0, v2
	s_delay_alu instid0(VALU_DEP_1) | instskip(SKIP_1) | instid1(VALU_DEP_1)
	v_add_f32_e32 v0, v0, v3
	;; [unrolled: 4-line block ×3, first 2 shown]
	s_waitcnt lgkmcnt(0)
	v_add_f32_e32 v2, v0, v12
	v_mul_f64 v[0:1], v[7:8], -0.5
	s_delay_alu instid0(VALU_DEP_2) | instskip(NEXT) | instid1(VALU_DEP_1)
	v_cvt_f64_f32_e32 v[2:3], v2
	v_mul_f64 v[0:1], v[0:1], v[2:3]
	s_delay_alu instid0(VALU_DEP_1)
	v_cvt_f32_f64_e32 v0, v[0:1]
	ds_store_b32 v11, v0 offset:8192
.LBB15_10:
	s_or_b32 exec_lo, exec_lo, s1
	s_waitcnt lgkmcnt(0)
	s_barrier
	buffer_gl0_inv
	s_and_saveexec_b32 s0, vcc_lo
	s_cbranch_execz .LBB15_14
; %bb.11:
	v_mov_b32_e32 v0, 0
	v_cmp_gt_i32_e32 vcc_lo, s14, v5
	ds_load_b32 v4, v0 offset:8192
	ds_load_2addr_stride64_b32 v[0:1], v6 offset1:16
	s_waitcnt lgkmcnt(0)
	v_fmac_f32_e32 v1, v4, v0
	global_store_b32 v6, v1, s[8:9]
	s_and_b32 exec_lo, exec_lo, vcc_lo
	s_cbranch_execz .LBB15_14
; %bb.12:
	s_add_u32 s0, s4, s6
	s_addc_u32 s1, s5, s7
	s_add_u32 s4, s22, s0
	s_addc_u32 s5, s23, s1
	s_lshl_b64 s[0:1], s[2:3], 2
	s_lshl_b64 s[2:3], s[18:19], 2
	v_add_co_u32 v0, s4, s4, v6
	s_add_u32 s0, s0, s2
	s_addc_u32 s1, s1, s3
	s_add_u32 s0, s16, s0
	v_add_co_ci_u32_e64 v1, null, s5, 0, s4
	s_addc_u32 s1, s17, s1
	v_add_co_u32 v2, s0, s0, v6
	s_delay_alu instid0(VALU_DEP_1) | instskip(SKIP_2) | instid1(VALU_DEP_4)
	v_add_co_ci_u32_e64 v3, null, s1, 0, s0
	v_add_co_u32 v0, vcc_lo, 0x1000, v0
	v_add_co_ci_u32_e32 v1, vcc_lo, 0, v1, vcc_lo
	v_add_co_u32 v2, vcc_lo, 0x1000, v2
	s_delay_alu instid0(VALU_DEP_4)
	v_add_co_ci_u32_e32 v3, vcc_lo, 0, v3, vcc_lo
	s_mov_b32 s1, 0
	.p2align	6
.LBB15_13:                              ; =>This Inner Loop Header: Depth=1
	global_load_b32 v6, v[0:1], off
	global_load_b32 v7, v[2:3], off
	s_waitcnt vmcnt(0)
	v_dual_fmac_f32 v6, v4, v7 :: v_dual_add_nc_u32 v5, 0x400, v5
	s_delay_alu instid0(VALU_DEP_1) | instskip(SKIP_2) | instid1(VALU_DEP_1)
	v_cmp_le_i32_e32 vcc_lo, s14, v5
	global_store_b32 v[0:1], v6, off
	v_add_co_u32 v0, s0, 0x1000, v0
	v_add_co_ci_u32_e64 v1, s0, 0, v1, s0
	v_add_co_u32 v2, s0, 0x1000, v2
	s_delay_alu instid0(VALU_DEP_1) | instskip(SKIP_1) | instid1(SALU_CYCLE_1)
	v_add_co_ci_u32_e64 v3, s0, 0, v3, s0
	s_or_b32 s1, vcc_lo, s1
	s_and_not1_b32 exec_lo, exec_lo, s1
	s_cbranch_execnz .LBB15_13
.LBB15_14:
	s_nop 0
	s_sendmsg sendmsg(MSG_DEALLOC_VGPRS)
	s_endpgm
	.section	.rodata,"a",@progbits
	.p2align	6, 0x0
	.amdhsa_kernel _ZN9rocsolver6v33100L20latrd_dot_scale_axpyILi1024EfiPfEEvT1_T2_llPT0_llS6_l
		.amdhsa_group_segment_fixed_size 8320
		.amdhsa_private_segment_fixed_size 0
		.amdhsa_kernarg_size 72
		.amdhsa_user_sgpr_count 14
		.amdhsa_user_sgpr_dispatch_ptr 0
		.amdhsa_user_sgpr_queue_ptr 0
		.amdhsa_user_sgpr_kernarg_segment_ptr 1
		.amdhsa_user_sgpr_dispatch_id 0
		.amdhsa_user_sgpr_private_segment_size 0
		.amdhsa_wavefront_size32 1
		.amdhsa_uses_dynamic_stack 0
		.amdhsa_enable_private_segment 0
		.amdhsa_system_sgpr_workgroup_id_x 1
		.amdhsa_system_sgpr_workgroup_id_y 0
		.amdhsa_system_sgpr_workgroup_id_z 1
		.amdhsa_system_sgpr_workgroup_info 0
		.amdhsa_system_vgpr_workitem_id 0
		.amdhsa_next_free_vgpr 13
		.amdhsa_next_free_sgpr 34
		.amdhsa_reserve_vcc 1
		.amdhsa_float_round_mode_32 0
		.amdhsa_float_round_mode_16_64 0
		.amdhsa_float_denorm_mode_32 3
		.amdhsa_float_denorm_mode_16_64 3
		.amdhsa_dx10_clamp 1
		.amdhsa_ieee_mode 1
		.amdhsa_fp16_overflow 0
		.amdhsa_workgroup_processor_mode 1
		.amdhsa_memory_ordered 1
		.amdhsa_forward_progress 0
		.amdhsa_shared_vgpr_count 0
		.amdhsa_exception_fp_ieee_invalid_op 0
		.amdhsa_exception_fp_denorm_src 0
		.amdhsa_exception_fp_ieee_div_zero 0
		.amdhsa_exception_fp_ieee_overflow 0
		.amdhsa_exception_fp_ieee_underflow 0
		.amdhsa_exception_fp_ieee_inexact 0
		.amdhsa_exception_int_div_zero 0
	.end_amdhsa_kernel
	.section	.text._ZN9rocsolver6v33100L20latrd_dot_scale_axpyILi1024EfiPfEEvT1_T2_llPT0_llS6_l,"axG",@progbits,_ZN9rocsolver6v33100L20latrd_dot_scale_axpyILi1024EfiPfEEvT1_T2_llPT0_llS6_l,comdat
.Lfunc_end15:
	.size	_ZN9rocsolver6v33100L20latrd_dot_scale_axpyILi1024EfiPfEEvT1_T2_llPT0_llS6_l, .Lfunc_end15-_ZN9rocsolver6v33100L20latrd_dot_scale_axpyILi1024EfiPfEEvT1_T2_llPT0_llS6_l
                                        ; -- End function
	.section	.AMDGPU.csdata,"",@progbits
; Kernel info:
; codeLenInByte = 1640
; NumSgprs: 36
; NumVgprs: 13
; ScratchSize: 0
; MemoryBound: 0
; FloatMode: 240
; IeeeMode: 1
; LDSByteSize: 8320 bytes/workgroup (compile time only)
; SGPRBlocks: 4
; VGPRBlocks: 1
; NumSGPRsForWavesPerEU: 36
; NumVGPRsForWavesPerEU: 13
; Occupancy: 16
; WaveLimiterHint : 0
; COMPUTE_PGM_RSRC2:SCRATCH_EN: 0
; COMPUTE_PGM_RSRC2:USER_SGPR: 14
; COMPUTE_PGM_RSRC2:TRAP_HANDLER: 0
; COMPUTE_PGM_RSRC2:TGID_X_EN: 1
; COMPUTE_PGM_RSRC2:TGID_Y_EN: 0
; COMPUTE_PGM_RSRC2:TGID_Z_EN: 1
; COMPUTE_PGM_RSRC2:TIDIG_COMP_CNT: 0
	.section	.text._ZN9rocsolver6v33100L26latrd_upper_updateA_kernelIfPfEEviiiT0_iilPT_iil,"axG",@progbits,_ZN9rocsolver6v33100L26latrd_upper_updateA_kernelIfPfEEviiiT0_iilPT_iil,comdat
	.globl	_ZN9rocsolver6v33100L26latrd_upper_updateA_kernelIfPfEEviiiT0_iilPT_iil ; -- Begin function _ZN9rocsolver6v33100L26latrd_upper_updateA_kernelIfPfEEviiiT0_iilPT_iil
	.p2align	8
	.type	_ZN9rocsolver6v33100L26latrd_upper_updateA_kernelIfPfEEviiiT0_iilPT_iil,@function
_ZN9rocsolver6v33100L26latrd_upper_updateA_kernelIfPfEEviiiT0_iilPT_iil: ; @_ZN9rocsolver6v33100L26latrd_upper_updateA_kernelIfPfEEviiiT0_iilPT_iil
; %bb.0:
	s_clause 0x2
	s_load_b32 s2, s[0:1], 0x4c
	s_load_b128 s[16:19], s[0:1], 0x0
	s_load_b64 s[24:25], s[0:1], 0x40
	s_mov_b32 s27, 0
	s_waitcnt lgkmcnt(0)
	s_and_b32 s12, s2, 0xffff
	s_abs_i32 s5, s18
	v_cvt_f32_u32_e32 v1, s12
	s_sub_i32 s4, 0, s12
	s_ashr_i32 s19, s18, 31
	s_delay_alu instid0(VALU_DEP_1) | instskip(SKIP_2) | instid1(VALU_DEP_1)
	v_rcp_iflag_f32_e32 v1, v1
	s_waitcnt_depctr 0xfff
	v_mul_f32_e32 v1, 0x4f7ffffe, v1
	v_cvt_u32_f32_e32 v1, v1
	s_delay_alu instid0(VALU_DEP_1) | instskip(NEXT) | instid1(VALU_DEP_1)
	v_readfirstlane_b32 s3, v1
	s_mul_i32 s4, s4, s3
	s_delay_alu instid0(SALU_CYCLE_1) | instskip(NEXT) | instid1(SALU_CYCLE_1)
	s_mul_hi_u32 s4, s3, s4
	s_add_i32 s3, s3, s4
	s_delay_alu instid0(SALU_CYCLE_1) | instskip(NEXT) | instid1(SALU_CYCLE_1)
	s_mul_hi_u32 s3, s5, s3
	s_mul_i32 s4, s3, s12
	s_delay_alu instid0(SALU_CYCLE_1)
	s_sub_i32 s4, s5, s4
	s_add_i32 s5, s3, 1
	s_sub_i32 s6, s4, s12
	s_cmp_ge_u32 s4, s12
	s_cselect_b32 s3, s5, s3
	s_cselect_b32 s4, s6, s4
	s_add_i32 s5, s3, 1
	s_cmp_ge_u32 s4, s12
	s_cselect_b32 s3, s5, s3
	s_abs_i32 s4, s24
	s_xor_b32 s3, s3, s19
	v_cvt_f32_u32_e32 v1, s4
	s_sub_i32 s6, 0, s4
	s_sub_i32 s3, s3, s19
	s_delay_alu instid0(SALU_CYCLE_1) | instskip(NEXT) | instid1(VALU_DEP_1)
	s_abs_i32 s7, s3
	v_rcp_iflag_f32_e32 v1, v1
	s_xor_b32 s3, s3, s24
	s_delay_alu instid0(SALU_CYCLE_1) | instskip(SKIP_2) | instid1(VALU_DEP_1)
	s_ashr_i32 s3, s3, 31
	s_waitcnt_depctr 0xfff
	v_mul_f32_e32 v1, 0x4f7ffffe, v1
	v_cvt_u32_f32_e32 v1, v1
	s_delay_alu instid0(VALU_DEP_1) | instskip(NEXT) | instid1(VALU_DEP_1)
	v_readfirstlane_b32 s5, v1
	s_mul_i32 s6, s6, s5
	s_delay_alu instid0(SALU_CYCLE_1) | instskip(NEXT) | instid1(SALU_CYCLE_1)
	s_mul_hi_u32 s6, s5, s6
	s_add_i32 s5, s5, s6
	s_delay_alu instid0(SALU_CYCLE_1) | instskip(NEXT) | instid1(SALU_CYCLE_1)
	s_mul_hi_u32 s5, s7, s5
	s_mul_i32 s6, s5, s4
	s_delay_alu instid0(SALU_CYCLE_1)
	s_sub_i32 s6, s7, s6
	s_add_i32 s7, s5, 1
	s_sub_i32 s8, s6, s4
	s_cmp_ge_u32 s6, s4
	s_cselect_b32 s5, s7, s5
	s_cselect_b32 s6, s8, s6
	s_add_i32 s7, s5, 1
	s_cmp_ge_u32 s6, s4
	s_cselect_b32 s4, s7, s5
	s_delay_alu instid0(SALU_CYCLE_1) | instskip(NEXT) | instid1(SALU_CYCLE_1)
	s_xor_b32 s4, s4, s3
	s_sub_i32 s26, s4, s3
	s_delay_alu instid0(SALU_CYCLE_1)
	s_cmp_lt_i32 s26, 0
	s_cbranch_scc1 .LBB16_20
; %bb.1:
	s_clause 0x1
	s_load_b256 s[4:11], s[0:1], 0x10
	s_load_b128 s[20:23], s[0:1], 0x30
	s_ashr_i32 s29, s15, 31
	s_lshr_b32 s28, s2, 16
	s_delay_alu instid0(SALU_CYCLE_1) | instskip(NEXT) | instid1(VALU_DEP_1)
	v_cvt_f32_u32_e32 v1, s28
	v_rcp_iflag_f32_e32 v1, v1
	s_waitcnt_depctr 0xfff
	v_mul_f32_e32 v1, 0x4f7ffffe, v1
	s_waitcnt lgkmcnt(0)
	s_ashr_i32 s1, s6, 31
	s_mov_b32 s0, s6
	s_mul_i32 s3, s15, s9
	s_mul_hi_u32 s6, s15, s8
	s_mul_i32 s9, s29, s8
	s_add_i32 s3, s6, s3
	s_mul_i32 s2, s15, s8
	s_add_i32 s3, s3, s9
	s_mul_i32 s6, s15, s23
	s_lshl_b64 s[2:3], s[2:3], 2
	s_mul_hi_u32 s9, s15, s22
	s_add_u32 s2, s4, s2
	s_addc_u32 s3, s5, s3
	s_lshl_b64 s[0:1], s[0:1], 2
	s_mul_i32 s29, s29, s22
	s_add_u32 s4, s2, s0
	s_addc_u32 s23, s3, s1
	s_add_i32 s1, s9, s6
	s_mul_i32 s0, s15, s22
	s_add_i32 s1, s1, s29
	s_mov_b32 s8, s20
	s_lshl_b64 s[0:1], s[0:1], 2
	s_ashr_i32 s9, s20, 31
	s_add_u32 s5, s10, s0
	s_addc_u32 s6, s11, s1
	s_lshl_b64 s[0:1], s[8:9], 2
	s_mul_hi_i32 s3, s7, s18
	s_mul_i32 s2, s7, s18
	s_add_u32 s11, s5, s0
	s_addc_u32 s15, s6, s1
	s_not_b32 s5, s18
	s_add_i32 s20, s18, 1
	s_lshl_b64 s[0:1], s[2:3], 2
	s_add_i32 s5, s5, s16
	s_mul_hi_i32 s3, s7, s20
	s_mul_i32 s2, s7, s20
	s_add_u32 s6, s4, s0
	s_addc_u32 s8, s23, s1
	s_lshl_b64 s[0:1], s[2:3], 2
	v_cvt_u32_f32_e32 v1, v1
	s_add_u32 s9, s4, s0
	s_addc_u32 s10, s23, s1
	s_sub_i32 s0, s17, s16
	s_mul_i32 s22, s25, s28
	s_add_i32 s20, s20, s0
	v_readfirstlane_b32 s2, v1
	s_mul_hi_i32 s1, s21, s20
	s_mul_i32 s0, s21, s20
	s_mul_i32 s29, s24, s12
	s_lshl_b64 s[0:1], s[0:1], 2
	s_delay_alu instid0(SALU_CYCLE_1) | instskip(SKIP_2) | instid1(SALU_CYCLE_1)
	s_add_u32 s11, s11, s0
	s_addc_u32 s15, s15, s1
	s_lshl_b64 s[0:1], s[18:19], 2
	s_add_u32 s16, s11, s0
	s_addc_u32 s17, s15, s1
	s_add_u32 s19, s9, s0
	s_addc_u32 s20, s10, s1
	s_sub_i32 s0, 0, s28
	s_add_i32 s1, s5, -1
	s_mul_i32 s0, s0, s2
	s_abs_i32 s3, s1
	s_mul_hi_u32 s0, s2, s0
	s_ashr_i32 s1, s1, 31
	s_add_i32 s2, s2, s0
	s_delay_alu instid0(SALU_CYCLE_1) | instskip(NEXT) | instid1(SALU_CYCLE_1)
	s_mul_hi_u32 s0, s3, s2
	s_mul_i32 s2, s0, s28
	s_delay_alu instid0(SALU_CYCLE_1)
	s_sub_i32 s2, s3, s2
	s_add_i32 s3, s0, 1
	s_sub_i32 s4, s2, s28
	s_cmp_ge_u32 s2, s28
	s_cselect_b32 s0, s3, s0
	s_cselect_b32 s2, s4, s2
	s_add_i32 s3, s0, 1
	s_cmp_ge_u32 s2, s28
	s_cselect_b32 s0, s3, s0
	s_abs_i32 s2, s25
	s_xor_b32 s0, s0, s1
	v_cvt_f32_u32_e32 v1, s2
	s_sub_i32 s4, 0, s2
	s_sub_i32 s0, s0, s1
	s_delay_alu instid0(VALU_DEP_1) | instskip(SKIP_2) | instid1(VALU_DEP_1)
	v_rcp_iflag_f32_e32 v1, v1
	s_waitcnt_depctr 0xfff
	v_mul_f32_e32 v1, 0x4f7ffffe, v1
	v_cvt_u32_f32_e32 v2, v1
	v_bfe_u32 v1, v0, 10, 10
	v_and_b32_e32 v0, 0x3ff, v0
	s_delay_alu instid0(VALU_DEP_3) | instskip(NEXT) | instid1(VALU_DEP_3)
	v_readfirstlane_b32 s3, v2
	v_mad_u64_u32 v[2:3], null, s14, s28, v[1:2]
	v_mul_u32_u24_e32 v5, s12, v1
	s_delay_alu instid0(VALU_DEP_4) | instskip(NEXT) | instid1(VALU_DEP_4)
	v_lshl_add_u32 v10, v0, 2, 0
	s_mul_i32 s4, s4, s3
	v_mad_u64_u32 v[3:4], null, s13, s12, v[0:1]
	s_mul_hi_u32 s1, s3, s4
	s_abs_i32 s4, s0
	s_add_i32 s3, s3, s1
	s_xor_b32 s0, s0, s25
	s_mul_hi_u32 s1, s4, s3
	s_ashr_i32 s14, s0, 31
	s_mul_i32 s3, s1, s2
	v_mul_lo_u32 v12, s7, v2
	s_sub_i32 s3, s4, s3
	s_add_i32 s4, s1, 1
	s_sub_i32 s23, s3, s2
	s_cmp_ge_u32 s3, s2
	v_mul_lo_u32 v13, s21, v2
	s_cselect_b32 s1, s4, s1
	s_cselect_b32 s3, s23, s3
	s_add_i32 s4, s1, 1
	s_cmp_ge_u32 s3, s2
	v_cmp_ne_u32_e64 s0, 0, v1
	s_cselect_b32 s1, s4, s1
	v_lshl_add_u32 v11, v5, 2, v10
	s_xor_b32 s2, s1, s14
	v_cmp_ne_u32_e64 s1, 0, v2
	s_sub_i32 s23, s2, s14
	v_cmp_gt_u16_e64 s25, s28, 1
	s_cmp_gt_i32 s23, -1
	s_mul_i32 s7, s22, s7
	s_cselect_b32 s14, -1, 0
	s_add_i32 s23, s23, 1
	s_mul_i32 s21, s22, s21
	s_branch .LBB16_3
.LBB16_2:                               ;   in Loop: Header=BB16_3 Depth=1
	s_or_b32 exec_lo, exec_lo, s2
	v_add_nc_u32_e32 v3, s29, v3
	s_add_i32 s2, s27, 1
	s_cmp_eq_u32 s27, s26
	s_mov_b32 s27, s2
	s_cbranch_scc1 .LBB16_20
.LBB16_3:                               ; =>This Loop Header: Depth=1
                                        ;     Child Loop BB16_12 Depth 2
                                        ;     Child Loop BB16_9 Depth 2
	s_mul_i32 s2, s27, s24
	v_mov_b32_e32 v14, 0
	s_add_i32 s2, s2, s13
	s_delay_alu instid0(SALU_CYCLE_1) | instskip(NEXT) | instid1(VALU_DEP_1)
	v_mad_u64_u32 v[4:5], null, s2, s12, v[0:1]
	v_cmp_lt_i32_e64 s2, s18, v4
	v_ashrrev_i32_e32 v5, 31, v4
	s_delay_alu instid0(VALU_DEP_2) | instskip(NEXT) | instid1(SALU_CYCLE_1)
	s_or_b32 s3, s1, s2
	s_xor_b32 s4, s3, -1
	s_delay_alu instid0(SALU_CYCLE_1)
	s_and_saveexec_b32 s3, s4
	s_cbranch_execz .LBB16_5
; %bb.4:                                ;   in Loop: Header=BB16_3 Depth=1
	v_lshlrev_b64 v[6:7], 2, v[4:5]
	s_delay_alu instid0(VALU_DEP_1) | instskip(NEXT) | instid1(VALU_DEP_2)
	v_add_co_u32 v6, vcc_lo, s6, v6
	v_add_co_ci_u32_e32 v7, vcc_lo, s8, v7, vcc_lo
	global_load_b32 v14, v[6:7], off
.LBB16_5:                               ;   in Loop: Header=BB16_3 Depth=1
	s_or_b32 exec_lo, exec_lo, s3
	v_dual_mov_b32 v15, v2 :: v_dual_mov_b32 v6, v13
	v_mov_b32_e32 v8, v12
	s_and_not1_b32 vcc_lo, exec_lo, s14
	s_mov_b32 s30, s23
	s_cbranch_vccz .LBB16_12
.LBB16_6:                               ;   in Loop: Header=BB16_3 Depth=1
	s_and_not1_b32 vcc_lo, exec_lo, s25
	s_mov_b32 s3, s28
	s_waitcnt vmcnt(0)
	ds_store_b32 v11, v14
	s_waitcnt lgkmcnt(0)
	s_waitcnt_vscnt null, 0x0
	s_barrier
	buffer_gl0_inv
	s_cbranch_vccnz .LBB16_18
	.p2align	6
; %bb.7:                                ;   in Loop: Header=BB16_3 Depth=1
	s_lshr_b32 s4, s3, 1
	s_mov_b32 s30, exec_lo
	v_cmpx_gt_u32_e64 s4, v1
	s_cbranch_execz .LBB16_9
.LBB16_8:                               ;   in Loop: Header=BB16_3 Depth=1
	v_add_nc_u32_e32 v6, s4, v1
	s_delay_alu instid0(VALU_DEP_1) | instskip(NEXT) | instid1(VALU_DEP_1)
	v_mul_u32_u24_e32 v6, s12, v6
	v_lshl_add_u32 v6, v6, 2, v10
	ds_load_b32 v6, v6
	s_waitcnt lgkmcnt(0)
	v_add_f32_e32 v14, v14, v6
	ds_store_b32 v11, v14
.LBB16_9:                               ;   Parent Loop BB16_3 Depth=1
                                        ; =>  This Inner Loop Header: Depth=2
	s_or_b32 exec_lo, exec_lo, s30
	s_cmp_lt_u32 s3, 4
	s_waitcnt lgkmcnt(0)
	s_barrier
	buffer_gl0_inv
	s_cbranch_scc1 .LBB16_18
; %bb.10:                               ;   in Loop: Header=BB16_9 Depth=2
	s_mov_b32 s3, s4
	s_delay_alu instid0(SALU_CYCLE_1)
	s_lshr_b32 s4, s3, 1
	s_mov_b32 s30, exec_lo
	v_cmpx_gt_u32_e64 s4, v1
	s_cbranch_execnz .LBB16_8
	s_branch .LBB16_9
.LBB16_11:                              ;   in Loop: Header=BB16_12 Depth=2
	s_or_b32 exec_lo, exec_lo, s3
	v_add_nc_u32_e32 v8, s7, v8
	v_add_nc_u32_e32 v6, s21, v6
	;; [unrolled: 1-line block ×3, first 2 shown]
	s_add_i32 s30, s30, -1
	s_delay_alu instid0(SALU_CYCLE_1)
	s_cmp_eq_u32 s30, 0
	s_cbranch_scc1 .LBB16_6
.LBB16_12:                              ;   Parent Loop BB16_3 Depth=1
                                        ; =>  This Inner Loop Header: Depth=2
	s_delay_alu instid0(VALU_DEP_1) | instskip(SKIP_4) | instid1(VALU_DEP_3)
	v_cmp_le_i32_e32 vcc_lo, s5, v15
	v_cmp_gt_i32_e64 s3, s5, v15
	s_waitcnt vmcnt(0)
	v_mov_b32_e32 v9, 0
	v_mov_b32_e32 v7, 0
	s_and_saveexec_b32 s31, s3
	s_cbranch_execz .LBB16_14
; %bb.13:                               ;   in Loop: Header=BB16_12 Depth=2
	v_ashrrev_i32_e32 v7, 31, v6
	s_delay_alu instid0(VALU_DEP_1) | instskip(NEXT) | instid1(VALU_DEP_1)
	v_lshlrev_b64 v[16:17], 2, v[6:7]
	v_add_co_u32 v16, s4, s16, v16
	s_delay_alu instid0(VALU_DEP_1)
	v_add_co_ci_u32_e64 v17, s4, s17, v17, s4
	global_load_b32 v7, v[16:17], off
.LBB16_14:                              ;   in Loop: Header=BB16_12 Depth=2
	s_or_b32 exec_lo, exec_lo, s31
	s_and_saveexec_b32 s4, s3
	s_cbranch_execz .LBB16_16
; %bb.15:                               ;   in Loop: Header=BB16_12 Depth=2
	v_ashrrev_i32_e32 v9, 31, v8
	s_delay_alu instid0(VALU_DEP_1) | instskip(NEXT) | instid1(VALU_DEP_1)
	v_lshlrev_b64 v[16:17], 2, v[8:9]
	v_add_co_u32 v16, s3, s19, v16
	s_delay_alu instid0(VALU_DEP_1)
	v_add_co_ci_u32_e64 v17, s3, s20, v17, s3
	global_load_b32 v9, v[16:17], off
.LBB16_16:                              ;   in Loop: Header=BB16_12 Depth=2
	s_or_b32 exec_lo, exec_lo, s4
	s_or_b32 s3, s2, vcc_lo
	s_delay_alu instid0(SALU_CYCLE_1) | instskip(NEXT) | instid1(SALU_CYCLE_1)
	s_xor_b32 s4, s3, -1
	s_and_saveexec_b32 s3, s4
	s_cbranch_execz .LBB16_11
; %bb.17:                               ;   in Loop: Header=BB16_12 Depth=2
	v_add_nc_u32_e32 v16, v3, v6
	v_add_nc_u32_e32 v18, v3, v8
	s_delay_alu instid0(VALU_DEP_2) | instskip(NEXT) | instid1(VALU_DEP_2)
	v_ashrrev_i32_e32 v17, 31, v16
	v_ashrrev_i32_e32 v19, 31, v18
	s_delay_alu instid0(VALU_DEP_2) | instskip(NEXT) | instid1(VALU_DEP_2)
	v_lshlrev_b64 v[16:17], 2, v[16:17]
	v_lshlrev_b64 v[18:19], 2, v[18:19]
	s_delay_alu instid0(VALU_DEP_2) | instskip(NEXT) | instid1(VALU_DEP_3)
	v_add_co_u32 v16, vcc_lo, s11, v16
	v_add_co_ci_u32_e32 v17, vcc_lo, s15, v17, vcc_lo
	s_delay_alu instid0(VALU_DEP_3) | instskip(NEXT) | instid1(VALU_DEP_4)
	v_add_co_u32 v18, vcc_lo, s9, v18
	v_add_co_ci_u32_e32 v19, vcc_lo, s10, v19, vcc_lo
	global_load_b32 v16, v[16:17], off
	global_load_b32 v17, v[18:19], off
	s_waitcnt vmcnt(1)
	v_mul_f32_e32 v9, v9, v16
	s_waitcnt vmcnt(0)
	s_delay_alu instid0(VALU_DEP_1) | instskip(NEXT) | instid1(VALU_DEP_1)
	v_fmac_f32_e32 v9, v7, v17
	v_sub_f32_e32 v14, v14, v9
	s_branch .LBB16_11
.LBB16_18:                              ;   in Loop: Header=BB16_3 Depth=1
	s_or_b32 s2, s0, s2
	s_delay_alu instid0(SALU_CYCLE_1) | instskip(NEXT) | instid1(SALU_CYCLE_1)
	s_xor_b32 s3, s2, -1
	s_and_saveexec_b32 s2, s3
	s_cbranch_execz .LBB16_2
; %bb.19:                               ;   in Loop: Header=BB16_3 Depth=1
	v_lshlrev_b64 v[4:5], 2, v[4:5]
	s_delay_alu instid0(VALU_DEP_1) | instskip(NEXT) | instid1(VALU_DEP_2)
	v_add_co_u32 v4, vcc_lo, s6, v4
	v_add_co_ci_u32_e32 v5, vcc_lo, s8, v5, vcc_lo
	global_store_b32 v[4:5], v14, off
	s_branch .LBB16_2
.LBB16_20:
	s_nop 0
	s_sendmsg sendmsg(MSG_DEALLOC_VGPRS)
	s_endpgm
	.section	.rodata,"a",@progbits
	.p2align	6, 0x0
	.amdhsa_kernel _ZN9rocsolver6v33100L26latrd_upper_updateA_kernelIfPfEEviiiT0_iilPT_iil
		.amdhsa_group_segment_fixed_size 0
		.amdhsa_private_segment_fixed_size 0
		.amdhsa_kernarg_size 320
		.amdhsa_user_sgpr_count 13
		.amdhsa_user_sgpr_dispatch_ptr 0
		.amdhsa_user_sgpr_queue_ptr 0
		.amdhsa_user_sgpr_kernarg_segment_ptr 1
		.amdhsa_user_sgpr_dispatch_id 0
		.amdhsa_user_sgpr_private_segment_size 0
		.amdhsa_wavefront_size32 1
		.amdhsa_uses_dynamic_stack 0
		.amdhsa_enable_private_segment 0
		.amdhsa_system_sgpr_workgroup_id_x 1
		.amdhsa_system_sgpr_workgroup_id_y 1
		.amdhsa_system_sgpr_workgroup_id_z 1
		.amdhsa_system_sgpr_workgroup_info 0
		.amdhsa_system_vgpr_workitem_id 1
		.amdhsa_next_free_vgpr 20
		.amdhsa_next_free_sgpr 32
		.amdhsa_reserve_vcc 1
		.amdhsa_float_round_mode_32 0
		.amdhsa_float_round_mode_16_64 0
		.amdhsa_float_denorm_mode_32 3
		.amdhsa_float_denorm_mode_16_64 3
		.amdhsa_dx10_clamp 1
		.amdhsa_ieee_mode 1
		.amdhsa_fp16_overflow 0
		.amdhsa_workgroup_processor_mode 1
		.amdhsa_memory_ordered 1
		.amdhsa_forward_progress 0
		.amdhsa_shared_vgpr_count 0
		.amdhsa_exception_fp_ieee_invalid_op 0
		.amdhsa_exception_fp_denorm_src 0
		.amdhsa_exception_fp_ieee_div_zero 0
		.amdhsa_exception_fp_ieee_overflow 0
		.amdhsa_exception_fp_ieee_underflow 0
		.amdhsa_exception_fp_ieee_inexact 0
		.amdhsa_exception_int_div_zero 0
	.end_amdhsa_kernel
	.section	.text._ZN9rocsolver6v33100L26latrd_upper_updateA_kernelIfPfEEviiiT0_iilPT_iil,"axG",@progbits,_ZN9rocsolver6v33100L26latrd_upper_updateA_kernelIfPfEEviiiT0_iilPT_iil,comdat
.Lfunc_end16:
	.size	_ZN9rocsolver6v33100L26latrd_upper_updateA_kernelIfPfEEviiiT0_iilPT_iil, .Lfunc_end16-_ZN9rocsolver6v33100L26latrd_upper_updateA_kernelIfPfEEviiiT0_iilPT_iil
                                        ; -- End function
	.section	.AMDGPU.csdata,"",@progbits
; Kernel info:
; codeLenInByte = 1624
; NumSgprs: 34
; NumVgprs: 20
; ScratchSize: 0
; MemoryBound: 0
; FloatMode: 240
; IeeeMode: 1
; LDSByteSize: 0 bytes/workgroup (compile time only)
; SGPRBlocks: 4
; VGPRBlocks: 2
; NumSGPRsForWavesPerEU: 34
; NumVGPRsForWavesPerEU: 20
; Occupancy: 16
; WaveLimiterHint : 0
; COMPUTE_PGM_RSRC2:SCRATCH_EN: 0
; COMPUTE_PGM_RSRC2:USER_SGPR: 13
; COMPUTE_PGM_RSRC2:TRAP_HANDLER: 0
; COMPUTE_PGM_RSRC2:TGID_X_EN: 1
; COMPUTE_PGM_RSRC2:TGID_Y_EN: 1
; COMPUTE_PGM_RSRC2:TGID_Z_EN: 1
; COMPUTE_PGM_RSRC2:TIDIG_COMP_CNT: 1
	.section	.text._ZN9rocsolver6v33100L33latrd_upper_computeW_gemvt_kernelILi256EfPfEEviiiT1_iilPT0_iilS5_iilS5_l,"axG",@progbits,_ZN9rocsolver6v33100L33latrd_upper_computeW_gemvt_kernelILi256EfPfEEviiiT1_iilPT0_iilS5_iilS5_l,comdat
	.globl	_ZN9rocsolver6v33100L33latrd_upper_computeW_gemvt_kernelILi256EfPfEEviiiT1_iilPT0_iilS5_iilS5_l ; -- Begin function _ZN9rocsolver6v33100L33latrd_upper_computeW_gemvt_kernelILi256EfPfEEviiiT1_iilPT0_iilS5_iilS5_l
	.p2align	8
	.type	_ZN9rocsolver6v33100L33latrd_upper_computeW_gemvt_kernelILi256EfPfEEviiiT1_iilPT0_iilS5_iilS5_l,@function
_ZN9rocsolver6v33100L33latrd_upper_computeW_gemvt_kernelILi256EfPfEEviiiT1_iilPT0_iilS5_iilS5_l: ; @_ZN9rocsolver6v33100L33latrd_upper_computeW_gemvt_kernelILi256EfPfEEviiiT1_iilPT0_iilS5_iilS5_l
; %bb.0:
	s_clause 0x1
	s_load_b128 s[20:23], s[0:1], 0x0
	s_load_b128 s[16:19], s[0:1], 0x38
	s_ashr_i32 s24, s15, 31
	s_waitcnt lgkmcnt(0)
	s_cmp_lt_i32 s14, s20
	s_cselect_b32 s23, -1, 0
	s_delay_alu instid0(SALU_CYCLE_1) | instskip(SKIP_1) | instid1(SALU_CYCLE_1)
	s_and_b32 s2, s23, exec_lo
	s_cselect_b32 s2, 0, s20
	s_sub_i32 s2, s14, s2
	s_delay_alu instid0(SALU_CYCLE_1)
	s_ashr_i32 s3, s2, 31
	s_cmp_eq_u32 s2, s22
	s_cbranch_scc1 .LBB17_12
; %bb.1:
	s_clause 0x1
	s_load_b256 s[4:11], s[0:1], 0x10
	s_load_b64 s[26:27], s[0:1], 0x30
	s_mul_i32 s25, s15, s17
	s_mul_hi_u32 s28, s15, s16
	s_mul_i32 s29, s24, s16
	v_cmp_gt_i32_e32 vcc_lo, s22, v0
	v_mov_b32_e32 v7, 0
	v_cndmask_b32_e32 v1, 0, v0, vcc_lo
	s_delay_alu instid0(VALU_DEP_1)
	v_lshlrev_b32_e32 v1, 2, v1
	s_waitcnt lgkmcnt(0)
	s_mul_i32 s9, s15, s9
	s_mul_hi_u32 s12, s15, s8
	s_mul_i32 s13, s24, s8
	s_add_i32 s9, s12, s9
	s_mul_i32 s8, s15, s8
	s_add_i32 s9, s9, s13
	s_ashr_i32 s13, s6, 31
	s_lshl_b64 s[8:9], s[8:9], 2
	s_mov_b32 s12, s6
	s_add_u32 s6, s4, s8
	s_addc_u32 s17, s5, s9
	s_lshl_b64 s[12:13], s[12:13], 2
	s_mov_b32 s30, s26
	s_add_u32 s14, s6, s12
	s_addc_u32 s17, s17, s13
	s_add_i32 s6, s28, s25
	s_mul_i32 s28, s15, s16
	s_add_i32 s29, s6, s29
	s_ashr_i32 s31, s26, 31
	s_lshl_b64 s[28:29], s[28:29], 2
	s_delay_alu instid0(SALU_CYCLE_1) | instskip(SKIP_2) | instid1(SALU_CYCLE_1)
	s_add_u32 s6, s10, s28
	s_addc_u32 s16, s11, s29
	s_lshl_b64 s[10:11], s[30:31], 2
	s_add_u32 s6, s6, s10
	s_addc_u32 s16, s16, s11
	s_sub_i32 s10, s21, s20
	s_delay_alu instid0(SALU_CYCLE_1) | instskip(NEXT) | instid1(SALU_CYCLE_1)
	s_add_i32 s10, s10, s22
	s_add_i32 s10, s10, 1
	s_delay_alu instid0(SALU_CYCLE_1) | instskip(SKIP_1) | instid1(SALU_CYCLE_1)
	s_mul_hi_i32 s11, s27, s10
	s_mul_i32 s10, s27, s10
	s_lshl_b64 s[10:11], s[10:11], 2
	s_delay_alu instid0(SALU_CYCLE_1)
	s_add_u32 s6, s6, s10
	s_addc_u32 s10, s16, s11
	s_and_b32 s11, s23, exec_lo
	s_cselect_b32 s16, s7, s27
	s_cselect_b32 s20, s17, s10
	s_mul_hi_i32 s11, s16, s2
	s_mul_i32 s10, s16, s2
	s_cselect_b32 s6, s14, s6
	s_lshl_b64 s[10:11], s[10:11], 2
	s_delay_alu instid0(SALU_CYCLE_1)
	s_add_u32 s6, s10, s6
	s_addc_u32 s10, s11, s20
	s_ashr_i32 s11, s22, 31
	v_add_co_u32 v1, s6, s6, v1
	s_lshr_b32 s16, s11, 24
	v_add_co_ci_u32_e64 v2, null, s10, 0, s6
	s_add_i32 s16, s22, s16
	s_mul_hi_i32 s11, s7, s22
	s_and_b32 s6, s16, 0xffffff00
	s_cmpk_lt_i32 s22, 0x100
	s_mul_i32 s10, s7, s22
	s_cbranch_scc1 .LBB17_4
; %bb.2:
	s_lshl_b64 s[20:21], s[10:11], 2
	v_dual_mov_b32 v6, v2 :: v_dual_lshlrev_b32 v3, 2, v0
	s_add_u32 s7, s8, s20
	s_addc_u32 s8, s9, s21
	s_add_u32 s7, s7, s12
	s_addc_u32 s8, s8, s13
	s_add_u32 s4, s4, s7
	s_addc_u32 s5, s5, s8
	v_add_co_u32 v3, s4, s4, v3
	v_mov_b32_e32 v7, 0
	v_add_co_ci_u32_e64 v4, null, s5, 0, s4
	v_mov_b32_e32 v5, v1
	s_mov_b32 s4, 0
.LBB17_3:                               ; =>This Inner Loop Header: Depth=1
	global_load_b32 v8, v[5:6], off
	global_load_b32 v9, v[3:4], off
	v_add_co_u32 v3, vcc_lo, 0x400, v3
	v_add_co_ci_u32_e32 v4, vcc_lo, 0, v4, vcc_lo
	v_add_co_u32 v5, vcc_lo, 0x400, v5
	v_add_co_ci_u32_e32 v6, vcc_lo, 0, v6, vcc_lo
	s_addk_i32 s4, 0x100
	s_delay_alu instid0(SALU_CYCLE_1)
	s_cmp_ge_i32 s4, s6
	s_waitcnt vmcnt(0)
	v_fmac_f32_e32 v7, v8, v9
	s_cbranch_scc0 .LBB17_3
.LBB17_4:
	v_add_nc_u32_e32 v3, s6, v0
	s_mov_b32 s4, exec_lo
	s_delay_alu instid0(VALU_DEP_1)
	v_cmpx_gt_i32_e64 s22, v3
	s_cbranch_execz .LBB17_6
; %bb.5:
	v_ashrrev_i32_e32 v4, 31, v3
	s_lshl_b64 s[8:9], s[10:11], 2
	s_delay_alu instid0(SALU_CYCLE_1) | instskip(SKIP_4) | instid1(SALU_CYCLE_1)
	s_add_u32 s5, s14, s8
	s_addc_u32 s8, s17, s9
	s_ashr_i32 s7, s6, 31
	v_lshlrev_b64 v[3:4], 2, v[3:4]
	s_lshl_b64 s[6:7], s[6:7], 2
	v_add_co_u32 v1, vcc_lo, v1, s6
	v_add_co_ci_u32_e32 v2, vcc_lo, s7, v2, vcc_lo
	s_delay_alu instid0(VALU_DEP_3) | instskip(NEXT) | instid1(VALU_DEP_4)
	v_add_co_u32 v3, vcc_lo, s5, v3
	v_add_co_ci_u32_e32 v4, vcc_lo, s8, v4, vcc_lo
	global_load_b32 v1, v[1:2], off
	global_load_b32 v2, v[3:4], off
	s_waitcnt vmcnt(0)
	v_fmac_f32_e32 v7, v1, v2
.LBB17_6:
	s_or_b32 exec_lo, exec_lo, s4
	v_mbcnt_lo_u32_b32 v1, -1, 0
	s_mov_b32 s4, 0
	s_mov_b32 s5, exec_lo
	s_delay_alu instid0(VALU_DEP_1) | instskip(SKIP_2) | instid1(VALU_DEP_2)
	v_cmp_ne_u32_e32 vcc_lo, 31, v1
	v_add_co_ci_u32_e32 v2, vcc_lo, 0, v1, vcc_lo
	v_cmp_gt_u32_e32 vcc_lo, 30, v1
	v_lshlrev_b32_e32 v2, 2, v2
	v_cndmask_b32_e64 v3, 0, 1, vcc_lo
	v_cmp_gt_u32_e32 vcc_lo, 28, v1
	ds_bpermute_b32 v2, v2, v7
	v_lshlrev_b32_e32 v3, 1, v3
	v_cndmask_b32_e64 v4, 0, 1, vcc_lo
	v_cmp_gt_u32_e32 vcc_lo, 24, v1
	s_delay_alu instid0(VALU_DEP_2) | instskip(NEXT) | instid1(VALU_DEP_1)
	v_lshlrev_b32_e32 v4, 2, v4
	v_add_lshl_u32 v4, v4, v1, 2
	s_waitcnt lgkmcnt(0)
	v_add_f32_e32 v2, v7, v2
	v_add_lshl_u32 v3, v3, v1, 2
	ds_bpermute_b32 v3, v3, v2
	s_waitcnt lgkmcnt(0)
	v_add_f32_e32 v2, v2, v3
	ds_bpermute_b32 v3, v4, v2
	v_cndmask_b32_e64 v4, 0, 1, vcc_lo
	v_cmp_gt_u32_e32 vcc_lo, 16, v1
	s_delay_alu instid0(VALU_DEP_2) | instskip(NEXT) | instid1(VALU_DEP_1)
	v_lshlrev_b32_e32 v4, 3, v4
	v_add_lshl_u32 v4, v4, v1, 2
	s_waitcnt lgkmcnt(0)
	v_add_f32_e32 v2, v2, v3
	ds_bpermute_b32 v3, v4, v2
	v_cndmask_b32_e64 v4, 0, 1, vcc_lo
	s_delay_alu instid0(VALU_DEP_1) | instskip(NEXT) | instid1(VALU_DEP_1)
	v_lshlrev_b32_e32 v4, 4, v4
	v_add_lshl_u32 v1, v4, v1, 2
	s_waitcnt lgkmcnt(0)
	v_dual_add_f32 v2, v2, v3 :: v_dual_and_b32 v3, 31, v0
	ds_bpermute_b32 v1, v1, v2
	s_waitcnt lgkmcnt(0)
	v_add_f32_e32 v2, v2, v1
	v_cmpx_eq_u32_e32 0, v3
	s_cbranch_execz .LBB17_8
; %bb.7:
	v_lshrrev_b32_e32 v1, 3, v0
	ds_store_b32 v1, v2
.LBB17_8:
	s_or_b32 exec_lo, exec_lo, s5
	v_mov_b32_e32 v1, 0
	s_mov_b32 s5, exec_lo
	s_waitcnt lgkmcnt(0)
	s_barrier
	buffer_gl0_inv
	v_cmpx_eq_u32_e32 0, v0
	s_cbranch_execz .LBB17_10
; %bb.9:
	v_mov_b32_e32 v1, 0
	s_mov_b32 s4, exec_lo
	ds_load_2addr_b32 v[3:4], v1 offset0:1 offset1:2
	ds_load_2addr_b32 v[5:6], v1 offset0:3 offset1:4
	;; [unrolled: 1-line block ×3, first 2 shown]
	ds_load_b32 v1, v1 offset:28
	s_waitcnt lgkmcnt(3)
	v_add_f32_e32 v2, v2, v3
	s_delay_alu instid0(VALU_DEP_1) | instskip(SKIP_1) | instid1(VALU_DEP_1)
	v_add_f32_e32 v2, v2, v4
	s_waitcnt lgkmcnt(2)
	v_add_f32_e32 v2, v2, v5
	s_delay_alu instid0(VALU_DEP_1) | instskip(SKIP_1) | instid1(VALU_DEP_1)
	v_add_f32_e32 v2, v2, v6
	;; [unrolled: 4-line block ×3, first 2 shown]
	s_waitcnt lgkmcnt(0)
	v_add_f32_e32 v1, v2, v1
.LBB17_10:
	s_or_b32 exec_lo, exec_lo, s5
	s_and_saveexec_b32 s5, s4
	s_cbranch_execnz .LBB17_13
.LBB17_11:
	s_endpgm
.LBB17_12:
	v_mov_b32_e32 v1, 0
	s_mov_b32 s4, -1
	s_delay_alu instid0(SALU_CYCLE_1)
	s_and_saveexec_b32 s5, s4
	s_cbranch_execz .LBB17_11
.LBB17_13:
	v_cmp_eq_u32_e32 vcc_lo, 0, v0
	s_and_b32 exec_lo, exec_lo, vcc_lo
	s_cbranch_execz .LBB17_11
; %bb.14:
	s_clause 0x2
	s_load_b32 s8, s[0:1], 0x48
	s_load_b128 s[4:7], s[0:1], 0x50
	s_load_b64 s[0:1], s[0:1], 0x60
	v_mov_b32_e32 v0, 0
	s_waitcnt lgkmcnt(0)
	s_ashr_i32 s9, s8, 31
	s_mul_i32 s5, s15, s5
	s_mul_hi_u32 s10, s15, s4
	s_mul_i32 s11, s24, s4
	s_add_i32 s5, s10, s5
	s_mul_i32 s4, s15, s4
	s_add_i32 s5, s5, s11
	s_mul_i32 s1, s15, s1
	s_lshl_b64 s[4:5], s[4:5], 2
	s_mul_hi_u32 s10, s15, s0
	s_add_u32 s11, s18, s4
	s_addc_u32 s12, s19, s5
	s_lshl_b64 s[4:5], s[8:9], 2
	s_mul_i32 s8, s24, s0
	s_add_u32 s4, s11, s4
	s_addc_u32 s5, s12, s5
	s_add_i32 s1, s10, s1
	s_mul_i32 s0, s15, s0
	s_add_i32 s1, s1, s8
	s_delay_alu instid0(SALU_CYCLE_1) | instskip(NEXT) | instid1(SALU_CYCLE_1)
	s_lshl_b64 s[0:1], s[0:1], 2
	s_add_u32 s0, s6, s0
	s_addc_u32 s1, s7, s1
	s_and_b32 s6, s23, exec_lo
	s_cselect_b32 s5, s5, s1
	s_cselect_b32 s4, s4, s0
	s_lshl_b64 s[0:1], s[2:3], 2
	s_delay_alu instid0(SALU_CYCLE_1)
	s_add_u32 s0, s4, s0
	s_addc_u32 s1, s5, s1
	global_store_b32 v0, v1, s[0:1]
	s_nop 0
	s_sendmsg sendmsg(MSG_DEALLOC_VGPRS)
	s_endpgm
	.section	.rodata,"a",@progbits
	.p2align	6, 0x0
	.amdhsa_kernel _ZN9rocsolver6v33100L33latrd_upper_computeW_gemvt_kernelILi256EfPfEEviiiT1_iilPT0_iilS5_iilS5_l
		.amdhsa_group_segment_fixed_size 1024
		.amdhsa_private_segment_fixed_size 0
		.amdhsa_kernarg_size 104
		.amdhsa_user_sgpr_count 14
		.amdhsa_user_sgpr_dispatch_ptr 0
		.amdhsa_user_sgpr_queue_ptr 0
		.amdhsa_user_sgpr_kernarg_segment_ptr 1
		.amdhsa_user_sgpr_dispatch_id 0
		.amdhsa_user_sgpr_private_segment_size 0
		.amdhsa_wavefront_size32 1
		.amdhsa_uses_dynamic_stack 0
		.amdhsa_enable_private_segment 0
		.amdhsa_system_sgpr_workgroup_id_x 1
		.amdhsa_system_sgpr_workgroup_id_y 0
		.amdhsa_system_sgpr_workgroup_id_z 1
		.amdhsa_system_sgpr_workgroup_info 0
		.amdhsa_system_vgpr_workitem_id 0
		.amdhsa_next_free_vgpr 10
		.amdhsa_next_free_sgpr 32
		.amdhsa_reserve_vcc 1
		.amdhsa_float_round_mode_32 0
		.amdhsa_float_round_mode_16_64 0
		.amdhsa_float_denorm_mode_32 3
		.amdhsa_float_denorm_mode_16_64 3
		.amdhsa_dx10_clamp 1
		.amdhsa_ieee_mode 1
		.amdhsa_fp16_overflow 0
		.amdhsa_workgroup_processor_mode 1
		.amdhsa_memory_ordered 1
		.amdhsa_forward_progress 0
		.amdhsa_shared_vgpr_count 0
		.amdhsa_exception_fp_ieee_invalid_op 0
		.amdhsa_exception_fp_denorm_src 0
		.amdhsa_exception_fp_ieee_div_zero 0
		.amdhsa_exception_fp_ieee_overflow 0
		.amdhsa_exception_fp_ieee_underflow 0
		.amdhsa_exception_fp_ieee_inexact 0
		.amdhsa_exception_int_div_zero 0
	.end_amdhsa_kernel
	.section	.text._ZN9rocsolver6v33100L33latrd_upper_computeW_gemvt_kernelILi256EfPfEEviiiT1_iilPT0_iilS5_iilS5_l,"axG",@progbits,_ZN9rocsolver6v33100L33latrd_upper_computeW_gemvt_kernelILi256EfPfEEviiiT1_iilPT0_iilS5_iilS5_l,comdat
.Lfunc_end17:
	.size	_ZN9rocsolver6v33100L33latrd_upper_computeW_gemvt_kernelILi256EfPfEEviiiT1_iilPT0_iilS5_iilS5_l, .Lfunc_end17-_ZN9rocsolver6v33100L33latrd_upper_computeW_gemvt_kernelILi256EfPfEEviiiT1_iilPT0_iilS5_iilS5_l
                                        ; -- End function
	.section	.AMDGPU.csdata,"",@progbits
; Kernel info:
; codeLenInByte = 1216
; NumSgprs: 34
; NumVgprs: 10
; ScratchSize: 0
; MemoryBound: 0
; FloatMode: 240
; IeeeMode: 1
; LDSByteSize: 1024 bytes/workgroup (compile time only)
; SGPRBlocks: 4
; VGPRBlocks: 1
; NumSGPRsForWavesPerEU: 34
; NumVGPRsForWavesPerEU: 10
; Occupancy: 16
; WaveLimiterHint : 0
; COMPUTE_PGM_RSRC2:SCRATCH_EN: 0
; COMPUTE_PGM_RSRC2:USER_SGPR: 14
; COMPUTE_PGM_RSRC2:TRAP_HANDLER: 0
; COMPUTE_PGM_RSRC2:TGID_X_EN: 1
; COMPUTE_PGM_RSRC2:TGID_Y_EN: 0
; COMPUTE_PGM_RSRC2:TGID_Z_EN: 1
; COMPUTE_PGM_RSRC2:TIDIG_COMP_CNT: 0
	.section	.text._ZN9rocsolver6v33100L26latrd_upper_updateW_kernelIfPfEEviiiT0_iilPT_iilS5_lS5_l,"axG",@progbits,_ZN9rocsolver6v33100L26latrd_upper_updateW_kernelIfPfEEviiiT0_iilPT_iilS5_lS5_l,comdat
	.globl	_ZN9rocsolver6v33100L26latrd_upper_updateW_kernelIfPfEEviiiT0_iilPT_iilS5_lS5_l ; -- Begin function _ZN9rocsolver6v33100L26latrd_upper_updateW_kernelIfPfEEviiiT0_iilPT_iilS5_lS5_l
	.p2align	8
	.type	_ZN9rocsolver6v33100L26latrd_upper_updateW_kernelIfPfEEviiiT0_iilPT_iilS5_lS5_l,@function
_ZN9rocsolver6v33100L26latrd_upper_updateW_kernelIfPfEEviiiT0_iilPT_iilS5_lS5_l: ; @_ZN9rocsolver6v33100L26latrd_upper_updateW_kernelIfPfEEviiiT0_iilPT_iilS5_lS5_l
; %bb.0:
	s_clause 0x2
	s_load_b32 s33, s[0:1], 0x6c
	s_load_b128 s[24:27], s[0:1], 0x0
	s_load_b64 s[28:29], s[0:1], 0x60
	s_mov_b32 s31, 0
	s_waitcnt lgkmcnt(0)
	s_and_b32 s12, s33, 0xffff
	s_add_i32 s4, s26, -1
	v_cvt_f32_u32_e32 v1, s12
	s_sub_i32 s3, 0, s12
	s_abs_i32 s5, s4
	s_ashr_i32 s4, s4, 31
	s_delay_alu instid0(VALU_DEP_1) | instskip(SKIP_2) | instid1(VALU_DEP_1)
	v_rcp_iflag_f32_e32 v1, v1
	s_waitcnt_depctr 0xfff
	v_mul_f32_e32 v1, 0x4f7ffffe, v1
	v_cvt_u32_f32_e32 v1, v1
	s_delay_alu instid0(VALU_DEP_1) | instskip(NEXT) | instid1(VALU_DEP_1)
	v_readfirstlane_b32 s2, v1
	s_mul_i32 s3, s3, s2
	s_delay_alu instid0(SALU_CYCLE_1) | instskip(NEXT) | instid1(SALU_CYCLE_1)
	s_mul_hi_u32 s3, s2, s3
	s_add_i32 s2, s2, s3
	s_delay_alu instid0(SALU_CYCLE_1) | instskip(NEXT) | instid1(SALU_CYCLE_1)
	s_mul_hi_u32 s2, s5, s2
	s_mul_i32 s3, s2, s12
	s_delay_alu instid0(SALU_CYCLE_1)
	s_sub_i32 s3, s5, s3
	s_add_i32 s5, s2, 1
	s_sub_i32 s6, s3, s12
	s_cmp_ge_u32 s3, s12
	s_cselect_b32 s2, s5, s2
	s_cselect_b32 s3, s6, s3
	s_add_i32 s5, s2, 1
	s_cmp_ge_u32 s3, s12
	s_cselect_b32 s2, s5, s2
	s_abs_i32 s3, s28
	s_xor_b32 s2, s2, s4
	v_cvt_f32_u32_e32 v1, s3
	s_sub_i32 s6, 0, s3
	s_sub_i32 s2, s2, s4
	s_delay_alu instid0(VALU_DEP_1) | instskip(SKIP_2) | instid1(VALU_DEP_1)
	v_rcp_iflag_f32_e32 v1, v1
	s_waitcnt_depctr 0xfff
	v_mul_f32_e32 v1, 0x4f7ffffe, v1
	v_cvt_u32_f32_e32 v1, v1
	s_delay_alu instid0(VALU_DEP_1) | instskip(NEXT) | instid1(VALU_DEP_1)
	v_readfirstlane_b32 s5, v1
	s_mul_i32 s6, s6, s5
	s_delay_alu instid0(SALU_CYCLE_1)
	s_mul_hi_u32 s4, s5, s6
	s_abs_i32 s6, s2
	s_add_i32 s5, s5, s4
	s_xor_b32 s2, s2, s28
	s_mul_hi_u32 s4, s6, s5
	s_ashr_i32 s2, s2, 31
	s_mul_i32 s5, s4, s3
	s_delay_alu instid0(SALU_CYCLE_1)
	s_sub_i32 s5, s6, s5
	s_add_i32 s6, s4, 1
	s_sub_i32 s7, s5, s3
	s_cmp_ge_u32 s5, s3
	s_cselect_b32 s4, s6, s4
	s_cselect_b32 s5, s7, s5
	s_add_i32 s6, s4, 1
	s_cmp_ge_u32 s5, s3
	s_cselect_b32 s3, s6, s4
	s_delay_alu instid0(SALU_CYCLE_1) | instskip(NEXT) | instid1(SALU_CYCLE_1)
	s_xor_b32 s3, s3, s2
	s_sub_i32 s30, s3, s2
	s_delay_alu instid0(SALU_CYCLE_1)
	s_cmp_lt_i32 s30, 0
	s_cbranch_scc1 .LBB18_20
; %bb.1:
	s_clause 0x3
	s_load_b256 s[4:11], s[0:1], 0x10
	s_load_b64 s[2:3], s[0:1], 0x30
	s_load_b256 s[16:23], s[0:1], 0x38
	s_load_b64 s[0:1], s[0:1], 0x58
	s_ashr_i32 s27, s15, 31
	s_lshr_b32 s33, s33, 16
	v_mov_b32_e32 v11, 0
	v_cvt_f32_u32_e32 v1, s33
	s_delay_alu instid0(VALU_DEP_1)
	v_rcp_iflag_f32_e32 v1, v1
	s_waitcnt lgkmcnt(0)
	s_ashr_i32 s35, s6, 31
	s_mov_b32 s34, s6
	s_mul_i32 s6, s15, s9
	s_mul_hi_u32 s9, s15, s8
	s_mul_i32 s37, s27, s8
	s_add_i32 s6, s9, s6
	s_mul_i32 s8, s15, s8
	s_add_i32 s9, s6, s37
	s_mul_i32 s17, s15, s17
	s_lshl_b64 s[8:9], s[8:9], 2
	s_mul_hi_u32 s38, s15, s16
	s_add_u32 s8, s4, s8
	s_addc_u32 s9, s5, s9
	s_lshl_b64 s[4:5], s[34:35], 2
	s_mul_i32 s6, s27, s16
	s_add_u32 s34, s8, s4
	s_addc_u32 s35, s9, s5
	s_add_i32 s4, s38, s17
	s_mul_i32 s16, s15, s16
	s_add_i32 s17, s4, s6
	s_mov_b32 s36, s2
	s_lshl_b64 s[4:5], s[16:17], 2
	s_ashr_i32 s37, s2, 31
	s_add_u32 s2, s10, s4
	s_addc_u32 s10, s11, s5
	s_lshl_b64 s[4:5], s[36:37], 2
	s_mul_i32 s21, s15, s21
	s_mul_hi_u32 s9, s15, s20
	s_add_u32 s2, s2, s4
	s_mul_i32 s6, s27, s20
	s_mul_i32 s8, s15, s20
	s_addc_u32 s20, s10, s5
	s_add_i32 s4, s9, s21
	s_mul_i32 s1, s15, s1
	s_add_i32 s9, s4, s6
	s_mul_hi_u32 s10, s15, s0
	s_lshl_b64 s[4:5], s[8:9], 2
	s_mul_i32 s27, s27, s0
	s_add_u32 s6, s18, s4
	s_addc_u32 s8, s19, s5
	s_add_i32 s1, s10, s1
	s_mul_i32 s0, s15, s0
	s_add_i32 s1, s1, s27
	s_waitcnt_depctr 0xfff
	v_mul_f32_e32 v1, 0x4f7ffffe, v1
	s_lshl_b64 s[0:1], s[0:1], 2
	s_delay_alu instid0(SALU_CYCLE_1)
	s_add_u32 s4, s22, s0
	s_addc_u32 s5, s23, s1
	s_sub_i32 s0, s26, s24
	s_not_b32 s9, s26
	s_add_i32 s17, s0, s25
	s_add_i32 s9, s9, s24
	s_mul_hi_i32 s1, s3, s17
	s_mul_i32 s0, s3, s17
	v_cvt_u32_f32_e32 v1, v1
	s_lshl_b64 s[0:1], s[0:1], 2
	s_mul_i32 s23, s13, s12
	s_add_u32 s10, s2, s0
	s_addc_u32 s11, s20, s1
	s_add_i32 s0, s26, 1
	s_delay_alu instid0(SALU_CYCLE_1) | instskip(SKIP_1) | instid1(SALU_CYCLE_1)
	s_mul_hi_i32 s1, s7, s0
	s_mul_i32 s0, s7, s0
	s_lshl_b64 s[0:1], s[0:1], 2
	s_delay_alu instid0(SALU_CYCLE_1) | instskip(SKIP_2) | instid1(SALU_CYCLE_1)
	s_add_u32 s15, s34, s0
	s_addc_u32 s16, s35, s1
	s_add_i32 s17, s17, 1
	s_mul_hi_i32 s1, s3, s17
	s_mul_i32 s0, s3, s17
	s_delay_alu instid0(SALU_CYCLE_1) | instskip(NEXT) | instid1(SALU_CYCLE_1)
	s_lshl_b64 s[0:1], s[0:1], 2
	s_add_u32 s17, s2, s0
	s_addc_u32 s18, s20, s1
	s_ashr_i32 s27, s26, 31
	v_readfirstlane_b32 s2, v1
	s_lshl_b64 s[0:1], s[26:27], 2
	s_delay_alu instid0(SALU_CYCLE_1)
	s_add_u32 s21, s10, s0
	s_addc_u32 s22, s11, s1
	s_add_u32 s4, s4, s0
	s_addc_u32 s5, s5, s1
	s_sub_i32 s0, 0, s33
	s_add_i32 s1, s9, -1
	s_mul_i32 s0, s0, s2
	s_abs_i32 s19, s1
	s_mul_hi_u32 s0, s2, s0
	s_ashr_i32 s1, s1, 31
	s_add_i32 s2, s2, s0
	s_delay_alu instid0(SALU_CYCLE_1) | instskip(NEXT) | instid1(SALU_CYCLE_1)
	s_mul_hi_u32 s0, s19, s2
	s_mul_i32 s2, s0, s33
	s_delay_alu instid0(SALU_CYCLE_1)
	s_sub_i32 s2, s19, s2
	s_add_i32 s19, s0, 1
	s_sub_i32 s20, s2, s33
	s_cmp_ge_u32 s2, s33
	s_cselect_b32 s0, s19, s0
	s_cselect_b32 s2, s20, s2
	s_add_i32 s19, s0, 1
	s_cmp_ge_u32 s2, s33
	v_cmp_gt_u16_e64 s20, s33, 1
	s_cselect_b32 s0, s19, s0
	s_abs_i32 s2, s29
	s_xor_b32 s0, s0, s1
	v_cvt_f32_u32_e32 v1, s2
	s_sub_i32 s24, 0, s2
	s_sub_i32 s1, s0, s1
	s_mul_i32 s19, s29, s33
	s_delay_alu instid0(VALU_DEP_1) | instskip(SKIP_2) | instid1(VALU_DEP_2)
	v_rcp_iflag_f32_e32 v2, v1
	v_and_b32_e32 v1, 0x3ff, v0
	v_bfe_u32 v0, v0, 10, 10
	v_lshl_add_u32 v12, v1, 2, 0
	s_waitcnt_depctr 0xfff
	v_mul_f32_e32 v2, 0x4f7ffffe, v2
	s_delay_alu instid0(VALU_DEP_1) | instskip(SKIP_2) | instid1(VALU_DEP_3)
	v_cvt_u32_f32_e32 v4, v2
	v_mad_u64_u32 v[2:3], null, s14, s33, v[0:1]
	v_mul_u32_u24_e32 v3, s12, v0
	v_readfirstlane_b32 s14, v4
	s_delay_alu instid0(VALU_DEP_2) | instskip(NEXT) | instid1(VALU_DEP_4)
	v_lshl_add_u32 v13, v3, 2, v12
	v_mul_lo_u32 v4, s7, v2
	s_delay_alu instid0(VALU_DEP_3)
	s_mul_i32 s24, s24, s14
	v_mul_lo_u32 v5, s3, v2
	s_mul_hi_u32 s0, s14, s24
	s_abs_i32 s24, s1
	s_add_i32 s14, s14, s0
	s_xor_b32 s1, s1, s29
	s_mul_hi_u32 s14, s24, s14
	s_ashr_i32 s27, s1, 31
	s_mul_i32 s25, s14, s2
	v_cmp_eq_u32_e64 s0, 0, v0
	s_sub_i32 s1, s24, s25
	s_add_i32 s24, s14, 1
	s_sub_i32 s25, s1, s2
	s_cmp_ge_u32 s1, s2
	v_add3_u32 v14, v1, v4, s23
	s_cselect_b32 s14, s24, s14
	s_cselect_b32 s1, s25, s1
	s_add_i32 s24, s14, 1
	s_cmp_ge_u32 s1, s2
	v_add3_u32 v15, v1, v5, s23
	s_cselect_b32 s1, s24, s14
	s_mul_i32 s24, s28, s12
	s_xor_b32 s2, s1, s27
	v_cmp_eq_u32_e64 s1, 0, v2
	s_sub_i32 s2, s2, s27
	s_mul_i32 s7, s19, s7
	s_cmp_gt_i32 s2, -1
	s_mul_i32 s25, s19, s3
	s_cselect_b32 s14, -1, 0
	s_add_u32 s21, s21, 4
	s_addc_u32 s22, s22, 0
	s_add_i32 s23, s2, 1
	s_branch .LBB18_3
.LBB18_2:                               ;   in Loop: Header=BB18_3 Depth=1
	s_or_b32 exec_lo, exec_lo, s2
	v_add_nc_u32_e32 v14, s24, v14
	v_add_nc_u32_e32 v15, s24, v15
	s_add_i32 s2, s31, 1
	s_cmp_eq_u32 s31, s30
	s_mov_b32 s31, s2
	s_cbranch_scc1 .LBB18_20
.LBB18_3:                               ; =>This Loop Header: Depth=1
                                        ;     Child Loop BB18_12 Depth 2
                                        ;     Child Loop BB18_9 Depth 2
	s_mul_i32 s2, s31, s28
	v_mov_b32_e32 v16, 0
	s_add_i32 s2, s2, s13
	s_delay_alu instid0(SALU_CYCLE_1) | instskip(NEXT) | instid1(VALU_DEP_1)
	v_mad_u64_u32 v[3:4], null, s2, s12, v[1:2]
	v_cmp_gt_i32_e64 s2, s26, v3
	v_ashrrev_i32_e32 v4, 31, v3
	s_delay_alu instid0(VALU_DEP_2) | instskip(NEXT) | instid1(SALU_CYCLE_1)
	s_and_b32 s27, s1, s2
	s_and_saveexec_b32 s3, s27
	s_cbranch_execz .LBB18_5
; %bb.4:                                ;   in Loop: Header=BB18_3 Depth=1
	s_delay_alu instid0(VALU_DEP_1) | instskip(NEXT) | instid1(VALU_DEP_1)
	v_lshlrev_b64 v[5:6], 2, v[3:4]
	v_add_co_u32 v5, vcc_lo, s10, v5
	s_delay_alu instid0(VALU_DEP_2)
	v_add_co_ci_u32_e32 v6, vcc_lo, s11, v6, vcc_lo
	global_load_b32 v16, v[5:6], off
.LBB18_5:                               ;   in Loop: Header=BB18_3 Depth=1
	s_or_b32 exec_lo, exec_lo, s3
	v_mov_b32_e32 v5, v2
	v_mov_b32_e32 v7, v15
	;; [unrolled: 1-line block ×3, first 2 shown]
	s_and_not1_b32 vcc_lo, exec_lo, s14
	s_mov_b32 s27, s23
	s_cbranch_vccz .LBB18_12
.LBB18_6:                               ;   in Loop: Header=BB18_3 Depth=1
	s_and_not1_b32 vcc_lo, exec_lo, s20
	s_mov_b32 s3, s33
	s_waitcnt vmcnt(0)
	ds_store_b32 v13, v16
	s_waitcnt lgkmcnt(0)
	s_waitcnt_vscnt null, 0x0
	s_barrier
	buffer_gl0_inv
	s_cbranch_vccnz .LBB18_18
	.p2align	6
; %bb.7:                                ;   in Loop: Header=BB18_3 Depth=1
	s_lshr_b32 s27, s3, 1
	s_mov_b32 s29, exec_lo
	v_cmpx_gt_u32_e64 s27, v0
	s_cbranch_execz .LBB18_9
.LBB18_8:                               ;   in Loop: Header=BB18_3 Depth=1
	v_add_nc_u32_e32 v5, s27, v0
	s_delay_alu instid0(VALU_DEP_1) | instskip(NEXT) | instid1(VALU_DEP_1)
	v_mul_u32_u24_e32 v5, s12, v5
	v_lshl_add_u32 v5, v5, 2, v12
	ds_load_b32 v5, v5
	s_waitcnt lgkmcnt(0)
	v_add_f32_e32 v16, v16, v5
	ds_store_b32 v13, v16
.LBB18_9:                               ;   Parent Loop BB18_3 Depth=1
                                        ; =>  This Inner Loop Header: Depth=2
	s_or_b32 exec_lo, exec_lo, s29
	s_cmp_lt_u32 s3, 4
	s_waitcnt lgkmcnt(0)
	s_barrier
	buffer_gl0_inv
	s_cbranch_scc1 .LBB18_18
; %bb.10:                               ;   in Loop: Header=BB18_9 Depth=2
	s_mov_b32 s3, s27
	s_delay_alu instid0(SALU_CYCLE_1)
	s_lshr_b32 s27, s3, 1
	s_mov_b32 s29, exec_lo
	v_cmpx_gt_u32_e64 s27, v0
	s_cbranch_execnz .LBB18_8
	s_branch .LBB18_9
.LBB18_11:                              ;   in Loop: Header=BB18_12 Depth=2
	s_or_b32 exec_lo, exec_lo, s3
	v_add_nc_u32_e32 v9, s7, v9
	v_add_nc_u32_e32 v7, s25, v7
	;; [unrolled: 1-line block ×3, first 2 shown]
	s_add_i32 s27, s27, -1
	s_delay_alu instid0(SALU_CYCLE_1)
	s_cmp_eq_u32 s27, 0
	s_cbranch_scc1 .LBB18_6
.LBB18_12:                              ;   Parent Loop BB18_3 Depth=1
                                        ; =>  This Inner Loop Header: Depth=2
	s_delay_alu instid0(VALU_DEP_1)
	v_cmp_gt_i32_e32 vcc_lo, s9, v5
	s_waitcnt vmcnt(0)
	v_dual_mov_b32 v18, 0 :: v_dual_mov_b32 v17, 0
	v_ashrrev_i32_e32 v6, 31, v5
	s_and_saveexec_b32 s29, vcc_lo
	s_cbranch_execnz .LBB18_15
; %bb.13:                               ;   in Loop: Header=BB18_12 Depth=2
	s_or_b32 exec_lo, exec_lo, s29
	s_and_saveexec_b32 s29, vcc_lo
	s_cbranch_execnz .LBB18_16
.LBB18_14:                              ;   in Loop: Header=BB18_12 Depth=2
	s_or_b32 exec_lo, exec_lo, s29
	s_and_b32 s29, s2, vcc_lo
	s_delay_alu instid0(SALU_CYCLE_1)
	s_and_saveexec_b32 s3, s29
	s_cbranch_execz .LBB18_11
	s_branch .LBB18_17
.LBB18_15:                              ;   in Loop: Header=BB18_12 Depth=2
	s_delay_alu instid0(VALU_DEP_1) | instskip(NEXT) | instid1(VALU_DEP_1)
	v_lshlrev_b64 v[19:20], 2, v[5:6]
	v_add_co_u32 v19, s3, s6, v19
	s_delay_alu instid0(VALU_DEP_1)
	v_add_co_ci_u32_e64 v20, s3, s8, v20, s3
	global_load_b32 v17, v[19:20], off
	s_or_b32 exec_lo, exec_lo, s29
	s_and_saveexec_b32 s29, vcc_lo
	s_cbranch_execz .LBB18_14
.LBB18_16:                              ;   in Loop: Header=BB18_12 Depth=2
	v_lshlrev_b64 v[18:19], 2, v[5:6]
	s_delay_alu instid0(VALU_DEP_1) | instskip(NEXT) | instid1(VALU_DEP_1)
	v_add_co_u32 v18, s3, s21, v18
	v_add_co_ci_u32_e64 v19, s3, s22, v19, s3
	global_load_b32 v18, v[18:19], off
	s_or_b32 exec_lo, exec_lo, s29
	s_and_b32 s29, s2, vcc_lo
	s_delay_alu instid0(SALU_CYCLE_1)
	s_and_saveexec_b32 s3, s29
	s_cbranch_execz .LBB18_11
.LBB18_17:                              ;   in Loop: Header=BB18_12 Depth=2
	v_ashrrev_i32_e32 v8, 31, v7
	v_ashrrev_i32_e32 v10, 31, v9
	s_delay_alu instid0(VALU_DEP_2) | instskip(NEXT) | instid1(VALU_DEP_2)
	v_lshlrev_b64 v[19:20], 2, v[7:8]
	v_lshlrev_b64 v[21:22], 2, v[9:10]
	s_delay_alu instid0(VALU_DEP_2) | instskip(NEXT) | instid1(VALU_DEP_3)
	v_add_co_u32 v19, vcc_lo, s17, v19
	v_add_co_ci_u32_e32 v20, vcc_lo, s18, v20, vcc_lo
	s_delay_alu instid0(VALU_DEP_3) | instskip(NEXT) | instid1(VALU_DEP_4)
	v_add_co_u32 v21, vcc_lo, s15, v21
	v_add_co_ci_u32_e32 v22, vcc_lo, s16, v22, vcc_lo
	global_load_b32 v6, v[19:20], off
	global_load_b32 v8, v[21:22], off
	s_waitcnt vmcnt(1)
	v_mul_f32_e32 v6, v18, v6
	s_waitcnt vmcnt(0)
	s_delay_alu instid0(VALU_DEP_1) | instskip(NEXT) | instid1(VALU_DEP_1)
	v_fmac_f32_e32 v6, v17, v8
	v_sub_f32_e32 v16, v16, v6
	s_branch .LBB18_11
.LBB18_18:                              ;   in Loop: Header=BB18_3 Depth=1
	s_and_b32 s3, s0, s2
	s_delay_alu instid0(SALU_CYCLE_1)
	s_and_saveexec_b32 s2, s3
	s_cbranch_execz .LBB18_2
; %bb.19:                               ;   in Loop: Header=BB18_3 Depth=1
	global_load_b32 v5, v11, s[4:5] offset:-4
	v_lshlrev_b64 v[3:4], 2, v[3:4]
	s_delay_alu instid0(VALU_DEP_1) | instskip(NEXT) | instid1(VALU_DEP_2)
	v_add_co_u32 v3, vcc_lo, s10, v3
	v_add_co_ci_u32_e32 v4, vcc_lo, s11, v4, vcc_lo
	s_waitcnt vmcnt(0)
	v_mul_f32_e32 v5, v16, v5
	global_store_b32 v[3:4], v5, off
	s_branch .LBB18_2
.LBB18_20:
	s_nop 0
	s_sendmsg sendmsg(MSG_DEALLOC_VGPRS)
	s_endpgm
	.section	.rodata,"a",@progbits
	.p2align	6, 0x0
	.amdhsa_kernel _ZN9rocsolver6v33100L26latrd_upper_updateW_kernelIfPfEEviiiT0_iilPT_iilS5_lS5_l
		.amdhsa_group_segment_fixed_size 0
		.amdhsa_private_segment_fixed_size 0
		.amdhsa_kernarg_size 352
		.amdhsa_user_sgpr_count 13
		.amdhsa_user_sgpr_dispatch_ptr 0
		.amdhsa_user_sgpr_queue_ptr 0
		.amdhsa_user_sgpr_kernarg_segment_ptr 1
		.amdhsa_user_sgpr_dispatch_id 0
		.amdhsa_user_sgpr_private_segment_size 0
		.amdhsa_wavefront_size32 1
		.amdhsa_uses_dynamic_stack 0
		.amdhsa_enable_private_segment 0
		.amdhsa_system_sgpr_workgroup_id_x 1
		.amdhsa_system_sgpr_workgroup_id_y 1
		.amdhsa_system_sgpr_workgroup_id_z 1
		.amdhsa_system_sgpr_workgroup_info 0
		.amdhsa_system_vgpr_workitem_id 1
		.amdhsa_next_free_vgpr 23
		.amdhsa_next_free_sgpr 39
		.amdhsa_reserve_vcc 1
		.amdhsa_float_round_mode_32 0
		.amdhsa_float_round_mode_16_64 0
		.amdhsa_float_denorm_mode_32 3
		.amdhsa_float_denorm_mode_16_64 3
		.amdhsa_dx10_clamp 1
		.amdhsa_ieee_mode 1
		.amdhsa_fp16_overflow 0
		.amdhsa_workgroup_processor_mode 1
		.amdhsa_memory_ordered 1
		.amdhsa_forward_progress 0
		.amdhsa_shared_vgpr_count 0
		.amdhsa_exception_fp_ieee_invalid_op 0
		.amdhsa_exception_fp_denorm_src 0
		.amdhsa_exception_fp_ieee_div_zero 0
		.amdhsa_exception_fp_ieee_overflow 0
		.amdhsa_exception_fp_ieee_underflow 0
		.amdhsa_exception_fp_ieee_inexact 0
		.amdhsa_exception_int_div_zero 0
	.end_amdhsa_kernel
	.section	.text._ZN9rocsolver6v33100L26latrd_upper_updateW_kernelIfPfEEviiiT0_iilPT_iilS5_lS5_l,"axG",@progbits,_ZN9rocsolver6v33100L26latrd_upper_updateW_kernelIfPfEEviiiT0_iilPT_iilS5_lS5_l,comdat
.Lfunc_end18:
	.size	_ZN9rocsolver6v33100L26latrd_upper_updateW_kernelIfPfEEviiiT0_iilPT_iilS5_lS5_l, .Lfunc_end18-_ZN9rocsolver6v33100L26latrd_upper_updateW_kernelIfPfEEviiiT0_iilPT_iilS5_lS5_l
                                        ; -- End function
	.section	.AMDGPU.csdata,"",@progbits
; Kernel info:
; codeLenInByte = 1776
; NumSgprs: 41
; NumVgprs: 23
; ScratchSize: 0
; MemoryBound: 0
; FloatMode: 240
; IeeeMode: 1
; LDSByteSize: 0 bytes/workgroup (compile time only)
; SGPRBlocks: 5
; VGPRBlocks: 2
; NumSGPRsForWavesPerEU: 41
; NumVGPRsForWavesPerEU: 23
; Occupancy: 16
; WaveLimiterHint : 0
; COMPUTE_PGM_RSRC2:SCRATCH_EN: 0
; COMPUTE_PGM_RSRC2:USER_SGPR: 13
; COMPUTE_PGM_RSRC2:TRAP_HANDLER: 0
; COMPUTE_PGM_RSRC2:TGID_X_EN: 1
; COMPUTE_PGM_RSRC2:TGID_Y_EN: 1
; COMPUTE_PGM_RSRC2:TGID_Z_EN: 1
; COMPUTE_PGM_RSRC2:TIDIG_COMP_CNT: 1
	.section	.text._ZN9rocsolver6v33100L11set_tridiagIffPfTnNSt9enable_ifIXnt18rocblas_is_complexIT_EEiE4typeELi0EEEv13rocblas_fill_iT1_iilPT0_lSA_l,"axG",@progbits,_ZN9rocsolver6v33100L11set_tridiagIffPfTnNSt9enable_ifIXnt18rocblas_is_complexIT_EEiE4typeELi0EEEv13rocblas_fill_iT1_iilPT0_lSA_l,comdat
	.globl	_ZN9rocsolver6v33100L11set_tridiagIffPfTnNSt9enable_ifIXnt18rocblas_is_complexIT_EEiE4typeELi0EEEv13rocblas_fill_iT1_iilPT0_lSA_l ; -- Begin function _ZN9rocsolver6v33100L11set_tridiagIffPfTnNSt9enable_ifIXnt18rocblas_is_complexIT_EEiE4typeELi0EEEv13rocblas_fill_iT1_iilPT0_lSA_l
	.p2align	8
	.type	_ZN9rocsolver6v33100L11set_tridiagIffPfTnNSt9enable_ifIXnt18rocblas_is_complexIT_EEiE4typeELi0EEEv13rocblas_fill_iT1_iilPT0_lSA_l,@function
_ZN9rocsolver6v33100L11set_tridiagIffPfTnNSt9enable_ifIXnt18rocblas_is_complexIT_EEiE4typeELi0EEEv13rocblas_fill_iT1_iilPT0_lSA_l: ; @_ZN9rocsolver6v33100L11set_tridiagIffPfTnNSt9enable_ifIXnt18rocblas_is_complexIT_EEiE4typeELi0EEEv13rocblas_fill_iT1_iilPT0_lSA_l
; %bb.0:
	s_clause 0x1
	s_load_b32 s4, s[0:1], 0x4c
	s_load_b64 s[2:3], s[0:1], 0x0
	s_waitcnt lgkmcnt(0)
	s_and_b32 s4, s4, 0xffff
	s_delay_alu instid0(SALU_CYCLE_1) | instskip(SKIP_1) | instid1(VALU_DEP_1)
	v_mad_u64_u32 v[2:3], null, s14, s4, v[0:1]
	s_mov_b32 s4, exec_lo
	v_cmpx_gt_i32_e64 s3, v2
	s_cbranch_execz .LBB19_7
; %bb.1:
	s_clause 0x1
	s_load_b128 s[16:19], s[0:1], 0x8
	s_load_b256 s[4:11], s[0:1], 0x18
	s_ashr_i32 s12, s15, 31
	s_waitcnt lgkmcnt(0)
	v_mad_u64_u32 v[0:1], null, v2, s19, v[2:3]
	s_mul_i32 s5, s15, s5
	s_mul_hi_u32 s13, s15, s4
	s_mul_i32 s14, s12, s4
	s_add_i32 s5, s13, s5
	s_mul_i32 s4, s15, s4
	s_add_i32 s5, s5, s14
	s_delay_alu instid0(VALU_DEP_1)
	v_ashrrev_i32_e32 v1, 31, v0
	s_lshl_b64 s[4:5], s[4:5], 2
	s_ashr_i32 s21, s18, 31
	s_mov_b32 s20, s18
	s_add_u32 s13, s16, s4
	v_lshlrev_b64 v[3:4], 2, v[0:1]
	s_addc_u32 s14, s17, s5
	s_lshl_b64 s[4:5], s[20:21], 2
	s_mul_i32 s9, s15, s9
	s_add_u32 s4, s13, s4
	s_addc_u32 s5, s14, s5
	v_add_co_u32 v3, vcc_lo, s4, v3
	v_add_co_ci_u32_e32 v4, vcc_lo, s5, v4, vcc_lo
	s_mul_hi_u32 s13, s15, s8
	s_delay_alu instid0(SALU_CYCLE_1)
	s_add_i32 s9, s13, s9
	global_load_b32 v1, v[3:4], off
	v_ashrrev_i32_e32 v3, 31, v2
	s_mul_i32 s13, s12, s8
	s_mul_i32 s8, s15, s8
	s_add_i32 s9, s9, s13
	s_delay_alu instid0(VALU_DEP_1) | instskip(SKIP_1) | instid1(SALU_CYCLE_1)
	v_lshlrev_b64 v[3:4], 2, v[2:3]
	s_lshl_b64 s[8:9], s[8:9], 2
	s_add_u32 s6, s6, s8
	s_addc_u32 s7, s7, s9
	s_add_i32 s3, s3, -1
	s_delay_alu instid0(VALU_DEP_1)
	v_add_co_u32 v5, vcc_lo, s6, v3
	v_add_co_ci_u32_e32 v6, vcc_lo, s7, v4, vcc_lo
	v_cmp_gt_i32_e32 vcc_lo, s3, v2
	s_mov_b32 s3, -1
	s_waitcnt vmcnt(0)
	global_store_b32 v[5:6], v1, off
	s_and_b32 exec_lo, exec_lo, vcc_lo
	s_cbranch_execz .LBB19_7
; %bb.2:
	s_load_b64 s[0:1], s[0:1], 0x38
	s_waitcnt lgkmcnt(0)
	s_mul_i32 s1, s15, s1
	s_mul_hi_u32 s6, s15, s0
	s_mul_i32 s7, s12, s0
	s_add_i32 s1, s6, s1
	s_mul_i32 s0, s15, s0
	s_add_i32 s1, s1, s7
	s_delay_alu instid0(SALU_CYCLE_1) | instskip(NEXT) | instid1(SALU_CYCLE_1)
	s_lshl_b64 s[0:1], s[0:1], 2
	s_add_u32 s0, s10, s0
	s_addc_u32 s1, s11, s1
	v_add_co_u32 v1, vcc_lo, s0, v3
	v_add_co_ci_u32_e32 v2, vcc_lo, s1, v4, vcc_lo
	s_cmpk_lg_i32 s2, 0x7a
	global_load_b32 v3, v[1:2], off
	s_cbranch_scc0 .LBB19_4
; %bb.3:
	v_add_nc_u32_e32 v1, s19, v0
	s_cbranch_execz .LBB19_5
	s_branch .LBB19_6
.LBB19_4:
                                        ; implicit-def: $vgpr1
	s_and_not1_b32 vcc_lo, exec_lo, s3
	s_cbranch_vccnz .LBB19_6
.LBB19_5:
	v_add_nc_u32_e32 v1, 1, v0
.LBB19_6:
	s_delay_alu instid0(VALU_DEP_1) | instskip(NEXT) | instid1(VALU_DEP_1)
	v_ashrrev_i32_e32 v2, 31, v1
	v_lshlrev_b64 v[0:1], 2, v[1:2]
	s_delay_alu instid0(VALU_DEP_1) | instskip(NEXT) | instid1(VALU_DEP_2)
	v_add_co_u32 v0, vcc_lo, s4, v0
	v_add_co_ci_u32_e32 v1, vcc_lo, s5, v1, vcc_lo
	s_waitcnt vmcnt(0)
	global_store_b32 v[0:1], v3, off
.LBB19_7:
	s_nop 0
	s_sendmsg sendmsg(MSG_DEALLOC_VGPRS)
	s_endpgm
	.section	.rodata,"a",@progbits
	.p2align	6, 0x0
	.amdhsa_kernel _ZN9rocsolver6v33100L11set_tridiagIffPfTnNSt9enable_ifIXnt18rocblas_is_complexIT_EEiE4typeELi0EEEv13rocblas_fill_iT1_iilPT0_lSA_l
		.amdhsa_group_segment_fixed_size 0
		.amdhsa_private_segment_fixed_size 0
		.amdhsa_kernarg_size 320
		.amdhsa_user_sgpr_count 14
		.amdhsa_user_sgpr_dispatch_ptr 0
		.amdhsa_user_sgpr_queue_ptr 0
		.amdhsa_user_sgpr_kernarg_segment_ptr 1
		.amdhsa_user_sgpr_dispatch_id 0
		.amdhsa_user_sgpr_private_segment_size 0
		.amdhsa_wavefront_size32 1
		.amdhsa_uses_dynamic_stack 0
		.amdhsa_enable_private_segment 0
		.amdhsa_system_sgpr_workgroup_id_x 1
		.amdhsa_system_sgpr_workgroup_id_y 1
		.amdhsa_system_sgpr_workgroup_id_z 0
		.amdhsa_system_sgpr_workgroup_info 0
		.amdhsa_system_vgpr_workitem_id 0
		.amdhsa_next_free_vgpr 7
		.amdhsa_next_free_sgpr 22
		.amdhsa_reserve_vcc 1
		.amdhsa_float_round_mode_32 0
		.amdhsa_float_round_mode_16_64 0
		.amdhsa_float_denorm_mode_32 3
		.amdhsa_float_denorm_mode_16_64 3
		.amdhsa_dx10_clamp 1
		.amdhsa_ieee_mode 1
		.amdhsa_fp16_overflow 0
		.amdhsa_workgroup_processor_mode 1
		.amdhsa_memory_ordered 1
		.amdhsa_forward_progress 0
		.amdhsa_shared_vgpr_count 0
		.amdhsa_exception_fp_ieee_invalid_op 0
		.amdhsa_exception_fp_denorm_src 0
		.amdhsa_exception_fp_ieee_div_zero 0
		.amdhsa_exception_fp_ieee_overflow 0
		.amdhsa_exception_fp_ieee_underflow 0
		.amdhsa_exception_fp_ieee_inexact 0
		.amdhsa_exception_int_div_zero 0
	.end_amdhsa_kernel
	.section	.text._ZN9rocsolver6v33100L11set_tridiagIffPfTnNSt9enable_ifIXnt18rocblas_is_complexIT_EEiE4typeELi0EEEv13rocblas_fill_iT1_iilPT0_lSA_l,"axG",@progbits,_ZN9rocsolver6v33100L11set_tridiagIffPfTnNSt9enable_ifIXnt18rocblas_is_complexIT_EEiE4typeELi0EEEv13rocblas_fill_iT1_iilPT0_lSA_l,comdat
.Lfunc_end19:
	.size	_ZN9rocsolver6v33100L11set_tridiagIffPfTnNSt9enable_ifIXnt18rocblas_is_complexIT_EEiE4typeELi0EEEv13rocblas_fill_iT1_iilPT0_lSA_l, .Lfunc_end19-_ZN9rocsolver6v33100L11set_tridiagIffPfTnNSt9enable_ifIXnt18rocblas_is_complexIT_EEiE4typeELi0EEEv13rocblas_fill_iT1_iilPT0_lSA_l
                                        ; -- End function
	.section	.AMDGPU.csdata,"",@progbits
; Kernel info:
; codeLenInByte = 452
; NumSgprs: 24
; NumVgprs: 7
; ScratchSize: 0
; MemoryBound: 0
; FloatMode: 240
; IeeeMode: 1
; LDSByteSize: 0 bytes/workgroup (compile time only)
; SGPRBlocks: 2
; VGPRBlocks: 0
; NumSGPRsForWavesPerEU: 24
; NumVGPRsForWavesPerEU: 7
; Occupancy: 16
; WaveLimiterHint : 0
; COMPUTE_PGM_RSRC2:SCRATCH_EN: 0
; COMPUTE_PGM_RSRC2:USER_SGPR: 14
; COMPUTE_PGM_RSRC2:TRAP_HANDLER: 0
; COMPUTE_PGM_RSRC2:TGID_X_EN: 1
; COMPUTE_PGM_RSRC2:TGID_Y_EN: 1
; COMPUTE_PGM_RSRC2:TGID_Z_EN: 0
; COMPUTE_PGM_RSRC2:TIDIG_COMP_CNT: 0
	.section	.text._ZN9rocsolver6v33100L12sterf_kernelIfEEviPT_lS3_lPiS4_iS2_S2_S2_,"axG",@progbits,_ZN9rocsolver6v33100L12sterf_kernelIfEEviPT_lS3_lPiS4_iS2_S2_S2_,comdat
	.globl	_ZN9rocsolver6v33100L12sterf_kernelIfEEviPT_lS3_lPiS4_iS2_S2_S2_ ; -- Begin function _ZN9rocsolver6v33100L12sterf_kernelIfEEviPT_lS3_lPiS4_iS2_S2_S2_
	.p2align	8
	.type	_ZN9rocsolver6v33100L12sterf_kernelIfEEviPT_lS3_lPiS4_iS2_S2_S2_,@function
_ZN9rocsolver6v33100L12sterf_kernelIfEEviPT_lS3_lPiS4_iS2_S2_S2_: ; @_ZN9rocsolver6v33100L12sterf_kernelIfEEviPT_lS3_lPiS4_iS2_S2_S2_
; %bb.0:
	s_mov_b32 s20, s15
	s_clause 0x2
	s_load_b256 s[8:15], s[0:1], 0x8
	s_load_b32 s33, s[0:1], 0x0
	s_load_b128 s[16:19], s[0:1], 0x38
	s_ashr_i32 s21, s20, 31
	s_waitcnt lgkmcnt(0)
	s_mul_i32 s3, s20, s11
	s_mul_hi_u32 s4, s20, s10
	s_mul_i32 s5, s21, s10
	s_add_i32 s3, s4, s3
	s_mul_i32 s2, s20, s10
	s_add_i32 s3, s3, s5
	s_mul_i32 s4, s20, s15
	s_lshl_b64 s[6:7], s[2:3], 2
	s_mul_hi_u32 s5, s20, s14
	s_add_u32 s46, s8, s6
	s_mul_i32 s3, s21, s14
	s_addc_u32 s47, s9, s7
	s_add_i32 s4, s5, s4
	s_mul_i32 s2, s20, s14
	s_add_i32 s3, s4, s3
	s_delay_alu instid0(SALU_CYCLE_1) | instskip(NEXT) | instid1(SALU_CYCLE_1)
	s_lshl_b64 s[2:3], s[2:3], 2
	s_add_u32 s10, s12, s2
	s_addc_u32 s11, s13, s3
	s_min_i32 s4, s33, s16
	s_delay_alu instid0(SALU_CYCLE_1)
	s_cmp_lt_i32 s4, 1
	s_cbranch_scc1 .LBB20_152
; %bb.1:
	s_add_i32 s48, s33, -1
	s_add_u32 s49, s10, -4
	s_addc_u32 s50, s11, -1
	s_add_u32 s51, s46, -4
	s_addc_u32 s52, s47, -1
	s_add_u32 s53, s12, s2
	s_addc_u32 s54, s13, s3
	s_add_u32 s55, s53, -4
	s_addc_u32 s56, s54, -1
	s_add_u32 s57, s8, s6
	s_addc_u32 s58, s9, s7
	v_mul_f32_e64 v0, s17, s17
	s_add_u32 s59, s57, 4
	v_mov_b32_e32 v1, 0
	s_addc_u32 s60, s58, 0
	s_add_u32 s61, s53, 4
	s_mov_b32 s12, 0x667f3bcd
	s_addc_u32 s62, s54, 0
	s_mov_b32 s13, 0x3ff6a09e
	s_mov_b32 s15, 0
	;; [unrolled: 1-line block ×4, first 2 shown]
	s_branch .LBB20_4
.LBB20_2:                               ;   in Loop: Header=BB20_4 Depth=1
	s_cmp_ge_i32 s35, s16
	s_cselect_b32 s2, -1, 0
	s_cmp_ge_i32 s63, s33
	s_cselect_b32 s3, -1, 0
	s_delay_alu instid0(SALU_CYCLE_1)
	s_or_b32 s2, s3, s2
.LBB20_3:                               ;   in Loop: Header=BB20_4 Depth=1
	s_delay_alu instid0(SALU_CYCLE_1)
	s_and_b32 vcc_lo, exec_lo, s2
	s_mov_b32 s64, s35
	s_cbranch_vccnz .LBB20_152
.LBB20_4:                               ; =>This Loop Header: Depth=1
                                        ;     Child Loop BB20_6 Depth 2
                                        ;       Child Loop BB20_12 Depth 3
                                        ;       Child Loop BB20_19 Depth 3
                                        ;     Child Loop BB20_36 Depth 2
                                        ;     Child Loop BB20_30 Depth 2
	;; [unrolled: 1-line block ×4, first 2 shown]
                                        ;       Child Loop BB20_51 Depth 3
                                        ;       Child Loop BB20_63 Depth 3
                                        ;     Child Loop BB20_97 Depth 2
                                        ;       Child Loop BB20_99 Depth 3
                                        ;       Child Loop BB20_112 Depth 3
                                        ;     Child Loop BB20_147 Depth 2
                                        ;     Child Loop BB20_151 Depth 2
	s_mov_b32 s26, s63
	s_branch .LBB20_6
.LBB20_5:                               ;   in Loop: Header=BB20_6 Depth=2
	s_and_not1_b32 vcc_lo, exec_lo, s27
	s_mov_b32 s26, s63
	s_cbranch_vccz .LBB20_25
.LBB20_6:                               ;   Parent Loop BB20_4 Depth=1
                                        ; =>  This Loop Header: Depth=2
                                        ;       Child Loop BB20_12 Depth 3
                                        ;       Child Loop BB20_19 Depth 3
	s_cmp_gt_i32 s26, 0
	s_mov_b32 s27, -1
                                        ; implicit-def: $sgpr4_sgpr5
	s_cbranch_scc1 .LBB20_8
; %bb.7:                                ;   in Loop: Header=BB20_6 Depth=2
	s_mov_b32 s27, 0
	s_delay_alu instid0(SALU_CYCLE_1)
	s_mov_b64 s[4:5], s[26:27]
.LBB20_8:                               ;   in Loop: Header=BB20_6 Depth=2
	s_and_not1_b32 vcc_lo, exec_lo, s27
	s_cbranch_vccnz .LBB20_10
; %bb.9:                                ;   in Loop: Header=BB20_6 Depth=2
	s_mov_b32 s27, s15
	s_delay_alu instid0(SALU_CYCLE_1)
	s_lshl_b64 s[2:3], s[26:27], 2
	s_mov_b64 s[4:5], s[26:27]
	s_add_u32 s2, s49, s2
	s_addc_u32 s3, s50, s3
	global_store_b32 v1, v1, s[2:3]
.LBB20_10:                              ;   in Loop: Header=BB20_6 Depth=2
	s_lshl_b64 s[22:23], s[4:5], 2
	s_mov_b32 s63, s26
	s_add_u32 s28, s55, s22
	s_addc_u32 s29, s56, s23
	s_add_u32 s24, s59, s22
	s_addc_u32 s25, s60, s23
	s_branch .LBB20_12
.LBB20_11:                              ;   in Loop: Header=BB20_12 Depth=3
	s_delay_alu instid0(VALU_DEP_1)
	s_and_not1_b32 vcc_lo, exec_lo, s30
	s_cbranch_vccz .LBB20_14
.LBB20_12:                              ;   Parent Loop BB20_4 Depth=1
                                        ;     Parent Loop BB20_6 Depth=2
                                        ; =>    This Inner Loop Header: Depth=3
	s_mov_b32 s14, s63
	s_mov_b32 s27, -1
	s_cmp_ge_i32 s63, s48
	s_mov_b32 s30, -1
                                        ; implicit-def: $sgpr63
                                        ; implicit-def: $sgpr2_sgpr3
	s_cbranch_scc1 .LBB20_11
; %bb.13:                               ;   in Loop: Header=BB20_12 Depth=3
	s_clause 0x1
	global_load_b64 v[2:3], v1, s[24:25] offset:-4
	global_load_b32 v4, v1, s[28:29] offset:4
	s_mov_b32 s27, 0
	s_waitcnt vmcnt(1)
	v_mul_f32_e64 v5, 0x4f800000, |v2|
	v_cmp_gt_f32_e64 vcc_lo, 0xf800000, |v2|
	v_mul_f32_e64 v6, 0x4f800000, |v3|
	v_cmp_gt_f32_e64 s2, 0xf800000, |v3|
	s_delay_alu instid0(VALU_DEP_3) | instskip(NEXT) | instid1(VALU_DEP_2)
	v_cndmask_b32_e64 v2, |v2|, v5, vcc_lo
	v_cndmask_b32_e64 v3, |v3|, v6, s2
	s_delay_alu instid0(VALU_DEP_2) | instskip(NEXT) | instid1(VALU_DEP_1)
	v_sqrt_f32_e32 v5, v2
	v_sqrt_f32_e32 v6, v3
	s_waitcnt_depctr 0xfff
	v_add_nc_u32_e32 v7, -1, v5
	v_add_nc_u32_e32 v9, 1, v5
	v_add_nc_u32_e32 v8, -1, v6
	v_add_nc_u32_e32 v10, 1, v6
	s_delay_alu instid0(VALU_DEP_4) | instskip(NEXT) | instid1(VALU_DEP_4)
	v_fma_f32 v11, -v7, v5, v2
	v_fma_f32 v13, -v9, v5, v2
	s_delay_alu instid0(VALU_DEP_4) | instskip(NEXT) | instid1(VALU_DEP_4)
	v_fma_f32 v12, -v8, v6, v3
	v_fma_f32 v14, -v10, v6, v3
	s_delay_alu instid0(VALU_DEP_4) | instskip(NEXT) | instid1(VALU_DEP_1)
	v_cmp_ge_f32_e64 s3, 0, v11
	v_cndmask_b32_e64 v5, v5, v7, s3
	s_delay_alu instid0(VALU_DEP_4) | instskip(NEXT) | instid1(VALU_DEP_1)
	v_cmp_ge_f32_e64 s3, 0, v12
	v_cndmask_b32_e64 v6, v6, v8, s3
	v_cmp_lt_f32_e64 s3, 0, v13
	s_delay_alu instid0(VALU_DEP_1) | instskip(SKIP_1) | instid1(VALU_DEP_2)
	v_cndmask_b32_e64 v5, v5, v9, s3
	v_cmp_lt_f32_e64 s3, 0, v14
	v_mul_f32_e32 v7, 0x37800000, v5
	s_delay_alu instid0(VALU_DEP_1) | instskip(NEXT) | instid1(VALU_DEP_3)
	v_cndmask_b32_e32 v5, v5, v7, vcc_lo
	v_cndmask_b32_e64 v6, v6, v10, s3
	v_cmp_class_f32_e64 vcc_lo, v2, 0x260
	s_delay_alu instid0(VALU_DEP_2) | instskip(NEXT) | instid1(VALU_DEP_4)
	v_mul_f32_e32 v8, 0x37800000, v6
	v_cndmask_b32_e32 v2, v5, v2, vcc_lo
	v_cmp_class_f32_e64 vcc_lo, v3, 0x260
	s_delay_alu instid0(VALU_DEP_3)
	v_cndmask_b32_e64 v6, v6, v8, s2
	s_add_u32 s2, s28, 4
	s_addc_u32 s3, s29, 0
	s_add_i32 s63, s14, 1
	s_add_u32 s24, s24, 4
	v_cndmask_b32_e32 v3, v6, v3, vcc_lo
	s_addc_u32 s25, s25, 0
	s_mov_b64 s[28:29], s[2:3]
	s_delay_alu instid0(VALU_DEP_1) | instskip(NEXT) | instid1(VALU_DEP_1)
	v_mul_f32_e32 v2, v2, v3
	v_mul_f32_e32 v2, s17, v2
	s_waitcnt vmcnt(0)
	s_delay_alu instid0(VALU_DEP_1)
	v_cmp_le_f32_e64 s30, |v4|, v2
	s_branch .LBB20_11
.LBB20_14:                              ;   in Loop: Header=BB20_6 Depth=2
	s_and_not1_b32 vcc_lo, exec_lo, s27
	s_mov_b32 s24, -1
	s_cbranch_vccnz .LBB20_21
; %bb.15:                               ;   in Loop: Header=BB20_6 Depth=2
	s_and_not1_b32 vcc_lo, exec_lo, s24
	s_cbranch_vccz .LBB20_22
.LBB20_16:                              ;   in Loop: Header=BB20_6 Depth=2
	s_cmp_lg_u32 s14, s26
	s_mov_b32 s27, -1
	s_cbranch_scc0 .LBB20_23
.LBB20_17:                              ;   in Loop: Header=BB20_6 Depth=2
	s_lshl_b64 s[2:3], s[14:15], 2
	s_delay_alu instid0(SALU_CYCLE_1)
	s_add_u32 s24, s46, s2
	s_addc_u32 s25, s47, s3
	s_cmp_lt_i32 s26, s14
	global_load_b32 v3, v1, s[24:25]
	s_cselect_b32 s30, -1, 0
	s_cmp_ge_i32 s26, s14
	s_waitcnt vmcnt(0)
	v_and_b32_e32 v2, 0x7fffffff, v3
	s_cbranch_scc1 .LBB20_20
; %bb.18:                               ;   in Loop: Header=BB20_6 Depth=2
	s_add_u32 s2, s57, s22
	s_addc_u32 s3, s58, s23
	s_add_u32 s28, s53, s22
	s_addc_u32 s29, s54, s23
	s_mov_b32 s31, s26
.LBB20_19:                              ;   Parent Loop BB20_4 Depth=1
                                        ;     Parent Loop BB20_6 Depth=2
                                        ; =>    This Inner Loop Header: Depth=3
	s_clause 0x1
	global_load_b32 v4, v1, s[2:3]
	global_load_b32 v5, v1, s[28:29]
	s_add_i32 s31, s31, 1
	s_add_u32 s2, s2, 4
	s_addc_u32 s3, s3, 0
	s_add_u32 s28, s28, 4
	s_addc_u32 s29, s29, 0
	s_cmp_lt_i32 s31, s14
	s_waitcnt vmcnt(0)
	v_max3_f32 v2, v2, |v4|, |v5|
	s_cbranch_scc1 .LBB20_19
.LBB20_20:                              ;   in Loop: Header=BB20_6 Depth=2
	s_delay_alu instid0(VALU_DEP_1) | instskip(SKIP_1) | instid1(VALU_DEP_1)
	v_cmp_eq_f32_e64 s3, 0, v2
	s_mov_b32 s2, -1
	s_and_b32 vcc_lo, exec_lo, s3
	s_mov_b32 s65, s26
	s_cbranch_vccz .LBB20_5
	s_branch .LBB20_24
.LBB20_21:                              ;   in Loop: Header=BB20_6 Depth=2
	global_store_b32 v1, v1, s[2:3]
	s_cbranch_execnz .LBB20_16
.LBB20_22:                              ;   in Loop: Header=BB20_6 Depth=2
	s_max_i32 s14, s26, s48
	s_delay_alu instid0(SALU_CYCLE_1)
	s_add_i32 s63, s14, 1
	s_cmp_lg_u32 s14, s26
	s_mov_b32 s27, -1
	s_cbranch_scc1 .LBB20_17
.LBB20_23:                              ;   in Loop: Header=BB20_6 Depth=2
                                        ; implicit-def: $sgpr2
                                        ; implicit-def: $sgpr24_sgpr25
                                        ; implicit-def: $vgpr3
                                        ; implicit-def: $sgpr30
                                        ; implicit-def: $vgpr2
	s_mov_b32 s65, s26
	s_cbranch_execz .LBB20_5
.LBB20_24:                              ;   in Loop: Header=BB20_6 Depth=2
	s_cmp_ge_i32 s63, s33
	s_mov_b32 s2, 0
	s_cselect_b32 s27, -1, 0
	s_mov_b32 s65, s26
	s_branch .LBB20_5
.LBB20_25:                              ;   in Loop: Header=BB20_4 Depth=1
	s_and_b32 vcc_lo, exec_lo, s2
	s_mov_b32 s2, -1
                                        ; implicit-def: $sgpr35
	s_cbranch_vccz .LBB20_3
; %bb.26:                               ;   in Loop: Header=BB20_4 Depth=1
	v_cmp_nlt_f32_e32 vcc_lo, s19, v2
	s_cbranch_vccz .LBB20_32
; %bb.27:                               ;   in Loop: Header=BB20_4 Depth=1
	v_cmp_gt_f32_e32 vcc_lo, s18, v2
	s_cbranch_vccz .LBB20_33
; %bb.28:                               ;   in Loop: Header=BB20_4 Depth=1
	v_div_scale_f32 v4, null, s18, s18, v2
	v_div_scale_f32 v7, vcc_lo, v2, s18, v2
	s_mov_b32 s2, 0
	s_delay_alu instid0(VALU_DEP_2) | instskip(SKIP_2) | instid1(VALU_DEP_1)
	v_rcp_f32_e32 v5, v4
	s_waitcnt_depctr 0xfff
	v_fma_f32 v6, -v4, v5, 1.0
	v_fmac_f32_e32 v5, v6, v5
	s_delay_alu instid0(VALU_DEP_1) | instskip(NEXT) | instid1(VALU_DEP_1)
	v_mul_f32_e32 v6, v7, v5
	v_fma_f32 v8, -v4, v6, v7
	s_delay_alu instid0(VALU_DEP_1) | instskip(NEXT) | instid1(VALU_DEP_1)
	v_fmac_f32_e32 v6, v8, v5
	v_fma_f32 v4, -v4, v6, v7
	s_delay_alu instid0(VALU_DEP_1) | instskip(SKIP_1) | instid1(VALU_DEP_1)
	v_div_fmas_f32 v4, v4, v5, v6
	s_and_b32 vcc_lo, exec_lo, s30
	v_div_fixup_f32 v4, v4, s18, v2
	s_waitcnt vmcnt(0)
	s_delay_alu instid0(VALU_DEP_1)
	v_mul_f32_e32 v5, v3, v4
	global_store_b32 v1, v5, s[24:25]
	s_cbranch_vccz .LBB20_33
; %bb.29:                               ;   in Loop: Header=BB20_4 Depth=1
	s_add_u32 s2, s57, s22
	s_addc_u32 s3, s58, s23
	s_add_u32 s26, s53, s22
	s_addc_u32 s27, s54, s23
	s_mov_b32 s28, s65
	.p2align	6
.LBB20_30:                              ;   Parent Loop BB20_4 Depth=1
                                        ; =>  This Inner Loop Header: Depth=2
	global_load_b32 v5, v1, s[2:3]
	s_add_i32 s28, s28, 1
	s_waitcnt vmcnt(0)
	v_mul_f32_e32 v5, v4, v5
	global_store_b32 v1, v5, s[2:3]
	global_load_b32 v5, v1, s[26:27]
	s_add_u32 s2, s2, 4
	s_addc_u32 s3, s3, 0
	s_waitcnt vmcnt(0)
	v_mul_f32_e32 v5, v4, v5
	global_store_b32 v1, v5, s[26:27]
	s_add_u32 s26, s26, 4
	s_addc_u32 s27, s27, 0
	s_cmp_lt_i32 s28, s14
	s_cbranch_scc1 .LBB20_30
; %bb.31:                               ;   in Loop: Header=BB20_4 Depth=1
	s_mov_b32 s2, -1
	s_branch .LBB20_38
.LBB20_32:                              ;   in Loop: Header=BB20_4 Depth=1
	s_mov_b32 s2, 0
	s_cbranch_execnz .LBB20_34
	s_branch .LBB20_38
.LBB20_33:                              ;   in Loop: Header=BB20_4 Depth=1
	s_branch .LBB20_38
.LBB20_34:                              ;   in Loop: Header=BB20_4 Depth=1
	v_div_scale_f32 v4, null, s19, s19, v2
	v_div_scale_f32 v7, vcc_lo, v2, s19, v2
	s_delay_alu instid0(VALU_DEP_2) | instskip(SKIP_2) | instid1(VALU_DEP_1)
	v_rcp_f32_e32 v5, v4
	s_waitcnt_depctr 0xfff
	v_fma_f32 v6, -v4, v5, 1.0
	v_fmac_f32_e32 v5, v6, v5
	s_delay_alu instid0(VALU_DEP_1) | instskip(NEXT) | instid1(VALU_DEP_1)
	v_mul_f32_e32 v6, v7, v5
	v_fma_f32 v8, -v4, v6, v7
	s_delay_alu instid0(VALU_DEP_1) | instskip(NEXT) | instid1(VALU_DEP_1)
	v_fmac_f32_e32 v6, v8, v5
	v_fma_f32 v4, -v4, v6, v7
	s_delay_alu instid0(VALU_DEP_1) | instskip(SKIP_1) | instid1(VALU_DEP_1)
	v_div_fmas_f32 v4, v4, v5, v6
	s_and_b32 vcc_lo, exec_lo, s30
	v_div_fixup_f32 v4, v4, s19, v2
	s_waitcnt vmcnt(0)
	s_delay_alu instid0(VALU_DEP_1)
	v_mul_f32_e32 v3, v3, v4
	global_store_b32 v1, v3, s[24:25]
	s_cbranch_vccz .LBB20_38
; %bb.35:                               ;   in Loop: Header=BB20_4 Depth=1
	s_add_u32 s2, s57, s22
	s_addc_u32 s3, s58, s23
	s_add_u32 s26, s53, s22
	s_addc_u32 s27, s54, s23
	s_mov_b32 s28, s65
	.p2align	6
.LBB20_36:                              ;   Parent Loop BB20_4 Depth=1
                                        ; =>  This Inner Loop Header: Depth=2
	global_load_b32 v3, v1, s[2:3]
	s_add_i32 s28, s28, 1
	s_waitcnt vmcnt(0)
	v_mul_f32_e32 v3, v4, v3
	global_store_b32 v1, v3, s[2:3]
	global_load_b32 v3, v1, s[26:27]
	s_add_u32 s2, s2, 4
	s_addc_u32 s3, s3, 0
	s_waitcnt vmcnt(0)
	v_mul_f32_e32 v3, v4, v3
	global_store_b32 v1, v3, s[26:27]
	s_add_u32 s26, s26, 4
	s_addc_u32 s27, s27, 0
	s_cmp_ge_i32 s28, s14
	s_cbranch_scc0 .LBB20_36
; %bb.37:                               ;   in Loop: Header=BB20_4 Depth=1
	s_mov_b32 s2, -1
.LBB20_38:                              ;   in Loop: Header=BB20_4 Depth=1
	s_waitcnt vmcnt(0)
	v_cndmask_b32_e64 v3, 0, 1, s30
	s_and_b32 vcc_lo, exec_lo, s2
	s_delay_alu instid0(VALU_DEP_1)
	v_cmp_ne_u32_e64 s2, 1, v3
	s_cbranch_vccz .LBB20_42
; %bb.39:                               ;   in Loop: Header=BB20_4 Depth=1
	s_delay_alu instid0(VALU_DEP_1)
	s_and_b32 vcc_lo, exec_lo, s2
	s_cbranch_vccnz .LBB20_42
; %bb.40:                               ;   in Loop: Header=BB20_4 Depth=1
	s_add_u32 s26, s53, s22
	s_addc_u32 s27, s54, s23
	s_mov_b32 s3, s65
.LBB20_41:                              ;   Parent Loop BB20_4 Depth=1
                                        ; =>  This Inner Loop Header: Depth=2
	global_load_b32 v3, v1, s[26:27]
	s_add_i32 s3, s3, 1
	s_waitcnt vmcnt(0)
	v_mul_f32_e32 v3, v3, v3
	global_store_b32 v1, v3, s[26:27]
	s_add_u32 s26, s26, 4
	s_addc_u32 s27, s27, 0
	s_cmp_lt_i32 s3, s14
	s_cbranch_scc1 .LBB20_41
.LBB20_42:                              ;   in Loop: Header=BB20_4 Depth=1
	s_lshl_b64 s[4:5], s[4:5], 2
                                        ; implicit-def: $sgpr35
	s_delay_alu instid0(SALU_CYCLE_1)
	s_add_u32 s4, s46, s4
	s_addc_u32 s5, s47, s5
	s_clause 0x1
	global_load_b32 v3, v1, s[24:25]
	global_load_b32 v4, v1, s[4:5]
	s_mov_b32 s4, -1
	s_waitcnt vmcnt(0)
	v_cmp_lt_f32_e64 s3, |v3|, |v4|
	s_delay_alu instid0(VALU_DEP_1)
	s_and_b32 s3, s3, exec_lo
	s_cselect_b32 s66, s65, s14
	s_cselect_b32 s26, s14, s65
	s_cmp_lt_i32 s64, s16
	s_cselect_b32 s3, -1, 0
	s_cmp_lt_i32 s66, s26
	v_cndmask_b32_e64 v3, 0, 1, s3
	s_delay_alu instid0(VALU_DEP_1)
	v_cmp_ne_u32_e64 s3, 1, v3
	s_cbranch_scc0 .LBB20_45
; %bb.43:                               ;   in Loop: Header=BB20_4 Depth=1
	s_and_not1_b32 vcc_lo, exec_lo, s4
	s_cbranch_vccz .LBB20_47
.LBB20_44:                              ;   in Loop: Header=BB20_4 Depth=1
	v_cmp_lt_f32_e32 vcc_lo, s19, v2
	s_and_not1_b32 vcc_lo, exec_lo, vcc_lo
	s_cbranch_vccz .LBB20_145
	s_branch .LBB20_148
.LBB20_45:                              ;   in Loop: Header=BB20_4 Depth=1
	s_delay_alu instid0(VALU_DEP_1)
	s_and_b32 vcc_lo, exec_lo, s3
	s_mov_b32 s35, s64
	s_mov_b32 s28, s26
	;; [unrolled: 1-line block ×3, first 2 shown]
	s_cbranch_vccz .LBB20_49
.LBB20_46:                              ;   in Loop: Header=BB20_4 Depth=1
	s_cbranch_execnz .LBB20_44
.LBB20_47:                              ;   in Loop: Header=BB20_4 Depth=1
	s_delay_alu instid0(VALU_DEP_1)
	s_and_b32 vcc_lo, exec_lo, s3
	s_cbranch_vccz .LBB20_97
	s_branch .LBB20_144
.LBB20_48:                              ;   in Loop: Header=BB20_49 Depth=2
	s_and_not1_b32 vcc_lo, exec_lo, s29
	s_mov_b32 s28, s4
	s_cbranch_vccz .LBB20_46
.LBB20_49:                              ;   Parent Loop BB20_4 Depth=1
                                        ; =>  This Loop Header: Depth=2
                                        ;       Child Loop BB20_51 Depth 3
                                        ;       Child Loop BB20_63 Depth 3
	s_mov_b32 s29, s15
	s_max_i32 s34, s66, s28
	s_lshl_b64 s[36:37], s[28:29], 2
	s_mov_b32 s40, s28
	s_add_u32 s30, s55, s36
	s_addc_u32 s31, s56, s37
	s_add_u32 s4, s59, s36
	s_addc_u32 s5, s60, s37
	s_branch .LBB20_51
	.p2align	6
.LBB20_50:                              ;   in Loop: Header=BB20_51 Depth=3
	s_delay_alu instid0(VALU_DEP_1)
	s_and_not1_b32 vcc_lo, exec_lo, s41
	s_cbranch_vccz .LBB20_53
.LBB20_51:                              ;   Parent Loop BB20_4 Depth=1
                                        ;     Parent Loop BB20_49 Depth=2
                                        ; =>    This Inner Loop Header: Depth=3
	s_mov_b32 s29, s40
	s_mov_b32 s35, -1
	s_cmp_ge_i32 s40, s66
	s_mov_b32 s41, -1
                                        ; implicit-def: $sgpr40
                                        ; implicit-def: $sgpr38_sgpr39
	s_cbranch_scc1 .LBB20_50
; %bb.52:                               ;   in Loop: Header=BB20_51 Depth=3
	s_clause 0x1
	global_load_b64 v[3:4], v1, s[4:5] offset:-4
	global_load_b32 v5, v1, s[30:31] offset:4
	s_add_u32 s38, s30, 4
	s_addc_u32 s39, s31, 0
	s_add_i32 s40, s29, 1
	s_add_u32 s4, s4, 4
	s_addc_u32 s5, s5, 0
	s_mov_b32 s35, 0
	s_mov_b64 s[30:31], s[38:39]
	s_waitcnt vmcnt(1)
	v_mul_f32_e32 v3, v3, v4
	s_delay_alu instid0(VALU_DEP_1) | instskip(SKIP_1) | instid1(VALU_DEP_1)
	v_mul_f32_e64 v3, v0, |v3|
	s_waitcnt vmcnt(0)
	v_cmp_le_f32_e64 s41, |v5|, v3
	s_branch .LBB20_50
.LBB20_53:                              ;   in Loop: Header=BB20_49 Depth=2
	s_and_not1_b32 vcc_lo, exec_lo, s35
	s_cbranch_vccz .LBB20_55
; %bb.54:                               ;   in Loop: Header=BB20_49 Depth=2
	s_mov_b32 s34, s29
	global_store_b32 v1, v1, s[38:39]
.LBB20_55:                              ;   in Loop: Header=BB20_49 Depth=2
	s_add_i32 s4, s28, 1
	s_cmp_eq_u32 s34, s28
	s_mov_b32 s29, -1
	s_cbranch_scc1 .LBB20_71
; %bb.56:                               ;   in Loop: Header=BB20_49 Depth=2
	s_add_u32 s30, s46, s36
	s_addc_u32 s31, s47, s37
	s_cmp_lg_u32 s34, s4
	global_load_b32 v3, v1, s[30:31]
	s_cbranch_scc0 .LBB20_72
; %bb.57:                               ;   in Loop: Header=BB20_49 Depth=2
	s_mov_b32 s67, 0
	s_cmp_lg_u32 s27, s16
	s_mov_b32 s5, 0
                                        ; implicit-def: $sgpr40
	s_cbranch_scc0 .LBB20_76
; %bb.58:                               ;   in Loop: Header=BB20_49 Depth=2
	s_add_u32 s38, s10, s36
	s_addc_u32 s39, s11, s37
	s_mov_b32 s35, s15
	global_load_b32 v4, v1, s[38:39]
	s_lshl_b64 s[4:5], s[34:35], 2
	s_delay_alu instid0(SALU_CYCLE_1)
	s_add_u32 s4, s46, s4
	s_addc_u32 s5, s47, s5
	s_clause 0x1
	global_load_b32 v5, v1, s[4:5]
	global_load_b32 v6, v1, s[30:31] offset:4
	s_cmp_le_i32 s34, s28
	s_waitcnt vmcnt(2)
	v_mul_f32_e32 v7, 0x4f800000, v4
	v_cmp_gt_f32_e32 vcc_lo, 0xf800000, v4
	s_waitcnt vmcnt(0)
	v_sub_f32_e32 v6, v6, v3
	s_delay_alu instid0(VALU_DEP_3) | instskip(NEXT) | instid1(VALU_DEP_1)
	v_cndmask_b32_e32 v4, v4, v7, vcc_lo
	v_sqrt_f32_e32 v7, v4
	s_waitcnt_depctr 0xfff
	v_add_nc_u32_e32 v8, -1, v7
	v_add_nc_u32_e32 v9, 1, v7
	s_delay_alu instid0(VALU_DEP_2) | instskip(NEXT) | instid1(VALU_DEP_2)
	v_fma_f32 v10, -v8, v7, v4
	v_fma_f32 v11, -v9, v7, v4
	s_delay_alu instid0(VALU_DEP_2) | instskip(NEXT) | instid1(VALU_DEP_1)
	v_cmp_ge_f32_e64 s4, 0, v10
	v_cndmask_b32_e64 v7, v7, v8, s4
	s_delay_alu instid0(VALU_DEP_3) | instskip(NEXT) | instid1(VALU_DEP_1)
	v_cmp_lt_f32_e64 s4, 0, v11
	v_cndmask_b32_e64 v7, v7, v9, s4
	s_delay_alu instid0(VALU_DEP_1) | instskip(NEXT) | instid1(VALU_DEP_1)
	v_mul_f32_e32 v8, 0x37800000, v7
	v_cndmask_b32_e32 v7, v7, v8, vcc_lo
	v_cmp_class_f32_e64 vcc_lo, v4, 0x260
	s_delay_alu instid0(VALU_DEP_2) | instskip(NEXT) | instid1(VALU_DEP_1)
	v_cndmask_b32_e32 v4, v7, v4, vcc_lo
	v_add_f32_e32 v7, v4, v4
	s_delay_alu instid0(VALU_DEP_1) | instskip(SKIP_1) | instid1(VALU_DEP_2)
	v_div_scale_f32 v8, null, v7, v7, v6
	v_div_scale_f32 v11, vcc_lo, v6, v7, v6
	v_rcp_f32_e32 v9, v8
	s_waitcnt_depctr 0xfff
	v_fma_f32 v10, -v8, v9, 1.0
	s_delay_alu instid0(VALU_DEP_1) | instskip(NEXT) | instid1(VALU_DEP_1)
	v_fmac_f32_e32 v9, v10, v9
	v_mul_f32_e32 v10, v11, v9
	s_delay_alu instid0(VALU_DEP_1) | instskip(NEXT) | instid1(VALU_DEP_1)
	v_fma_f32 v12, -v8, v10, v11
	v_fmac_f32_e32 v10, v12, v9
	s_delay_alu instid0(VALU_DEP_1) | instskip(NEXT) | instid1(VALU_DEP_1)
	v_fma_f32 v8, -v8, v10, v11
	v_div_fmas_f32 v8, v8, v9, v10
	s_delay_alu instid0(VALU_DEP_1) | instskip(NEXT) | instid1(VALU_DEP_1)
	v_div_fixup_f32 v6, v8, v7, v6
	v_fma_f32 v7, v6, v6, 1.0
	s_delay_alu instid0(VALU_DEP_1) | instskip(SKIP_1) | instid1(VALU_DEP_2)
	v_mul_f32_e32 v8, 0x4f800000, v7
	v_cmp_gt_f32_e32 vcc_lo, 0xf800000, v7
	v_cndmask_b32_e32 v7, v7, v8, vcc_lo
	s_delay_alu instid0(VALU_DEP_1) | instskip(SKIP_3) | instid1(VALU_DEP_2)
	v_sqrt_f32_e32 v8, v7
	s_waitcnt_depctr 0xfff
	v_add_nc_u32_e32 v9, -1, v8
	v_add_nc_u32_e32 v10, 1, v8
	v_fma_f32 v11, -v9, v8, v7
	s_delay_alu instid0(VALU_DEP_2) | instskip(NEXT) | instid1(VALU_DEP_2)
	v_fma_f32 v12, -v10, v8, v7
	v_cmp_ge_f32_e64 s4, 0, v11
	s_delay_alu instid0(VALU_DEP_1) | instskip(NEXT) | instid1(VALU_DEP_3)
	v_cndmask_b32_e64 v8, v8, v9, s4
	v_cmp_lt_f32_e64 s4, 0, v12
	s_delay_alu instid0(VALU_DEP_1) | instskip(NEXT) | instid1(VALU_DEP_1)
	v_cndmask_b32_e64 v8, v8, v10, s4
	v_mul_f32_e32 v9, 0x37800000, v8
	s_delay_alu instid0(VALU_DEP_1) | instskip(SKIP_1) | instid1(VALU_DEP_2)
	v_cndmask_b32_e32 v8, v8, v9, vcc_lo
	v_cmp_class_f32_e64 vcc_lo, v7, 0x260
	v_cndmask_b32_e32 v7, v8, v7, vcc_lo
	v_cmp_nle_f32_e32 vcc_lo, 0, v6
	s_delay_alu instid0(VALU_DEP_2) | instskip(NEXT) | instid1(VALU_DEP_1)
	v_cndmask_b32_e64 v7, |v7|, -|v7|, vcc_lo
	v_add_f32_e32 v6, v6, v7
	s_delay_alu instid0(VALU_DEP_1) | instskip(SKIP_1) | instid1(VALU_DEP_2)
	v_div_scale_f32 v7, null, v6, v6, v4
	v_div_scale_f32 v10, vcc_lo, v4, v6, v4
	v_rcp_f32_e32 v8, v7
	s_waitcnt_depctr 0xfff
	v_fma_f32 v9, -v7, v8, 1.0
	s_delay_alu instid0(VALU_DEP_1) | instskip(NEXT) | instid1(VALU_DEP_1)
	v_fmac_f32_e32 v8, v9, v8
	v_mul_f32_e32 v9, v10, v8
	s_delay_alu instid0(VALU_DEP_1) | instskip(NEXT) | instid1(VALU_DEP_1)
	v_fma_f32 v11, -v7, v9, v10
	v_fmac_f32_e32 v9, v11, v8
	s_delay_alu instid0(VALU_DEP_1) | instskip(NEXT) | instid1(VALU_DEP_1)
	v_fma_f32 v7, -v7, v9, v10
	v_div_fmas_f32 v7, v7, v8, v9
	s_delay_alu instid0(VALU_DEP_1) | instskip(SKIP_1) | instid1(VALU_DEP_2)
	v_div_fixup_f32 v4, v7, v6, v4
	v_mov_b32_e32 v6, 0
	v_sub_f32_e32 v4, v3, v4
	s_delay_alu instid0(VALU_DEP_1) | instskip(NEXT) | instid1(VALU_DEP_1)
	v_sub_f32_e32 v7, v5, v4
	v_mul_f32_e32 v8, v7, v7
	s_cbranch_scc1 .LBB20_75
; %bb.59:                               ;   in Loop: Header=BB20_49 Depth=2
	s_ashr_i32 s35, s34, 31
	s_delay_alu instid0(SALU_CYCLE_1) | instskip(NEXT) | instid1(SALU_CYCLE_1)
	s_lshl_b64 s[40:41], s[34:35], 2
	s_add_u32 s4, s49, s40
	s_addc_u32 s5, s50, s41
	global_load_b32 v5, v1, s[4:5]
	s_add_u32 s4, s51, s40
	s_addc_u32 s5, s52, s41
	global_load_b32 v10, v1, s[4:5]
	s_waitcnt vmcnt(1)
	v_add_f32_e32 v9, v8, v5
	s_delay_alu instid0(VALU_DEP_1) | instskip(NEXT) | instid1(VALU_DEP_1)
	v_div_scale_f32 v6, null, v9, v9, v8
	v_rcp_f32_e32 v12, v6
	s_waitcnt_depctr 0xfff
	v_fma_f32 v14, -v6, v12, 1.0
	s_delay_alu instid0(VALU_DEP_1) | instskip(SKIP_3) | instid1(VALU_DEP_3)
	v_fmac_f32_e32 v12, v14, v12
	v_div_scale_f32 v11, null, v9, v9, v5
	v_div_scale_f32 v16, vcc_lo, v8, v9, v8
	v_div_scale_f32 v14, s4, v5, v9, v5
	v_rcp_f32_e32 v13, v11
	s_waitcnt_depctr 0xfff
	v_fma_f32 v15, -v11, v13, 1.0
	s_delay_alu instid0(VALU_DEP_1) | instskip(SKIP_1) | instid1(VALU_DEP_2)
	v_fmac_f32_e32 v13, v15, v13
	v_mul_f32_e32 v15, v16, v12
	v_mul_f32_e32 v17, v14, v13
	s_delay_alu instid0(VALU_DEP_2) | instskip(NEXT) | instid1(VALU_DEP_2)
	v_fma_f32 v18, -v6, v15, v16
	v_fma_f32 v19, -v11, v17, v14
	s_delay_alu instid0(VALU_DEP_2) | instskip(NEXT) | instid1(VALU_DEP_2)
	v_fmac_f32_e32 v15, v18, v12
	v_fmac_f32_e32 v17, v19, v13
	s_delay_alu instid0(VALU_DEP_2) | instskip(NEXT) | instid1(VALU_DEP_2)
	v_fma_f32 v6, -v6, v15, v16
	v_fma_f32 v11, -v11, v17, v14
	s_delay_alu instid0(VALU_DEP_2)
	v_div_fmas_f32 v12, v6, v12, v15
	s_mov_b32 vcc_lo, s4
	s_add_u32 s4, s46, s40
	s_addc_u32 s5, s47, s41
	v_div_fmas_f32 v6, v11, v13, v17
	s_waitcnt vmcnt(0)
	v_sub_f32_e32 v11, v10, v4
	v_div_fixup_f32 v8, v12, v9, v8
	s_delay_alu instid0(VALU_DEP_3) | instskip(NEXT) | instid1(VALU_DEP_2)
	v_div_fixup_f32 v6, v6, v9, v5
	v_cmp_eq_f32_e32 vcc_lo, 0, v8
	s_delay_alu instid0(VALU_DEP_2) | instskip(SKIP_1) | instid1(VALU_DEP_1)
	v_mul_f32_e32 v9, v7, v6
	s_and_b32 vcc_lo, exec_lo, vcc_lo
	v_fma_f32 v9, v8, v11, -v9
	s_delay_alu instid0(VALU_DEP_1) | instskip(NEXT) | instid1(VALU_DEP_1)
	v_sub_f32_e32 v10, v10, v9
	v_add_f32_e32 v7, v7, v10
	global_store_b32 v1, v7, s[4:5]
	s_cbranch_vccnz .LBB20_61
; %bb.60:                               ;   in Loop: Header=BB20_49 Depth=2
	v_mul_f32_e32 v5, v9, v9
	s_delay_alu instid0(VALU_DEP_1) | instskip(NEXT) | instid1(VALU_DEP_1)
	v_div_scale_f32 v7, null, v8, v8, v5
	v_rcp_f32_e32 v10, v7
	s_waitcnt_depctr 0xfff
	v_fma_f32 v11, -v7, v10, 1.0
	s_delay_alu instid0(VALU_DEP_1) | instskip(SKIP_1) | instid1(VALU_DEP_1)
	v_fmac_f32_e32 v10, v11, v10
	v_div_scale_f32 v11, vcc_lo, v5, v8, v5
	v_mul_f32_e32 v12, v11, v10
	s_delay_alu instid0(VALU_DEP_1) | instskip(NEXT) | instid1(VALU_DEP_1)
	v_fma_f32 v13, -v7, v12, v11
	v_fmac_f32_e32 v12, v13, v10
	s_delay_alu instid0(VALU_DEP_1) | instskip(NEXT) | instid1(VALU_DEP_1)
	v_fma_f32 v7, -v7, v12, v11
	v_div_fmas_f32 v7, v7, v10, v12
	s_delay_alu instid0(VALU_DEP_1)
	v_div_fixup_f32 v5, v7, v8, v5
.LBB20_61:                              ;   in Loop: Header=BB20_49 Depth=2
	s_add_i32 s4, s34, -1
	s_delay_alu instid0(SALU_CYCLE_1)
	s_cmp_le_i32 s4, s28
	s_cbranch_scc1 .LBB20_73
; %bb.62:                               ;   in Loop: Header=BB20_49 Depth=2
	s_add_i32 s4, s34, -2
	s_mov_b32 s35, -1
	s_ashr_i32 s5, s4, 31
	s_delay_alu instid0(SALU_CYCLE_1) | instskip(NEXT) | instid1(SALU_CYCLE_1)
	s_lshl_b64 s[4:5], s[4:5], 2
	s_add_u32 s42, s59, s4
	s_addc_u32 s43, s60, s5
	s_add_u32 s44, s61, s4
	s_addc_u32 s45, s62, s5
.LBB20_63:                              ;   Parent Loop BB20_4 Depth=1
                                        ;     Parent Loop BB20_49 Depth=2
                                        ; =>    This Inner Loop Header: Depth=3
	global_load_b32 v10, v1, s[44:45] offset:-4
	s_add_u32 s40, s44, -4
	s_addc_u32 s41, s45, -1
	s_cmp_eq_u32 s35, 0
	s_waitcnt vmcnt(0)
	v_add_f32_e32 v7, v5, v10
	s_cbranch_scc1 .LBB20_65
; %bb.64:                               ;   in Loop: Header=BB20_63 Depth=3
	s_delay_alu instid0(VALU_DEP_1)
	v_mul_f32_e32 v6, v6, v7
	global_store_b32 v1, v6, s[44:45]
.LBB20_65:                              ;   in Loop: Header=BB20_63 Depth=3
	global_load_b32 v12, v1, s[42:43] offset:-4
	v_div_scale_f32 v6, null, v7, v7, v5
	v_div_scale_f32 v11, null, v7, v7, v10
	v_div_scale_f32 v17, vcc_lo, v5, v7, v5
	s_delay_alu instid0(VALU_DEP_3) | instskip(NEXT) | instid1(VALU_DEP_2)
	v_rcp_f32_e32 v13, v6
	v_rcp_f32_e32 v14, v11
	s_waitcnt_depctr 0xfff
	v_fma_f32 v15, -v6, v13, 1.0
	v_fma_f32 v16, -v11, v14, 1.0
	s_delay_alu instid0(VALU_DEP_1) | instskip(SKIP_1) | instid1(VALU_DEP_2)
	v_dual_fmac_f32 v13, v15, v13 :: v_dual_fmac_f32 v14, v16, v14
	v_div_scale_f32 v15, s4, v10, v7, v10
	v_mul_f32_e32 v16, v17, v13
	s_delay_alu instid0(VALU_DEP_2) | instskip(NEXT) | instid1(VALU_DEP_2)
	v_mul_f32_e32 v18, v15, v14
	v_fma_f32 v19, -v6, v16, v17
	s_delay_alu instid0(VALU_DEP_2) | instskip(NEXT) | instid1(VALU_DEP_2)
	v_fma_f32 v20, -v11, v18, v15
	v_fmac_f32_e32 v16, v19, v13
	s_delay_alu instid0(VALU_DEP_2) | instskip(NEXT) | instid1(VALU_DEP_2)
	v_fmac_f32_e32 v18, v20, v14
	v_fma_f32 v6, -v6, v16, v17
	s_delay_alu instid0(VALU_DEP_2) | instskip(NEXT) | instid1(VALU_DEP_2)
	v_fma_f32 v11, -v11, v18, v15
	v_div_fmas_f32 v13, v6, v13, v16
	s_mov_b32 vcc_lo, s4
	s_add_u32 s4, s42, -4
	s_delay_alu instid0(VALU_DEP_2) | instskip(SKIP_2) | instid1(VALU_DEP_2)
	v_div_fmas_f32 v6, v11, v14, v18
	s_addc_u32 s5, s43, -1
	v_div_fixup_f32 v11, v13, v7, v5
	v_div_fixup_f32 v6, v6, v7, v10
	s_delay_alu instid0(VALU_DEP_2) | instskip(NEXT) | instid1(VALU_DEP_2)
	v_cmp_eq_f32_e32 vcc_lo, 0, v11
	v_mul_f32_e32 v5, v9, v6
	s_and_b32 vcc_lo, exec_lo, vcc_lo
	s_waitcnt vmcnt(0)
	v_sub_f32_e32 v7, v12, v4
	s_delay_alu instid0(VALU_DEP_1) | instskip(NEXT) | instid1(VALU_DEP_1)
	v_fma_f32 v7, v11, v7, -v5
	v_sub_f32_e32 v5, v12, v7
	s_delay_alu instid0(VALU_DEP_1)
	v_add_f32_e32 v5, v9, v5
	global_store_b32 v1, v5, s[42:43]
	s_cbranch_vccz .LBB20_70
; %bb.66:                               ;   in Loop: Header=BB20_63 Depth=3
	v_mul_f32_e32 v5, v8, v10
	s_cbranch_execnz .LBB20_68
.LBB20_67:                              ;   in Loop: Header=BB20_63 Depth=3
	v_mul_f32_e32 v5, v7, v7
	s_delay_alu instid0(VALU_DEP_1) | instskip(NEXT) | instid1(VALU_DEP_1)
	v_div_scale_f32 v8, null, v11, v11, v5
	v_rcp_f32_e32 v9, v8
	s_waitcnt_depctr 0xfff
	v_fma_f32 v10, -v8, v9, 1.0
	s_delay_alu instid0(VALU_DEP_1) | instskip(SKIP_1) | instid1(VALU_DEP_1)
	v_fmac_f32_e32 v9, v10, v9
	v_div_scale_f32 v10, vcc_lo, v5, v11, v5
	v_mul_f32_e32 v12, v10, v9
	s_delay_alu instid0(VALU_DEP_1) | instskip(NEXT) | instid1(VALU_DEP_1)
	v_fma_f32 v13, -v8, v12, v10
	v_fmac_f32_e32 v12, v13, v9
	s_delay_alu instid0(VALU_DEP_1) | instskip(NEXT) | instid1(VALU_DEP_1)
	v_fma_f32 v8, -v8, v12, v10
	v_div_fmas_f32 v8, v8, v9, v12
	s_delay_alu instid0(VALU_DEP_1)
	v_div_fixup_f32 v5, v8, v11, v5
.LBB20_68:                              ;   in Loop: Header=BB20_63 Depth=3
	s_add_i32 s35, s35, -1
	s_delay_alu instid0(SALU_CYCLE_1) | instskip(NEXT) | instid1(SALU_CYCLE_1)
	s_add_i32 s42, s34, s35
	s_cmp_le_i32 s42, s28
	s_cbranch_scc1 .LBB20_74
; %bb.69:                               ;   in Loop: Header=BB20_63 Depth=3
	v_mov_b32_e32 v8, v11
	v_mov_b32_e32 v9, v7
	s_mov_b64 s[44:45], s[40:41]
	s_mov_b64 s[42:43], s[4:5]
	s_branch .LBB20_63
.LBB20_70:                              ;   in Loop: Header=BB20_63 Depth=3
                                        ; implicit-def: $vgpr5
	s_branch .LBB20_67
.LBB20_71:                              ;   in Loop: Header=BB20_49 Depth=2
                                        ; implicit-def: $sgpr35
	s_cbranch_execz .LBB20_48
	s_branch .LBB20_95
.LBB20_72:                              ;   in Loop: Header=BB20_49 Depth=2
	s_mov_b32 s5, 0
                                        ; implicit-def: $sgpr35
                                        ; implicit-def: $sgpr4
                                        ; implicit-def: $sgpr40
	s_cbranch_execnz .LBB20_77
	s_branch .LBB20_94
.LBB20_73:                              ;   in Loop: Header=BB20_49 Depth=2
	v_mov_b32_e32 v7, v9
.LBB20_74:                              ;   in Loop: Header=BB20_49 Depth=2
	v_mov_b32_e32 v8, v5
.LBB20_75:                              ;   in Loop: Header=BB20_49 Depth=2
	s_delay_alu instid0(VALU_DEP_1)
	v_dual_mul_f32 v5, v6, v8 :: v_dual_add_f32 v4, v4, v7
	s_add_i32 s40, s27, 1
	s_mov_b32 s5, -1
	s_clause 0x1
	global_store_b32 v1, v5, s[38:39]
	global_store_b32 v1, v4, s[30:31]
.LBB20_76:                              ;   in Loop: Header=BB20_49 Depth=2
	s_mov_b32 s35, s16
	s_mov_b32 s4, s28
	s_and_b32 vcc_lo, exec_lo, s67
	s_cbranch_vccz .LBB20_94
.LBB20_77:                              ;   in Loop: Header=BB20_49 Depth=2
	s_add_u32 s36, s10, s36
	s_addc_u32 s37, s11, s37
	s_mov_b32 s35, s15
	global_load_b32 v4, v1, s[36:37]
	s_lshl_b64 s[4:5], s[34:35], 2
	s_delay_alu instid0(SALU_CYCLE_1)
	s_add_u32 s34, s46, s4
	s_addc_u32 s35, s47, s5
	global_load_b32 v5, v1, s[34:35]
	s_waitcnt vmcnt(1)
	v_mul_f32_e32 v6, 0x4f800000, v4
	v_cmp_gt_f32_e32 vcc_lo, 0xf800000, v4
	s_delay_alu instid0(VALU_DEP_2) | instskip(NEXT) | instid1(VALU_DEP_1)
	v_cndmask_b32_e32 v4, v4, v6, vcc_lo
	v_sqrt_f32_e32 v6, v4
	s_waitcnt_depctr 0xfff
	v_add_nc_u32_e32 v7, -1, v6
	v_add_nc_u32_e32 v8, 1, v6
	s_delay_alu instid0(VALU_DEP_2) | instskip(NEXT) | instid1(VALU_DEP_2)
	v_fma_f32 v9, -v7, v6, v4
	v_fma_f32 v10, -v8, v6, v4
	s_delay_alu instid0(VALU_DEP_2) | instskip(NEXT) | instid1(VALU_DEP_1)
	v_cmp_ge_f32_e64 s4, 0, v9
	v_cndmask_b32_e64 v6, v6, v7, s4
	s_delay_alu instid0(VALU_DEP_3) | instskip(NEXT) | instid1(VALU_DEP_1)
	v_cmp_lt_f32_e64 s4, 0, v10
	v_cndmask_b32_e64 v6, v6, v8, s4
	s_delay_alu instid0(VALU_DEP_1) | instskip(NEXT) | instid1(VALU_DEP_1)
	v_mul_f32_e32 v7, 0x37800000, v6
	v_cndmask_b32_e32 v6, v6, v7, vcc_lo
	v_cmp_class_f32_e64 vcc_lo, v4, 0x260
	s_waitcnt vmcnt(0)
	s_delay_alu instid0(VALU_DEP_2) | instskip(NEXT) | instid1(VALU_DEP_1)
	v_dual_sub_f32 v7, v3, v5 :: v_dual_cndmask_b32 v4, v6, v4
	v_add_f32_e32 v8, v4, v4
	s_delay_alu instid0(VALU_DEP_1) | instskip(SKIP_1) | instid1(VALU_DEP_2)
	v_cmp_ngt_f32_e64 s4, |v7|, |v8|
	v_and_b32_e32 v9, 0x7fffffff, v8
	s_and_b32 vcc_lo, exec_lo, s4
	s_cbranch_vccz .LBB20_80
; %bb.78:                               ;   in Loop: Header=BB20_49 Depth=2
	v_cmp_nlt_f32_e64 s4, |v7|, |v8|
	s_delay_alu instid0(VALU_DEP_1)
	s_and_b32 vcc_lo, exec_lo, s4
	s_cbranch_vccz .LBB20_81
; %bb.79:                               ;   in Loop: Header=BB20_49 Depth=2
	v_cvt_f64_f32_e32 v[10:11], v9
	s_delay_alu instid0(VALU_DEP_1) | instskip(NEXT) | instid1(VALU_DEP_1)
	v_mul_f64 v[10:11], v[10:11], s[12:13]
	v_cvt_f32_f64_e32 v6, v[10:11]
	s_cbranch_execz .LBB20_82
	s_branch .LBB20_83
.LBB20_80:                              ;   in Loop: Header=BB20_49 Depth=2
                                        ; implicit-def: $vgpr6
	s_branch .LBB20_84
.LBB20_81:                              ;   in Loop: Header=BB20_49 Depth=2
                                        ; implicit-def: $vgpr6
.LBB20_82:                              ;   in Loop: Header=BB20_49 Depth=2
	v_and_b32_e32 v6, 0x7fffffff, v7
	s_delay_alu instid0(VALU_DEP_1) | instskip(SKIP_1) | instid1(VALU_DEP_2)
	v_div_scale_f32 v10, null, v9, v9, v6
	v_div_scale_f32 v6, vcc_lo, v6, v9, v6
	v_rcp_f32_e32 v11, v10
	s_waitcnt_depctr 0xfff
	v_fma_f32 v12, -v10, v11, 1.0
	s_delay_alu instid0(VALU_DEP_1) | instskip(NEXT) | instid1(VALU_DEP_1)
	v_fmac_f32_e32 v11, v12, v11
	v_mul_f32_e32 v12, v6, v11
	s_delay_alu instid0(VALU_DEP_1) | instskip(NEXT) | instid1(VALU_DEP_1)
	v_fma_f32 v13, -v10, v12, v6
	v_fmac_f32_e32 v12, v13, v11
	s_delay_alu instid0(VALU_DEP_1) | instskip(NEXT) | instid1(VALU_DEP_1)
	v_fma_f32 v6, -v10, v12, v6
	v_div_fmas_f32 v6, v6, v11, v12
	s_delay_alu instid0(VALU_DEP_1) | instskip(NEXT) | instid1(VALU_DEP_1)
	v_div_fixup_f32 v6, v6, |v8|, |v7|
	v_fma_f32 v6, v6, v6, 1.0
	s_delay_alu instid0(VALU_DEP_1) | instskip(SKIP_1) | instid1(VALU_DEP_2)
	v_mul_f32_e32 v10, 0x4f800000, v6
	v_cmp_gt_f32_e32 vcc_lo, 0xf800000, v6
	v_cndmask_b32_e32 v6, v6, v10, vcc_lo
	s_delay_alu instid0(VALU_DEP_1) | instskip(SKIP_3) | instid1(VALU_DEP_2)
	v_sqrt_f32_e32 v10, v6
	s_waitcnt_depctr 0xfff
	v_add_nc_u32_e32 v11, -1, v10
	v_add_nc_u32_e32 v12, 1, v10
	v_fma_f32 v13, -v11, v10, v6
	s_delay_alu instid0(VALU_DEP_2) | instskip(NEXT) | instid1(VALU_DEP_2)
	v_fma_f32 v14, -v12, v10, v6
	v_cmp_ge_f32_e64 s4, 0, v13
	s_delay_alu instid0(VALU_DEP_1) | instskip(NEXT) | instid1(VALU_DEP_3)
	v_cndmask_b32_e64 v10, v10, v11, s4
	v_cmp_lt_f32_e64 s4, 0, v14
	s_delay_alu instid0(VALU_DEP_1) | instskip(NEXT) | instid1(VALU_DEP_1)
	v_cndmask_b32_e64 v10, v10, v12, s4
	v_mul_f32_e32 v11, 0x37800000, v10
	s_delay_alu instid0(VALU_DEP_1) | instskip(SKIP_1) | instid1(VALU_DEP_2)
	v_cndmask_b32_e32 v10, v10, v11, vcc_lo
	v_cmp_class_f32_e64 vcc_lo, v6, 0x260
	v_cndmask_b32_e32 v6, v10, v6, vcc_lo
	s_delay_alu instid0(VALU_DEP_1)
	v_mul_f32_e64 v6, |v8|, v6
.LBB20_83:                              ;   in Loop: Header=BB20_49 Depth=2
	s_cbranch_execnz .LBB20_85
.LBB20_84:                              ;   in Loop: Header=BB20_49 Depth=2
	v_and_b32_e32 v6, 0x7fffffff, v7
	s_delay_alu instid0(VALU_DEP_1) | instskip(SKIP_1) | instid1(VALU_DEP_2)
	v_div_scale_f32 v10, null, v6, v6, v9
	v_div_scale_f32 v6, vcc_lo, v9, v6, v9
	v_rcp_f32_e32 v11, v10
	s_waitcnt_depctr 0xfff
	v_fma_f32 v12, -v10, v11, 1.0
	s_delay_alu instid0(VALU_DEP_1) | instskip(NEXT) | instid1(VALU_DEP_1)
	v_fmac_f32_e32 v11, v12, v11
	v_mul_f32_e32 v9, v6, v11
	s_delay_alu instid0(VALU_DEP_1) | instskip(NEXT) | instid1(VALU_DEP_1)
	v_fma_f32 v12, -v10, v9, v6
	v_fmac_f32_e32 v9, v12, v11
	s_delay_alu instid0(VALU_DEP_1) | instskip(NEXT) | instid1(VALU_DEP_1)
	v_fma_f32 v6, -v10, v9, v6
	v_div_fmas_f32 v6, v6, v11, v9
	s_delay_alu instid0(VALU_DEP_1) | instskip(NEXT) | instid1(VALU_DEP_1)
	v_div_fixup_f32 v6, v6, |v7|, |v8|
	v_fma_f32 v6, v6, v6, 1.0
	s_delay_alu instid0(VALU_DEP_1) | instskip(SKIP_1) | instid1(VALU_DEP_2)
	v_mul_f32_e32 v8, 0x4f800000, v6
	v_cmp_gt_f32_e32 vcc_lo, 0xf800000, v6
	v_cndmask_b32_e32 v6, v6, v8, vcc_lo
	s_delay_alu instid0(VALU_DEP_1) | instskip(SKIP_3) | instid1(VALU_DEP_2)
	v_sqrt_f32_e32 v8, v6
	s_waitcnt_depctr 0xfff
	v_add_nc_u32_e32 v9, -1, v8
	v_add_nc_u32_e32 v10, 1, v8
	v_fma_f32 v11, -v9, v8, v6
	s_delay_alu instid0(VALU_DEP_2) | instskip(NEXT) | instid1(VALU_DEP_2)
	v_fma_f32 v12, -v10, v8, v6
	v_cmp_ge_f32_e64 s4, 0, v11
	s_delay_alu instid0(VALU_DEP_1) | instskip(NEXT) | instid1(VALU_DEP_3)
	v_cndmask_b32_e64 v8, v8, v9, s4
	v_cmp_lt_f32_e64 s4, 0, v12
	s_delay_alu instid0(VALU_DEP_1) | instskip(NEXT) | instid1(VALU_DEP_1)
	v_cndmask_b32_e64 v8, v8, v10, s4
	v_mul_f32_e32 v9, 0x37800000, v8
	s_delay_alu instid0(VALU_DEP_1) | instskip(SKIP_1) | instid1(VALU_DEP_2)
	v_cndmask_b32_e32 v8, v8, v9, vcc_lo
	v_cmp_class_f32_e64 vcc_lo, v6, 0x260
	v_cndmask_b32_e32 v6, v8, v6, vcc_lo
	s_delay_alu instid0(VALU_DEP_1)
	v_mul_f32_e64 v6, |v7|, v6
.LBB20_85:                              ;   in Loop: Header=BB20_49 Depth=2
	v_cmp_gt_f32_e64 vcc_lo, |v3|, |v5|
	v_add_f32_e32 v8, v3, v5
	v_cndmask_b32_e32 v7, v3, v5, vcc_lo
	v_cndmask_b32_e32 v5, v5, v3, vcc_lo
	s_delay_alu instid0(VALU_DEP_3) | instskip(NEXT) | instid1(VALU_DEP_1)
	v_cmp_ngt_f32_e64 s4, 0, v8
	s_and_b32 vcc_lo, exec_lo, s4
	s_cbranch_vccz .LBB20_88
; %bb.86:                               ;   in Loop: Header=BB20_49 Depth=2
	v_cmp_nlt_f32_e32 vcc_lo, 0, v8
	s_cbranch_vccz .LBB20_89
; %bb.87:                               ;   in Loop: Header=BB20_49 Depth=2
	v_mul_f32_e32 v3, 0.5, v6
	v_mul_f32_e32 v9, -0.5, v6
	s_cbranch_execz .LBB20_90
	s_branch .LBB20_91
.LBB20_88:                              ;   in Loop: Header=BB20_49 Depth=2
                                        ; implicit-def: $vgpr9
                                        ; implicit-def: $vgpr3
	s_branch .LBB20_92
.LBB20_89:                              ;   in Loop: Header=BB20_49 Depth=2
                                        ; implicit-def: $vgpr9
                                        ; implicit-def: $vgpr3
.LBB20_90:                              ;   in Loop: Header=BB20_49 Depth=2
	v_add_f32_e32 v3, v8, v6
	v_cvt_f64_f32_e32 v[9:10], v5
	v_cvt_f64_f32_e32 v[13:14], v4
	s_delay_alu instid0(VALU_DEP_3) | instskip(NEXT) | instid1(VALU_DEP_1)
	v_mul_f32_e32 v3, 0.5, v3
	v_cvt_f64_f32_e32 v[11:12], v3
	s_delay_alu instid0(VALU_DEP_1) | instskip(NEXT) | instid1(VALU_DEP_4)
	v_div_scale_f64 v[15:16], null, v[11:12], v[11:12], v[9:10]
	v_div_scale_f64 v[17:18], null, v[11:12], v[11:12], v[13:14]
	v_div_scale_f64 v[27:28], vcc_lo, v[9:10], v[11:12], v[9:10]
	s_delay_alu instid0(VALU_DEP_3) | instskip(NEXT) | instid1(VALU_DEP_2)
	v_rcp_f64_e32 v[19:20], v[15:16]
	v_rcp_f64_e32 v[21:22], v[17:18]
	s_waitcnt_depctr 0xfff
	v_fma_f64 v[23:24], -v[15:16], v[19:20], 1.0
	v_fma_f64 v[25:26], -v[17:18], v[21:22], 1.0
	s_delay_alu instid0(VALU_DEP_2) | instskip(NEXT) | instid1(VALU_DEP_2)
	v_fma_f64 v[19:20], v[19:20], v[23:24], v[19:20]
	v_fma_f64 v[21:22], v[21:22], v[25:26], v[21:22]
	s_delay_alu instid0(VALU_DEP_2) | instskip(NEXT) | instid1(VALU_DEP_2)
	v_fma_f64 v[23:24], -v[15:16], v[19:20], 1.0
	v_fma_f64 v[25:26], -v[17:18], v[21:22], 1.0
	s_delay_alu instid0(VALU_DEP_2) | instskip(SKIP_1) | instid1(VALU_DEP_3)
	v_fma_f64 v[19:20], v[19:20], v[23:24], v[19:20]
	v_div_scale_f64 v[23:24], s4, v[13:14], v[11:12], v[13:14]
	v_fma_f64 v[21:22], v[21:22], v[25:26], v[21:22]
	s_delay_alu instid0(VALU_DEP_3) | instskip(NEXT) | instid1(VALU_DEP_2)
	v_mul_f64 v[25:26], v[27:28], v[19:20]
	v_mul_f64 v[29:30], v[23:24], v[21:22]
	s_delay_alu instid0(VALU_DEP_2) | instskip(NEXT) | instid1(VALU_DEP_2)
	v_fma_f64 v[15:16], -v[15:16], v[25:26], v[27:28]
	v_fma_f64 v[17:18], -v[17:18], v[29:30], v[23:24]
	s_delay_alu instid0(VALU_DEP_2) | instskip(SKIP_1) | instid1(VALU_DEP_2)
	v_div_fmas_f64 v[15:16], v[15:16], v[19:20], v[25:26]
	s_mov_b32 vcc_lo, s4
	v_div_fmas_f64 v[17:18], v[17:18], v[21:22], v[29:30]
	s_delay_alu instid0(VALU_DEP_2) | instskip(NEXT) | instid1(VALU_DEP_2)
	v_div_fixup_f64 v[9:10], v[15:16], v[11:12], v[9:10]
	v_div_fixup_f64 v[17:18], v[17:18], v[11:12], v[13:14]
	v_cvt_f64_f32_e32 v[11:12], v7
	s_delay_alu instid0(VALU_DEP_2) | instskip(NEXT) | instid1(VALU_DEP_1)
	v_mul_f64 v[13:14], v[17:18], v[13:14]
	v_fma_f64 v[9:10], v[9:10], v[11:12], -v[13:14]
	s_delay_alu instid0(VALU_DEP_1)
	v_cvt_f32_f64_e32 v9, v[9:10]
.LBB20_91:                              ;   in Loop: Header=BB20_49 Depth=2
	s_cbranch_execnz .LBB20_93
.LBB20_92:                              ;   in Loop: Header=BB20_49 Depth=2
	v_sub_f32_e32 v3, v8, v6
	v_cvt_f64_f32_e32 v[5:6], v5
	v_cvt_f64_f32_e32 v[10:11], v4
	s_delay_alu instid0(VALU_DEP_3) | instskip(NEXT) | instid1(VALU_DEP_1)
	v_mul_f32_e32 v3, 0.5, v3
	v_cvt_f64_f32_e32 v[8:9], v3
	s_delay_alu instid0(VALU_DEP_1) | instskip(NEXT) | instid1(VALU_DEP_4)
	v_div_scale_f64 v[12:13], null, v[8:9], v[8:9], v[5:6]
	v_div_scale_f64 v[14:15], null, v[8:9], v[8:9], v[10:11]
	v_div_scale_f64 v[24:25], vcc_lo, v[5:6], v[8:9], v[5:6]
	s_delay_alu instid0(VALU_DEP_3) | instskip(NEXT) | instid1(VALU_DEP_2)
	v_rcp_f64_e32 v[16:17], v[12:13]
	v_rcp_f64_e32 v[18:19], v[14:15]
	s_waitcnt_depctr 0xfff
	v_fma_f64 v[20:21], -v[12:13], v[16:17], 1.0
	v_fma_f64 v[22:23], -v[14:15], v[18:19], 1.0
	s_delay_alu instid0(VALU_DEP_2) | instskip(NEXT) | instid1(VALU_DEP_2)
	v_fma_f64 v[16:17], v[16:17], v[20:21], v[16:17]
	v_fma_f64 v[18:19], v[18:19], v[22:23], v[18:19]
	s_delay_alu instid0(VALU_DEP_2) | instskip(NEXT) | instid1(VALU_DEP_2)
	v_fma_f64 v[20:21], -v[12:13], v[16:17], 1.0
	v_fma_f64 v[22:23], -v[14:15], v[18:19], 1.0
	s_delay_alu instid0(VALU_DEP_2) | instskip(SKIP_1) | instid1(VALU_DEP_3)
	v_fma_f64 v[16:17], v[16:17], v[20:21], v[16:17]
	v_div_scale_f64 v[20:21], s4, v[10:11], v[8:9], v[10:11]
	v_fma_f64 v[18:19], v[18:19], v[22:23], v[18:19]
	s_delay_alu instid0(VALU_DEP_3) | instskip(NEXT) | instid1(VALU_DEP_2)
	v_mul_f64 v[22:23], v[24:25], v[16:17]
	v_mul_f64 v[26:27], v[20:21], v[18:19]
	s_delay_alu instid0(VALU_DEP_2) | instskip(NEXT) | instid1(VALU_DEP_2)
	v_fma_f64 v[12:13], -v[12:13], v[22:23], v[24:25]
	v_fma_f64 v[14:15], -v[14:15], v[26:27], v[20:21]
	s_delay_alu instid0(VALU_DEP_2) | instskip(SKIP_1) | instid1(VALU_DEP_2)
	v_div_fmas_f64 v[12:13], v[12:13], v[16:17], v[22:23]
	s_mov_b32 vcc_lo, s4
	v_div_fmas_f64 v[14:15], v[14:15], v[18:19], v[26:27]
	s_delay_alu instid0(VALU_DEP_2) | instskip(SKIP_1) | instid1(VALU_DEP_3)
	v_div_fixup_f64 v[4:5], v[12:13], v[8:9], v[5:6]
	v_cvt_f64_f32_e32 v[6:7], v7
	v_div_fixup_f64 v[14:15], v[14:15], v[8:9], v[10:11]
	s_delay_alu instid0(VALU_DEP_1) | instskip(NEXT) | instid1(VALU_DEP_1)
	v_mul_f64 v[8:9], v[14:15], v[10:11]
	v_fma_f64 v[4:5], v[4:5], v[6:7], -v[8:9]
	s_delay_alu instid0(VALU_DEP_1)
	v_cvt_f32_f64_e32 v9, v[4:5]
.LBB20_93:                              ;   in Loop: Header=BB20_49 Depth=2
	s_add_i32 s4, s28, 2
	s_mov_b32 s5, -1
	s_mov_b32 s40, s27
	s_clause 0x2
	global_store_b32 v1, v3, s[30:31]
	global_store_b32 v1, v9, s[34:35]
	;; [unrolled: 1-line block ×3, first 2 shown]
                                        ; implicit-def: $sgpr35
.LBB20_94:                              ;   in Loop: Header=BB20_49 Depth=2
	s_mov_b32 s27, s40
	s_and_b32 vcc_lo, exec_lo, s5
	s_cbranch_vccz .LBB20_48
.LBB20_95:                              ;   in Loop: Header=BB20_49 Depth=2
	s_cmp_gt_i32 s4, s66
	s_mov_b32 s35, s27
	s_cselect_b32 s5, -1, 0
	s_cmp_ge_i32 s27, s16
	s_cselect_b32 s28, -1, 0
	s_delay_alu instid0(SALU_CYCLE_1)
	s_or_b32 s29, s5, s28
	s_branch .LBB20_48
.LBB20_96:                              ;   in Loop: Header=BB20_97 Depth=2
	s_and_not1_b32 vcc_lo, exec_lo, s27
	s_mov_b32 s26, s3
	s_cbranch_vccz .LBB20_143
.LBB20_97:                              ;   Parent Loop BB20_4 Depth=1
                                        ; =>  This Loop Header: Depth=2
                                        ;       Child Loop BB20_99 Depth 3
                                        ;       Child Loop BB20_112 Depth 3
	s_ashr_i32 s27, s26, 31
	s_min_i32 s28, s66, s26
	s_lshl_b64 s[30:31], s[26:27], 2
	s_mov_b32 s27, s26
	s_add_u32 s34, s57, s30
	s_addc_u32 s35, s58, s31
	s_add_u32 s4, s61, s30
	s_addc_u32 s5, s62, s31
	s_branch .LBB20_99
	.p2align	6
.LBB20_98:                              ;   in Loop: Header=BB20_99 Depth=3
	s_delay_alu instid0(VALU_DEP_1)
	s_and_not1_b32 vcc_lo, exec_lo, s36
	s_cbranch_vccz .LBB20_101
.LBB20_99:                              ;   Parent Loop BB20_4 Depth=1
                                        ;     Parent Loop BB20_97 Depth=2
                                        ; =>    This Inner Loop Header: Depth=3
	s_mov_b32 s3, s27
	s_mov_b32 s29, -1
	s_cmp_le_i32 s27, s66
	s_mov_b32 s36, -1
                                        ; implicit-def: $sgpr27
	s_cbranch_scc1 .LBB20_98
; %bb.100:                              ;   in Loop: Header=BB20_99 Depth=3
	s_clause 0x1
	global_load_b64 v[3:4], v1, s[34:35] offset:-4
	global_load_b32 v5, v1, s[4:5] offset:-8
	s_add_i32 s27, s3, -1
	s_add_u32 s34, s34, -4
	s_addc_u32 s35, s35, -1
	s_add_u32 s4, s4, -4
	s_addc_u32 s5, s5, -1
	s_mov_b32 s29, 0
	s_waitcnt vmcnt(1)
	v_mul_f32_e32 v3, v4, v3
	s_delay_alu instid0(VALU_DEP_1) | instskip(SKIP_1) | instid1(VALU_DEP_1)
	v_mul_f32_e64 v3, v0, |v3|
	s_waitcnt vmcnt(0)
	v_cmp_le_f32_e64 s36, |v5|, v3
	s_branch .LBB20_98
.LBB20_101:                             ;   in Loop: Header=BB20_97 Depth=2
	s_and_not1_b32 vcc_lo, exec_lo, s29
	s_cbranch_vccz .LBB20_103
; %bb.102:                              ;   in Loop: Header=BB20_97 Depth=2
	s_mov_b32 s28, s3
	global_store_b32 v1, v1, s[4:5] offset:-4
.LBB20_103:                             ;   in Loop: Header=BB20_97 Depth=2
	s_add_i32 s3, s26, -1
	s_cmp_eq_u32 s28, s26
	s_mov_b32 s27, -1
	s_cbranch_scc1 .LBB20_118
; %bb.104:                              ;   in Loop: Header=BB20_97 Depth=2
	s_add_u32 s4, s46, s30
	s_addc_u32 s5, s47, s31
	s_cmp_lg_u32 s28, s3
	global_load_b32 v3, v1, s[4:5]
	s_cbranch_scc0 .LBB20_119
; %bb.105:                              ;   in Loop: Header=BB20_97 Depth=2
	s_mov_b32 s38, 0
	s_cmp_lg_u32 s64, s16
	s_mov_b32 s34, 0
                                        ; implicit-def: $sgpr35
	s_cbranch_scc0 .LBB20_123
; %bb.106:                              ;   in Loop: Header=BB20_97 Depth=2
	s_add_u32 s30, s49, s30
	s_addc_u32 s31, s50, s31
	s_ashr_i32 s29, s28, 31
	global_load_b32 v4, v1, s[30:31]
	s_lshl_b64 s[36:37], s[28:29], 2
	s_delay_alu instid0(SALU_CYCLE_1)
	s_add_u32 s34, s46, s36
	s_addc_u32 s35, s47, s37
	s_clause 0x1
	global_load_b32 v5, v1, s[34:35]
	global_load_b32 v6, v1, s[4:5] offset:-4
	s_cmp_ge_i32 s28, s26
	s_waitcnt vmcnt(2)
	v_mul_f32_e32 v7, 0x4f800000, v4
	v_cmp_gt_f32_e32 vcc_lo, 0xf800000, v4
	s_waitcnt vmcnt(0)
	v_sub_f32_e32 v6, v6, v3
	s_delay_alu instid0(VALU_DEP_3) | instskip(NEXT) | instid1(VALU_DEP_1)
	v_cndmask_b32_e32 v4, v4, v7, vcc_lo
	v_sqrt_f32_e32 v7, v4
	s_waitcnt_depctr 0xfff
	v_add_nc_u32_e32 v8, -1, v7
	v_add_nc_u32_e32 v9, 1, v7
	s_delay_alu instid0(VALU_DEP_2) | instskip(NEXT) | instid1(VALU_DEP_2)
	v_fma_f32 v10, -v8, v7, v4
	v_fma_f32 v11, -v9, v7, v4
	s_delay_alu instid0(VALU_DEP_2) | instskip(NEXT) | instid1(VALU_DEP_1)
	v_cmp_ge_f32_e64 s3, 0, v10
	v_cndmask_b32_e64 v7, v7, v8, s3
	s_delay_alu instid0(VALU_DEP_3) | instskip(NEXT) | instid1(VALU_DEP_1)
	v_cmp_lt_f32_e64 s3, 0, v11
	v_cndmask_b32_e64 v7, v7, v9, s3
	s_delay_alu instid0(VALU_DEP_1) | instskip(NEXT) | instid1(VALU_DEP_1)
	v_mul_f32_e32 v8, 0x37800000, v7
	v_cndmask_b32_e32 v7, v7, v8, vcc_lo
	v_cmp_class_f32_e64 vcc_lo, v4, 0x260
	s_delay_alu instid0(VALU_DEP_2) | instskip(NEXT) | instid1(VALU_DEP_1)
	v_cndmask_b32_e32 v4, v7, v4, vcc_lo
	v_add_f32_e32 v7, v4, v4
	s_delay_alu instid0(VALU_DEP_1) | instskip(SKIP_1) | instid1(VALU_DEP_2)
	v_div_scale_f32 v8, null, v7, v7, v6
	v_div_scale_f32 v11, vcc_lo, v6, v7, v6
	v_rcp_f32_e32 v9, v8
	s_waitcnt_depctr 0xfff
	v_fma_f32 v10, -v8, v9, 1.0
	s_delay_alu instid0(VALU_DEP_1) | instskip(NEXT) | instid1(VALU_DEP_1)
	v_fmac_f32_e32 v9, v10, v9
	v_mul_f32_e32 v10, v11, v9
	s_delay_alu instid0(VALU_DEP_1) | instskip(NEXT) | instid1(VALU_DEP_1)
	v_fma_f32 v12, -v8, v10, v11
	v_fmac_f32_e32 v10, v12, v9
	s_delay_alu instid0(VALU_DEP_1) | instskip(NEXT) | instid1(VALU_DEP_1)
	v_fma_f32 v8, -v8, v10, v11
	v_div_fmas_f32 v8, v8, v9, v10
	s_delay_alu instid0(VALU_DEP_1) | instskip(NEXT) | instid1(VALU_DEP_1)
	v_div_fixup_f32 v6, v8, v7, v6
	v_fma_f32 v7, v6, v6, 1.0
	s_delay_alu instid0(VALU_DEP_1) | instskip(SKIP_1) | instid1(VALU_DEP_2)
	v_mul_f32_e32 v8, 0x4f800000, v7
	v_cmp_gt_f32_e32 vcc_lo, 0xf800000, v7
	v_cndmask_b32_e32 v7, v7, v8, vcc_lo
	s_delay_alu instid0(VALU_DEP_1) | instskip(SKIP_3) | instid1(VALU_DEP_2)
	v_sqrt_f32_e32 v8, v7
	s_waitcnt_depctr 0xfff
	v_add_nc_u32_e32 v9, -1, v8
	v_add_nc_u32_e32 v10, 1, v8
	v_fma_f32 v11, -v9, v8, v7
	s_delay_alu instid0(VALU_DEP_2) | instskip(NEXT) | instid1(VALU_DEP_2)
	v_fma_f32 v12, -v10, v8, v7
	v_cmp_ge_f32_e64 s3, 0, v11
	s_delay_alu instid0(VALU_DEP_1) | instskip(NEXT) | instid1(VALU_DEP_3)
	v_cndmask_b32_e64 v8, v8, v9, s3
	v_cmp_lt_f32_e64 s3, 0, v12
	s_delay_alu instid0(VALU_DEP_1) | instskip(NEXT) | instid1(VALU_DEP_1)
	v_cndmask_b32_e64 v8, v8, v10, s3
	v_mul_f32_e32 v9, 0x37800000, v8
	s_delay_alu instid0(VALU_DEP_1) | instskip(SKIP_1) | instid1(VALU_DEP_2)
	v_cndmask_b32_e32 v8, v8, v9, vcc_lo
	v_cmp_class_f32_e64 vcc_lo, v7, 0x260
	v_cndmask_b32_e32 v7, v8, v7, vcc_lo
	v_cmp_nle_f32_e32 vcc_lo, 0, v6
	s_delay_alu instid0(VALU_DEP_2) | instskip(NEXT) | instid1(VALU_DEP_1)
	v_cndmask_b32_e64 v7, |v7|, -|v7|, vcc_lo
	v_add_f32_e32 v6, v6, v7
	s_delay_alu instid0(VALU_DEP_1) | instskip(SKIP_1) | instid1(VALU_DEP_2)
	v_div_scale_f32 v7, null, v6, v6, v4
	v_div_scale_f32 v10, vcc_lo, v4, v6, v4
	v_rcp_f32_e32 v8, v7
	s_waitcnt_depctr 0xfff
	v_fma_f32 v9, -v7, v8, 1.0
	s_delay_alu instid0(VALU_DEP_1) | instskip(NEXT) | instid1(VALU_DEP_1)
	v_fmac_f32_e32 v8, v9, v8
	v_mul_f32_e32 v9, v10, v8
	s_delay_alu instid0(VALU_DEP_1) | instskip(NEXT) | instid1(VALU_DEP_1)
	v_fma_f32 v11, -v7, v9, v10
	v_fmac_f32_e32 v9, v11, v8
	s_delay_alu instid0(VALU_DEP_1) | instskip(NEXT) | instid1(VALU_DEP_1)
	v_fma_f32 v7, -v7, v9, v10
	v_div_fmas_f32 v7, v7, v8, v9
	s_delay_alu instid0(VALU_DEP_1) | instskip(SKIP_1) | instid1(VALU_DEP_2)
	v_div_fixup_f32 v4, v7, v6, v4
	v_mov_b32_e32 v6, 0
	v_sub_f32_e32 v4, v3, v4
	s_delay_alu instid0(VALU_DEP_1) | instskip(NEXT) | instid1(VALU_DEP_1)
	v_sub_f32_e32 v7, v5, v4
	v_mul_f32_e32 v8, v7, v7
	s_cbranch_scc1 .LBB20_122
; %bb.107:                              ;   in Loop: Header=BB20_97 Depth=2
	s_add_u32 s36, s10, s36
	s_addc_u32 s37, s11, s37
	s_clause 0x1
	global_load_b32 v5, v1, s[36:37]
	global_load_b32 v10, v1, s[34:35] offset:4
	s_waitcnt vmcnt(1)
	v_add_f32_e32 v9, v8, v5
	s_delay_alu instid0(VALU_DEP_1) | instskip(NEXT) | instid1(VALU_DEP_1)
	v_div_scale_f32 v6, null, v9, v9, v8
	v_rcp_f32_e32 v12, v6
	s_waitcnt_depctr 0xfff
	v_fma_f32 v14, -v6, v12, 1.0
	s_delay_alu instid0(VALU_DEP_1) | instskip(SKIP_3) | instid1(VALU_DEP_3)
	v_fmac_f32_e32 v12, v14, v12
	v_div_scale_f32 v11, null, v9, v9, v5
	v_div_scale_f32 v16, vcc_lo, v8, v9, v8
	v_div_scale_f32 v14, s3, v5, v9, v5
	v_rcp_f32_e32 v13, v11
	s_waitcnt_depctr 0xfff
	v_fma_f32 v15, -v11, v13, 1.0
	s_delay_alu instid0(VALU_DEP_1) | instskip(SKIP_1) | instid1(VALU_DEP_2)
	v_fmac_f32_e32 v13, v15, v13
	v_mul_f32_e32 v15, v16, v12
	v_mul_f32_e32 v17, v14, v13
	s_delay_alu instid0(VALU_DEP_2) | instskip(NEXT) | instid1(VALU_DEP_2)
	v_fma_f32 v18, -v6, v15, v16
	v_fma_f32 v19, -v11, v17, v14
	s_delay_alu instid0(VALU_DEP_2) | instskip(NEXT) | instid1(VALU_DEP_2)
	v_fmac_f32_e32 v15, v18, v12
	v_fmac_f32_e32 v17, v19, v13
	s_delay_alu instid0(VALU_DEP_2) | instskip(NEXT) | instid1(VALU_DEP_2)
	v_fma_f32 v6, -v6, v15, v16
	v_fma_f32 v11, -v11, v17, v14
	s_delay_alu instid0(VALU_DEP_2) | instskip(SKIP_1) | instid1(VALU_DEP_2)
	v_div_fmas_f32 v12, v6, v12, v15
	s_mov_b32 vcc_lo, s3
	v_div_fmas_f32 v6, v11, v13, v17
	s_waitcnt vmcnt(0)
	v_sub_f32_e32 v11, v10, v4
	v_div_fixup_f32 v8, v12, v9, v8
	s_delay_alu instid0(VALU_DEP_3) | instskip(NEXT) | instid1(VALU_DEP_2)
	v_div_fixup_f32 v6, v6, v9, v5
	v_cmp_eq_f32_e32 vcc_lo, 0, v8
	s_delay_alu instid0(VALU_DEP_2) | instskip(SKIP_1) | instid1(VALU_DEP_1)
	v_mul_f32_e32 v9, v7, v6
	s_and_b32 vcc_lo, exec_lo, vcc_lo
	v_fma_f32 v9, v8, v11, -v9
	s_delay_alu instid0(VALU_DEP_1) | instskip(NEXT) | instid1(VALU_DEP_1)
	v_sub_f32_e32 v10, v10, v9
	v_add_f32_e32 v7, v7, v10
	global_store_b32 v1, v7, s[34:35]
	s_cbranch_vccnz .LBB20_109
; %bb.108:                              ;   in Loop: Header=BB20_97 Depth=2
	v_mul_f32_e32 v5, v9, v9
	s_delay_alu instid0(VALU_DEP_1) | instskip(NEXT) | instid1(VALU_DEP_1)
	v_div_scale_f32 v7, null, v8, v8, v5
	v_rcp_f32_e32 v10, v7
	s_waitcnt_depctr 0xfff
	v_fma_f32 v11, -v7, v10, 1.0
	s_delay_alu instid0(VALU_DEP_1) | instskip(SKIP_1) | instid1(VALU_DEP_1)
	v_fmac_f32_e32 v10, v11, v10
	v_div_scale_f32 v11, vcc_lo, v5, v8, v5
	v_mul_f32_e32 v12, v11, v10
	s_delay_alu instid0(VALU_DEP_1) | instskip(NEXT) | instid1(VALU_DEP_1)
	v_fma_f32 v13, -v7, v12, v11
	v_fmac_f32_e32 v12, v13, v10
	s_delay_alu instid0(VALU_DEP_1) | instskip(NEXT) | instid1(VALU_DEP_1)
	v_fma_f32 v7, -v7, v12, v11
	v_div_fmas_f32 v7, v7, v10, v12
	s_delay_alu instid0(VALU_DEP_1)
	v_div_fixup_f32 v5, v7, v8, v5
.LBB20_109:                             ;   in Loop: Header=BB20_97 Depth=2
	s_add_i32 s34, s28, 1
	s_delay_alu instid0(SALU_CYCLE_1)
	s_cmp_ge_i32 s34, s26
	s_cbranch_scc1 .LBB20_120
; %bb.110:                              ;   in Loop: Header=BB20_97 Depth=2
	s_ashr_i32 s35, s34, 31
	s_mov_b32 s29, 1
	s_lshl_b64 s[36:37], s[34:35], 2
	s_delay_alu instid0(SALU_CYCLE_1)
	s_add_u32 s34, s53, s36
	s_addc_u32 s35, s54, s37
	s_add_u32 s36, s59, s36
	s_addc_u32 s37, s60, s37
	global_load_b32 v10, v1, s[34:35]
	s_cmp_eq_u32 s29, 0
	s_waitcnt vmcnt(0)
	v_add_f32_e32 v7, v5, v10
	s_cbranch_scc1 .LBB20_112
.LBB20_111:                             ;   in Loop: Header=BB20_97 Depth=2
	s_delay_alu instid0(VALU_DEP_1)
	v_mul_f32_e32 v6, v6, v7
	global_store_b32 v1, v6, s[34:35] offset:-4
.LBB20_112:                             ;   Parent Loop BB20_4 Depth=1
                                        ;     Parent Loop BB20_97 Depth=2
                                        ; =>    This Inner Loop Header: Depth=3
	global_load_b32 v12, v1, s[36:37]
	v_div_scale_f32 v6, null, v7, v7, v5
	v_div_scale_f32 v11, null, v7, v7, v10
	v_div_scale_f32 v17, vcc_lo, v5, v7, v5
	s_delay_alu instid0(VALU_DEP_3) | instskip(NEXT) | instid1(VALU_DEP_2)
	v_rcp_f32_e32 v13, v6
	v_rcp_f32_e32 v14, v11
	s_waitcnt_depctr 0xfff
	v_fma_f32 v15, -v6, v13, 1.0
	v_fma_f32 v16, -v11, v14, 1.0
	s_delay_alu instid0(VALU_DEP_1) | instskip(SKIP_1) | instid1(VALU_DEP_2)
	v_dual_fmac_f32 v13, v15, v13 :: v_dual_fmac_f32 v14, v16, v14
	v_div_scale_f32 v15, s3, v10, v7, v10
	v_mul_f32_e32 v16, v17, v13
	s_delay_alu instid0(VALU_DEP_2) | instskip(NEXT) | instid1(VALU_DEP_2)
	v_mul_f32_e32 v18, v15, v14
	v_fma_f32 v19, -v6, v16, v17
	s_delay_alu instid0(VALU_DEP_2) | instskip(NEXT) | instid1(VALU_DEP_2)
	v_fma_f32 v20, -v11, v18, v15
	v_fmac_f32_e32 v16, v19, v13
	s_delay_alu instid0(VALU_DEP_2) | instskip(NEXT) | instid1(VALU_DEP_2)
	v_fmac_f32_e32 v18, v20, v14
	v_fma_f32 v6, -v6, v16, v17
	s_delay_alu instid0(VALU_DEP_2) | instskip(NEXT) | instid1(VALU_DEP_2)
	v_fma_f32 v11, -v11, v18, v15
	v_div_fmas_f32 v13, v6, v13, v16
	s_mov_b32 vcc_lo, s3
	s_delay_alu instid0(VALU_DEP_2) | instskip(NEXT) | instid1(VALU_DEP_2)
	v_div_fmas_f32 v6, v11, v14, v18
	v_div_fixup_f32 v11, v13, v7, v5
	s_delay_alu instid0(VALU_DEP_2) | instskip(NEXT) | instid1(VALU_DEP_2)
	v_div_fixup_f32 v6, v6, v7, v10
	v_cmp_eq_f32_e32 vcc_lo, 0, v11
	s_delay_alu instid0(VALU_DEP_2) | instskip(SKIP_3) | instid1(VALU_DEP_1)
	v_mul_f32_e32 v5, v9, v6
	s_and_b32 vcc_lo, exec_lo, vcc_lo
	s_waitcnt vmcnt(0)
	v_sub_f32_e32 v7, v12, v4
	v_fma_f32 v7, v11, v7, -v5
	s_delay_alu instid0(VALU_DEP_1) | instskip(NEXT) | instid1(VALU_DEP_1)
	v_sub_f32_e32 v5, v12, v7
	v_add_f32_e32 v5, v9, v5
	global_store_b32 v1, v5, s[36:37] offset:-4
	s_cbranch_vccz .LBB20_117
; %bb.113:                              ;   in Loop: Header=BB20_112 Depth=3
	v_mul_f32_e32 v5, v8, v10
	s_cbranch_execnz .LBB20_115
.LBB20_114:                             ;   in Loop: Header=BB20_112 Depth=3
	v_mul_f32_e32 v5, v7, v7
	s_delay_alu instid0(VALU_DEP_1) | instskip(NEXT) | instid1(VALU_DEP_1)
	v_div_scale_f32 v8, null, v11, v11, v5
	v_rcp_f32_e32 v9, v8
	s_waitcnt_depctr 0xfff
	v_fma_f32 v10, -v8, v9, 1.0
	s_delay_alu instid0(VALU_DEP_1) | instskip(SKIP_1) | instid1(VALU_DEP_1)
	v_fmac_f32_e32 v9, v10, v9
	v_div_scale_f32 v10, vcc_lo, v5, v11, v5
	v_mul_f32_e32 v12, v10, v9
	s_delay_alu instid0(VALU_DEP_1) | instskip(NEXT) | instid1(VALU_DEP_1)
	v_fma_f32 v13, -v8, v12, v10
	v_fmac_f32_e32 v12, v13, v9
	s_delay_alu instid0(VALU_DEP_1) | instskip(NEXT) | instid1(VALU_DEP_1)
	v_fma_f32 v8, -v8, v12, v10
	v_div_fmas_f32 v8, v8, v9, v12
	s_delay_alu instid0(VALU_DEP_1)
	v_div_fixup_f32 v5, v8, v11, v5
.LBB20_115:                             ;   in Loop: Header=BB20_112 Depth=3
	s_add_i32 s29, s29, 1
	s_delay_alu instid0(SALU_CYCLE_1)
	s_add_i32 s3, s28, s29
	s_add_u32 s34, s34, 4
	s_addc_u32 s35, s35, 0
	s_add_u32 s36, s36, 4
	s_addc_u32 s37, s37, 0
	s_cmp_ge_i32 s3, s26
	s_cbranch_scc1 .LBB20_121
; %bb.116:                              ;   in Loop: Header=BB20_112 Depth=3
	v_mov_b32_e32 v8, v11
	v_mov_b32_e32 v9, v7
	global_load_b32 v10, v1, s[34:35]
	s_cmp_eq_u32 s29, 0
	s_waitcnt vmcnt(0)
	v_add_f32_e32 v7, v5, v10
	s_cbranch_scc0 .LBB20_111
	s_branch .LBB20_112
.LBB20_117:                             ;   in Loop: Header=BB20_112 Depth=3
                                        ; implicit-def: $vgpr5
	s_branch .LBB20_114
.LBB20_118:                             ;   in Loop: Header=BB20_97 Depth=2
                                        ; implicit-def: $sgpr29
	s_cbranch_execz .LBB20_96
	s_branch .LBB20_142
.LBB20_119:                             ;   in Loop: Header=BB20_97 Depth=2
	s_mov_b32 s34, 0
                                        ; implicit-def: $sgpr29
                                        ; implicit-def: $sgpr3
                                        ; implicit-def: $sgpr35
	s_cbranch_execnz .LBB20_124
	s_branch .LBB20_141
.LBB20_120:                             ;   in Loop: Header=BB20_97 Depth=2
	v_mov_b32_e32 v7, v9
.LBB20_121:                             ;   in Loop: Header=BB20_97 Depth=2
	v_mov_b32_e32 v8, v5
.LBB20_122:                             ;   in Loop: Header=BB20_97 Depth=2
	s_delay_alu instid0(VALU_DEP_1) | instskip(NEXT) | instid1(VALU_DEP_3)
	v_mul_f32_e32 v5, v8, v6
	v_add_f32_e32 v4, v4, v7
	s_add_i32 s35, s64, 1
	s_mov_b32 s34, -1
	s_clause 0x1
	global_store_b32 v1, v5, s[30:31]
	global_store_b32 v1, v4, s[4:5]
.LBB20_123:                             ;   in Loop: Header=BB20_97 Depth=2
	s_mov_b32 s29, s16
	s_mov_b32 s3, s26
	s_and_b32 vcc_lo, exec_lo, s38
	s_cbranch_vccz .LBB20_141
.LBB20_124:                             ;   in Loop: Header=BB20_97 Depth=2
	s_ashr_i32 s29, s28, 31
	s_delay_alu instid0(SALU_CYCLE_1) | instskip(NEXT) | instid1(SALU_CYCLE_1)
	s_lshl_b64 s[30:31], s[28:29], 2
	s_add_u32 s28, s10, s30
	s_addc_u32 s29, s11, s31
	s_add_u32 s30, s46, s30
	global_load_b32 v4, v1, s[28:29]
	s_addc_u32 s31, s47, s31
	global_load_b32 v5, v1, s[30:31]
	s_waitcnt vmcnt(1)
	v_mul_f32_e32 v6, 0x4f800000, v4
	v_cmp_gt_f32_e32 vcc_lo, 0xf800000, v4
	s_delay_alu instid0(VALU_DEP_2) | instskip(NEXT) | instid1(VALU_DEP_1)
	v_cndmask_b32_e32 v4, v4, v6, vcc_lo
	v_sqrt_f32_e32 v6, v4
	s_waitcnt_depctr 0xfff
	v_add_nc_u32_e32 v7, -1, v6
	v_add_nc_u32_e32 v8, 1, v6
	s_delay_alu instid0(VALU_DEP_2) | instskip(NEXT) | instid1(VALU_DEP_2)
	v_fma_f32 v9, -v7, v6, v4
	v_fma_f32 v10, -v8, v6, v4
	s_delay_alu instid0(VALU_DEP_2) | instskip(NEXT) | instid1(VALU_DEP_1)
	v_cmp_ge_f32_e64 s3, 0, v9
	v_cndmask_b32_e64 v6, v6, v7, s3
	s_delay_alu instid0(VALU_DEP_3) | instskip(NEXT) | instid1(VALU_DEP_1)
	v_cmp_lt_f32_e64 s3, 0, v10
	v_cndmask_b32_e64 v6, v6, v8, s3
	s_delay_alu instid0(VALU_DEP_1) | instskip(NEXT) | instid1(VALU_DEP_1)
	v_mul_f32_e32 v7, 0x37800000, v6
	v_cndmask_b32_e32 v6, v6, v7, vcc_lo
	v_cmp_class_f32_e64 vcc_lo, v4, 0x260
	s_waitcnt vmcnt(0)
	s_delay_alu instid0(VALU_DEP_2) | instskip(NEXT) | instid1(VALU_DEP_1)
	v_dual_sub_f32 v7, v3, v5 :: v_dual_cndmask_b32 v4, v6, v4
	v_add_f32_e32 v8, v4, v4
	s_delay_alu instid0(VALU_DEP_1) | instskip(SKIP_1) | instid1(VALU_DEP_2)
	v_cmp_ngt_f32_e64 s3, |v7|, |v8|
	v_and_b32_e32 v9, 0x7fffffff, v8
	s_and_b32 vcc_lo, exec_lo, s3
	s_cbranch_vccz .LBB20_127
; %bb.125:                              ;   in Loop: Header=BB20_97 Depth=2
	v_cmp_nlt_f32_e64 s3, |v7|, |v8|
	s_delay_alu instid0(VALU_DEP_1)
	s_and_b32 vcc_lo, exec_lo, s3
	s_cbranch_vccz .LBB20_128
; %bb.126:                              ;   in Loop: Header=BB20_97 Depth=2
	v_cvt_f64_f32_e32 v[10:11], v9
	s_delay_alu instid0(VALU_DEP_1) | instskip(NEXT) | instid1(VALU_DEP_1)
	v_mul_f64 v[10:11], v[10:11], s[12:13]
	v_cvt_f32_f64_e32 v6, v[10:11]
	s_cbranch_execz .LBB20_129
	s_branch .LBB20_130
.LBB20_127:                             ;   in Loop: Header=BB20_97 Depth=2
                                        ; implicit-def: $vgpr6
	s_branch .LBB20_131
.LBB20_128:                             ;   in Loop: Header=BB20_97 Depth=2
                                        ; implicit-def: $vgpr6
.LBB20_129:                             ;   in Loop: Header=BB20_97 Depth=2
	v_and_b32_e32 v6, 0x7fffffff, v7
	s_delay_alu instid0(VALU_DEP_1) | instskip(SKIP_1) | instid1(VALU_DEP_2)
	v_div_scale_f32 v10, null, v9, v9, v6
	v_div_scale_f32 v6, vcc_lo, v6, v9, v6
	v_rcp_f32_e32 v11, v10
	s_waitcnt_depctr 0xfff
	v_fma_f32 v12, -v10, v11, 1.0
	s_delay_alu instid0(VALU_DEP_1) | instskip(NEXT) | instid1(VALU_DEP_1)
	v_fmac_f32_e32 v11, v12, v11
	v_mul_f32_e32 v12, v6, v11
	s_delay_alu instid0(VALU_DEP_1) | instskip(NEXT) | instid1(VALU_DEP_1)
	v_fma_f32 v13, -v10, v12, v6
	v_fmac_f32_e32 v12, v13, v11
	s_delay_alu instid0(VALU_DEP_1) | instskip(NEXT) | instid1(VALU_DEP_1)
	v_fma_f32 v6, -v10, v12, v6
	v_div_fmas_f32 v6, v6, v11, v12
	s_delay_alu instid0(VALU_DEP_1) | instskip(NEXT) | instid1(VALU_DEP_1)
	v_div_fixup_f32 v6, v6, |v8|, |v7|
	v_fma_f32 v6, v6, v6, 1.0
	s_delay_alu instid0(VALU_DEP_1) | instskip(SKIP_1) | instid1(VALU_DEP_2)
	v_mul_f32_e32 v10, 0x4f800000, v6
	v_cmp_gt_f32_e32 vcc_lo, 0xf800000, v6
	v_cndmask_b32_e32 v6, v6, v10, vcc_lo
	s_delay_alu instid0(VALU_DEP_1) | instskip(SKIP_3) | instid1(VALU_DEP_2)
	v_sqrt_f32_e32 v10, v6
	s_waitcnt_depctr 0xfff
	v_add_nc_u32_e32 v11, -1, v10
	v_add_nc_u32_e32 v12, 1, v10
	v_fma_f32 v13, -v11, v10, v6
	s_delay_alu instid0(VALU_DEP_2) | instskip(NEXT) | instid1(VALU_DEP_2)
	v_fma_f32 v14, -v12, v10, v6
	v_cmp_ge_f32_e64 s3, 0, v13
	s_delay_alu instid0(VALU_DEP_1) | instskip(NEXT) | instid1(VALU_DEP_3)
	v_cndmask_b32_e64 v10, v10, v11, s3
	v_cmp_lt_f32_e64 s3, 0, v14
	s_delay_alu instid0(VALU_DEP_1) | instskip(NEXT) | instid1(VALU_DEP_1)
	v_cndmask_b32_e64 v10, v10, v12, s3
	v_mul_f32_e32 v11, 0x37800000, v10
	s_delay_alu instid0(VALU_DEP_1) | instskip(SKIP_1) | instid1(VALU_DEP_2)
	v_cndmask_b32_e32 v10, v10, v11, vcc_lo
	v_cmp_class_f32_e64 vcc_lo, v6, 0x260
	v_cndmask_b32_e32 v6, v10, v6, vcc_lo
	s_delay_alu instid0(VALU_DEP_1)
	v_mul_f32_e64 v6, |v8|, v6
.LBB20_130:                             ;   in Loop: Header=BB20_97 Depth=2
	s_cbranch_execnz .LBB20_132
.LBB20_131:                             ;   in Loop: Header=BB20_97 Depth=2
	v_and_b32_e32 v6, 0x7fffffff, v7
	s_delay_alu instid0(VALU_DEP_1) | instskip(SKIP_1) | instid1(VALU_DEP_2)
	v_div_scale_f32 v10, null, v6, v6, v9
	v_div_scale_f32 v6, vcc_lo, v9, v6, v9
	v_rcp_f32_e32 v11, v10
	s_waitcnt_depctr 0xfff
	v_fma_f32 v12, -v10, v11, 1.0
	s_delay_alu instid0(VALU_DEP_1) | instskip(NEXT) | instid1(VALU_DEP_1)
	v_fmac_f32_e32 v11, v12, v11
	v_mul_f32_e32 v9, v6, v11
	s_delay_alu instid0(VALU_DEP_1) | instskip(NEXT) | instid1(VALU_DEP_1)
	v_fma_f32 v12, -v10, v9, v6
	v_fmac_f32_e32 v9, v12, v11
	s_delay_alu instid0(VALU_DEP_1) | instskip(NEXT) | instid1(VALU_DEP_1)
	v_fma_f32 v6, -v10, v9, v6
	v_div_fmas_f32 v6, v6, v11, v9
	s_delay_alu instid0(VALU_DEP_1) | instskip(NEXT) | instid1(VALU_DEP_1)
	v_div_fixup_f32 v6, v6, |v7|, |v8|
	v_fma_f32 v6, v6, v6, 1.0
	s_delay_alu instid0(VALU_DEP_1) | instskip(SKIP_1) | instid1(VALU_DEP_2)
	v_mul_f32_e32 v8, 0x4f800000, v6
	v_cmp_gt_f32_e32 vcc_lo, 0xf800000, v6
	v_cndmask_b32_e32 v6, v6, v8, vcc_lo
	s_delay_alu instid0(VALU_DEP_1) | instskip(SKIP_3) | instid1(VALU_DEP_2)
	v_sqrt_f32_e32 v8, v6
	s_waitcnt_depctr 0xfff
	v_add_nc_u32_e32 v9, -1, v8
	v_add_nc_u32_e32 v10, 1, v8
	v_fma_f32 v11, -v9, v8, v6
	s_delay_alu instid0(VALU_DEP_2) | instskip(NEXT) | instid1(VALU_DEP_2)
	v_fma_f32 v12, -v10, v8, v6
	v_cmp_ge_f32_e64 s3, 0, v11
	s_delay_alu instid0(VALU_DEP_1) | instskip(NEXT) | instid1(VALU_DEP_3)
	v_cndmask_b32_e64 v8, v8, v9, s3
	v_cmp_lt_f32_e64 s3, 0, v12
	s_delay_alu instid0(VALU_DEP_1) | instskip(NEXT) | instid1(VALU_DEP_1)
	v_cndmask_b32_e64 v8, v8, v10, s3
	v_mul_f32_e32 v9, 0x37800000, v8
	s_delay_alu instid0(VALU_DEP_1) | instskip(SKIP_1) | instid1(VALU_DEP_2)
	v_cndmask_b32_e32 v8, v8, v9, vcc_lo
	v_cmp_class_f32_e64 vcc_lo, v6, 0x260
	v_cndmask_b32_e32 v6, v8, v6, vcc_lo
	s_delay_alu instid0(VALU_DEP_1)
	v_mul_f32_e64 v6, |v7|, v6
.LBB20_132:                             ;   in Loop: Header=BB20_97 Depth=2
	v_cmp_gt_f32_e64 vcc_lo, |v3|, |v5|
	v_add_f32_e32 v8, v3, v5
	v_cndmask_b32_e32 v7, v3, v5, vcc_lo
	v_cndmask_b32_e32 v5, v5, v3, vcc_lo
	s_delay_alu instid0(VALU_DEP_3) | instskip(NEXT) | instid1(VALU_DEP_1)
	v_cmp_ngt_f32_e64 s3, 0, v8
	s_and_b32 vcc_lo, exec_lo, s3
	s_cbranch_vccz .LBB20_135
; %bb.133:                              ;   in Loop: Header=BB20_97 Depth=2
	v_cmp_nlt_f32_e32 vcc_lo, 0, v8
	s_cbranch_vccz .LBB20_136
; %bb.134:                              ;   in Loop: Header=BB20_97 Depth=2
	v_mul_f32_e32 v3, 0.5, v6
	v_mul_f32_e32 v9, -0.5, v6
	s_cbranch_execz .LBB20_137
	s_branch .LBB20_138
.LBB20_135:                             ;   in Loop: Header=BB20_97 Depth=2
                                        ; implicit-def: $vgpr9
                                        ; implicit-def: $vgpr3
	s_branch .LBB20_139
.LBB20_136:                             ;   in Loop: Header=BB20_97 Depth=2
                                        ; implicit-def: $vgpr9
                                        ; implicit-def: $vgpr3
.LBB20_137:                             ;   in Loop: Header=BB20_97 Depth=2
	v_add_f32_e32 v3, v8, v6
	v_cvt_f64_f32_e32 v[9:10], v5
	v_cvt_f64_f32_e32 v[13:14], v4
	s_delay_alu instid0(VALU_DEP_3) | instskip(NEXT) | instid1(VALU_DEP_1)
	v_mul_f32_e32 v3, 0.5, v3
	v_cvt_f64_f32_e32 v[11:12], v3
	s_delay_alu instid0(VALU_DEP_1) | instskip(NEXT) | instid1(VALU_DEP_4)
	v_div_scale_f64 v[15:16], null, v[11:12], v[11:12], v[9:10]
	v_div_scale_f64 v[17:18], null, v[11:12], v[11:12], v[13:14]
	v_div_scale_f64 v[27:28], vcc_lo, v[9:10], v[11:12], v[9:10]
	s_delay_alu instid0(VALU_DEP_3) | instskip(NEXT) | instid1(VALU_DEP_2)
	v_rcp_f64_e32 v[19:20], v[15:16]
	v_rcp_f64_e32 v[21:22], v[17:18]
	s_waitcnt_depctr 0xfff
	v_fma_f64 v[23:24], -v[15:16], v[19:20], 1.0
	v_fma_f64 v[25:26], -v[17:18], v[21:22], 1.0
	s_delay_alu instid0(VALU_DEP_2) | instskip(NEXT) | instid1(VALU_DEP_2)
	v_fma_f64 v[19:20], v[19:20], v[23:24], v[19:20]
	v_fma_f64 v[21:22], v[21:22], v[25:26], v[21:22]
	s_delay_alu instid0(VALU_DEP_2) | instskip(NEXT) | instid1(VALU_DEP_2)
	v_fma_f64 v[23:24], -v[15:16], v[19:20], 1.0
	v_fma_f64 v[25:26], -v[17:18], v[21:22], 1.0
	s_delay_alu instid0(VALU_DEP_2) | instskip(SKIP_1) | instid1(VALU_DEP_3)
	v_fma_f64 v[19:20], v[19:20], v[23:24], v[19:20]
	v_div_scale_f64 v[23:24], s3, v[13:14], v[11:12], v[13:14]
	v_fma_f64 v[21:22], v[21:22], v[25:26], v[21:22]
	s_delay_alu instid0(VALU_DEP_3) | instskip(NEXT) | instid1(VALU_DEP_2)
	v_mul_f64 v[25:26], v[27:28], v[19:20]
	v_mul_f64 v[29:30], v[23:24], v[21:22]
	s_delay_alu instid0(VALU_DEP_2) | instskip(NEXT) | instid1(VALU_DEP_2)
	v_fma_f64 v[15:16], -v[15:16], v[25:26], v[27:28]
	v_fma_f64 v[17:18], -v[17:18], v[29:30], v[23:24]
	s_delay_alu instid0(VALU_DEP_2) | instskip(SKIP_1) | instid1(VALU_DEP_2)
	v_div_fmas_f64 v[15:16], v[15:16], v[19:20], v[25:26]
	s_mov_b32 vcc_lo, s3
	v_div_fmas_f64 v[17:18], v[17:18], v[21:22], v[29:30]
	s_delay_alu instid0(VALU_DEP_2) | instskip(NEXT) | instid1(VALU_DEP_2)
	v_div_fixup_f64 v[9:10], v[15:16], v[11:12], v[9:10]
	v_div_fixup_f64 v[17:18], v[17:18], v[11:12], v[13:14]
	v_cvt_f64_f32_e32 v[11:12], v7
	s_delay_alu instid0(VALU_DEP_2) | instskip(NEXT) | instid1(VALU_DEP_1)
	v_mul_f64 v[13:14], v[17:18], v[13:14]
	v_fma_f64 v[9:10], v[9:10], v[11:12], -v[13:14]
	s_delay_alu instid0(VALU_DEP_1)
	v_cvt_f32_f64_e32 v9, v[9:10]
.LBB20_138:                             ;   in Loop: Header=BB20_97 Depth=2
	s_cbranch_execnz .LBB20_140
.LBB20_139:                             ;   in Loop: Header=BB20_97 Depth=2
	v_sub_f32_e32 v3, v8, v6
	v_cvt_f64_f32_e32 v[5:6], v5
	v_cvt_f64_f32_e32 v[10:11], v4
	s_delay_alu instid0(VALU_DEP_3) | instskip(NEXT) | instid1(VALU_DEP_1)
	v_mul_f32_e32 v3, 0.5, v3
	v_cvt_f64_f32_e32 v[8:9], v3
	s_delay_alu instid0(VALU_DEP_1) | instskip(NEXT) | instid1(VALU_DEP_4)
	v_div_scale_f64 v[12:13], null, v[8:9], v[8:9], v[5:6]
	v_div_scale_f64 v[14:15], null, v[8:9], v[8:9], v[10:11]
	v_div_scale_f64 v[24:25], vcc_lo, v[5:6], v[8:9], v[5:6]
	s_delay_alu instid0(VALU_DEP_3) | instskip(NEXT) | instid1(VALU_DEP_2)
	v_rcp_f64_e32 v[16:17], v[12:13]
	v_rcp_f64_e32 v[18:19], v[14:15]
	s_waitcnt_depctr 0xfff
	v_fma_f64 v[20:21], -v[12:13], v[16:17], 1.0
	v_fma_f64 v[22:23], -v[14:15], v[18:19], 1.0
	s_delay_alu instid0(VALU_DEP_2) | instskip(NEXT) | instid1(VALU_DEP_2)
	v_fma_f64 v[16:17], v[16:17], v[20:21], v[16:17]
	v_fma_f64 v[18:19], v[18:19], v[22:23], v[18:19]
	s_delay_alu instid0(VALU_DEP_2) | instskip(NEXT) | instid1(VALU_DEP_2)
	v_fma_f64 v[20:21], -v[12:13], v[16:17], 1.0
	v_fma_f64 v[22:23], -v[14:15], v[18:19], 1.0
	s_delay_alu instid0(VALU_DEP_2) | instskip(SKIP_1) | instid1(VALU_DEP_3)
	v_fma_f64 v[16:17], v[16:17], v[20:21], v[16:17]
	v_div_scale_f64 v[20:21], s3, v[10:11], v[8:9], v[10:11]
	v_fma_f64 v[18:19], v[18:19], v[22:23], v[18:19]
	s_delay_alu instid0(VALU_DEP_3) | instskip(NEXT) | instid1(VALU_DEP_2)
	v_mul_f64 v[22:23], v[24:25], v[16:17]
	v_mul_f64 v[26:27], v[20:21], v[18:19]
	s_delay_alu instid0(VALU_DEP_2) | instskip(NEXT) | instid1(VALU_DEP_2)
	v_fma_f64 v[12:13], -v[12:13], v[22:23], v[24:25]
	v_fma_f64 v[14:15], -v[14:15], v[26:27], v[20:21]
	s_delay_alu instid0(VALU_DEP_2) | instskip(SKIP_1) | instid1(VALU_DEP_2)
	v_div_fmas_f64 v[12:13], v[12:13], v[16:17], v[22:23]
	s_mov_b32 vcc_lo, s3
	v_div_fmas_f64 v[14:15], v[14:15], v[18:19], v[26:27]
	s_delay_alu instid0(VALU_DEP_2) | instskip(SKIP_1) | instid1(VALU_DEP_3)
	v_div_fixup_f64 v[4:5], v[12:13], v[8:9], v[5:6]
	v_cvt_f64_f32_e32 v[6:7], v7
	v_div_fixup_f64 v[14:15], v[14:15], v[8:9], v[10:11]
	s_delay_alu instid0(VALU_DEP_1) | instskip(NEXT) | instid1(VALU_DEP_1)
	v_mul_f64 v[8:9], v[14:15], v[10:11]
	v_fma_f64 v[4:5], v[4:5], v[6:7], -v[8:9]
	s_delay_alu instid0(VALU_DEP_1)
	v_cvt_f32_f64_e32 v9, v[4:5]
.LBB20_140:                             ;   in Loop: Header=BB20_97 Depth=2
	s_add_i32 s3, s26, -2
	s_mov_b32 s34, -1
	s_mov_b32 s35, s64
	s_clause 0x2
	global_store_b32 v1, v3, s[4:5]
	global_store_b32 v1, v9, s[30:31]
	;; [unrolled: 1-line block ×3, first 2 shown]
                                        ; implicit-def: $sgpr29
.LBB20_141:                             ;   in Loop: Header=BB20_97 Depth=2
	s_mov_b32 s64, s35
	s_and_b32 vcc_lo, exec_lo, s34
	s_cbranch_vccz .LBB20_96
.LBB20_142:                             ;   in Loop: Header=BB20_97 Depth=2
	s_cmp_lt_i32 s3, s66
	s_mov_b32 s29, s64
	s_cselect_b32 s4, -1, 0
	s_cmp_ge_i32 s64, s16
	s_cselect_b32 s5, -1, 0
	s_delay_alu instid0(SALU_CYCLE_1)
	s_or_b32 s27, s4, s5
	s_branch .LBB20_96
.LBB20_143:                             ;   in Loop: Header=BB20_4 Depth=1
	s_mov_b32 s64, s29
.LBB20_144:                             ;   in Loop: Header=BB20_4 Depth=1
	s_delay_alu instid0(SALU_CYCLE_1)
	s_mov_b32 s35, s64
	v_cmp_lt_f32_e32 vcc_lo, s19, v2
	s_and_not1_b32 vcc_lo, exec_lo, vcc_lo
	s_cbranch_vccnz .LBB20_148
.LBB20_145:                             ;   in Loop: Header=BB20_4 Depth=1
	global_load_b32 v4, v1, s[24:25]
	s_waitcnt vmcnt(1)
	v_div_scale_f32 v3, null, v2, v2, s19
	s_delay_alu instid0(VALU_DEP_1) | instskip(SKIP_2) | instid1(VALU_DEP_1)
	v_rcp_f32_e32 v5, v3
	s_waitcnt_depctr 0xfff
	v_fma_f32 v6, -v3, v5, 1.0
	v_fmac_f32_e32 v5, v6, v5
	v_div_scale_f32 v6, vcc_lo, s19, v2, s19
	s_delay_alu instid0(VALU_DEP_1) | instskip(NEXT) | instid1(VALU_DEP_1)
	v_mul_f32_e32 v7, v6, v5
	v_fma_f32 v8, -v3, v7, v6
	s_delay_alu instid0(VALU_DEP_1) | instskip(NEXT) | instid1(VALU_DEP_1)
	v_fmac_f32_e32 v7, v8, v5
	v_fma_f32 v3, -v3, v7, v6
	s_delay_alu instid0(VALU_DEP_1) | instskip(SKIP_1) | instid1(VALU_DEP_1)
	v_div_fmas_f32 v3, v3, v5, v7
	s_and_b32 vcc_lo, exec_lo, s2
	v_div_fixup_f32 v3, v3, v2, s19
	s_waitcnt vmcnt(0)
	s_delay_alu instid0(VALU_DEP_1)
	v_mul_f32_e32 v4, v3, v4
	global_store_b32 v1, v4, s[24:25]
	s_cbranch_vccnz .LBB20_148
; %bb.146:                              ;   in Loop: Header=BB20_4 Depth=1
	s_add_u32 s4, s57, s22
	s_addc_u32 s5, s58, s23
	s_add_u32 s26, s53, s22
	s_addc_u32 s27, s54, s23
	s_mov_b32 s3, s65
	.p2align	6
.LBB20_147:                             ;   Parent Loop BB20_4 Depth=1
                                        ; =>  This Inner Loop Header: Depth=2
	global_load_b32 v4, v1, s[4:5]
	s_add_i32 s3, s3, 1
	s_waitcnt vmcnt(0)
	v_mul_f32_e32 v4, v3, v4
	global_store_b32 v1, v4, s[4:5]
	global_load_b32 v4, v1, s[26:27]
	s_add_u32 s4, s4, 4
	s_addc_u32 s5, s5, 0
	s_waitcnt vmcnt(0)
	v_mul_f32_e32 v4, v3, v4
	global_store_b32 v1, v4, s[26:27]
	s_add_u32 s26, s26, 4
	s_addc_u32 s27, s27, 0
	s_cmp_lt_i32 s3, s14
	s_cbranch_scc1 .LBB20_147
.LBB20_148:                             ;   in Loop: Header=BB20_4 Depth=1
	v_cmp_ngt_f32_e32 vcc_lo, s18, v2
	s_cbranch_vccnz .LBB20_2
; %bb.149:                              ;   in Loop: Header=BB20_4 Depth=1
	global_load_b32 v3, v1, s[24:25]
	v_div_scale_f32 v4, null, v2, v2, s18
	s_delay_alu instid0(VALU_DEP_1) | instskip(SKIP_2) | instid1(VALU_DEP_1)
	v_rcp_f32_e32 v5, v4
	s_waitcnt_depctr 0xfff
	v_fma_f32 v6, -v4, v5, 1.0
	v_fmac_f32_e32 v5, v6, v5
	v_div_scale_f32 v6, vcc_lo, s18, v2, s18
	s_delay_alu instid0(VALU_DEP_1) | instskip(NEXT) | instid1(VALU_DEP_1)
	v_mul_f32_e32 v7, v6, v5
	v_fma_f32 v8, -v4, v7, v6
	s_delay_alu instid0(VALU_DEP_1) | instskip(NEXT) | instid1(VALU_DEP_1)
	v_fmac_f32_e32 v7, v8, v5
	v_fma_f32 v4, -v4, v7, v6
	s_delay_alu instid0(VALU_DEP_1) | instskip(SKIP_1) | instid1(VALU_DEP_1)
	v_div_fmas_f32 v4, v4, v5, v7
	s_and_b32 vcc_lo, exec_lo, s2
	v_div_fixup_f32 v2, v4, v2, s18
	s_waitcnt vmcnt(0)
	s_delay_alu instid0(VALU_DEP_1)
	v_mul_f32_e32 v3, v2, v3
	global_store_b32 v1, v3, s[24:25]
	s_cbranch_vccnz .LBB20_2
; %bb.150:                              ;   in Loop: Header=BB20_4 Depth=1
	s_add_u32 s2, s57, s22
	s_addc_u32 s3, s58, s23
	s_add_u32 s4, s53, s22
	s_addc_u32 s5, s54, s23
	.p2align	6
.LBB20_151:                             ;   Parent Loop BB20_4 Depth=1
                                        ; =>  This Inner Loop Header: Depth=2
	global_load_b32 v3, v1, s[2:3]
	s_add_i32 s65, s65, 1
	s_waitcnt vmcnt(0)
	v_mul_f32_e32 v3, v2, v3
	global_store_b32 v1, v3, s[2:3]
	global_load_b32 v3, v1, s[4:5]
	s_add_u32 s2, s2, 4
	s_addc_u32 s3, s3, 0
	s_waitcnt vmcnt(0)
	v_mul_f32_e32 v3, v2, v3
	global_store_b32 v1, v3, s[4:5]
	s_add_u32 s4, s4, 4
	s_addc_u32 s5, s5, 0
	s_cmp_lt_i32 s65, s14
	s_cbranch_scc1 .LBB20_151
	s_branch .LBB20_2
.LBB20_152:
	s_cmp_lt_i32 s33, 2
	s_cbranch_scc1 .LBB20_163
; %bb.153:
	s_load_b64 s[0:1], s[0:1], 0x28
	s_lshl_b64 s[2:3], s[20:21], 2
	v_mov_b32_e32 v0, 0
	s_waitcnt lgkmcnt(0)
	s_add_u32 s0, s0, s2
	s_addc_u32 s1, s1, s3
	s_mov_b32 s2, 1
	s_branch .LBB20_155
.LBB20_154:                             ;   in Loop: Header=BB20_155 Depth=1
	s_add_i32 s2, s2, 1
	s_add_u32 s10, s10, 4
	s_addc_u32 s11, s11, 0
	s_cmp_lg_u32 s33, s2
	s_cbranch_scc0 .LBB20_157
.LBB20_155:                             ; =>This Inner Loop Header: Depth=1
	global_load_b32 v1, v0, s[10:11]
	s_waitcnt vmcnt(0)
	v_cmp_eq_f32_e32 vcc_lo, 0, v1
	s_cbranch_vccnz .LBB20_154
; %bb.156:                              ;   in Loop: Header=BB20_155 Depth=1
	global_load_b32 v1, v0, s[0:1]
	s_waitcnt vmcnt(0)
	v_add_nc_u32_e32 v1, 1, v1
	global_store_b32 v0, v1, s[0:1]
	s_branch .LBB20_154
.LBB20_157:
	s_add_u32 s10, s46, -4
	s_addc_u32 s11, s47, -1
	s_add_u32 s0, s6, s8
	v_mov_b32_e32 v0, 0
	s_addc_u32 s1, s7, s9
	s_add_u32 s0, s0, 4
	s_addc_u32 s1, s1, 0
	s_mov_b32 s2, 1
	s_set_inst_prefetch_distance 0x1
	s_branch .LBB20_159
	.p2align	6
.LBB20_158:                             ;   in Loop: Header=BB20_159 Depth=1
	s_add_i32 s2, s2, 1
	s_add_u32 s0, s0, 4
	s_addc_u32 s1, s1, 0
	s_cmp_lg_u32 s2, s33
	s_cbranch_scc0 .LBB20_163
.LBB20_159:                             ; =>This Loop Header: Depth=1
                                        ;     Child Loop BB20_160 Depth 2
	s_ashr_i32 s3, s2, 31
	s_mov_b64 s[8:9], s[0:1]
	s_lshl_b64 s[4:5], s[2:3], 2
	s_add_i32 s3, s2, -1
	s_add_u32 s4, s10, s4
	s_addc_u32 s5, s11, s5
	s_mov_b32 s7, s2
	global_load_b32 v1, v0, s[4:5]
	s_mov_b32 s6, s3
	s_waitcnt vmcnt(0)
	v_mov_b32_e32 v2, v1
.LBB20_160:                             ;   Parent Loop BB20_159 Depth=1
                                        ; =>  This Inner Loop Header: Depth=2
	global_load_b32 v3, v0, s[8:9]
	s_waitcnt vmcnt(0)
	v_cmp_lt_f32_e32 vcc_lo, v3, v2
	s_and_b32 s12, vcc_lo, exec_lo
	v_cndmask_b32_e32 v2, v2, v3, vcc_lo
	s_cselect_b32 s6, s7, s6
	s_add_i32 s7, s7, 1
	s_add_u32 s8, s8, 4
	s_addc_u32 s9, s9, 0
	s_cmp_ge_i32 s7, s33
	s_cbranch_scc0 .LBB20_160
; %bb.161:                              ;   in Loop: Header=BB20_159 Depth=1
	s_cmp_lg_u32 s6, s3
	s_cbranch_scc0 .LBB20_158
; %bb.162:                              ;   in Loop: Header=BB20_159 Depth=1
	s_ashr_i32 s7, s6, 31
	s_delay_alu instid0(SALU_CYCLE_1) | instskip(NEXT) | instid1(SALU_CYCLE_1)
	s_lshl_b64 s[6:7], s[6:7], 2
	s_add_u32 s6, s46, s6
	s_addc_u32 s7, s47, s7
	s_clause 0x1
	global_store_b32 v0, v1, s[6:7]
	global_store_b32 v0, v2, s[4:5]
	s_branch .LBB20_158
.LBB20_163:
	s_set_inst_prefetch_distance 0x2
	s_nop 0
	s_sendmsg sendmsg(MSG_DEALLOC_VGPRS)
	s_endpgm
	.section	.rodata,"a",@progbits
	.p2align	6, 0x0
	.amdhsa_kernel _ZN9rocsolver6v33100L12sterf_kernelIfEEviPT_lS3_lPiS4_iS2_S2_S2_
		.amdhsa_group_segment_fixed_size 0
		.amdhsa_private_segment_fixed_size 0
		.amdhsa_kernarg_size 72
		.amdhsa_user_sgpr_count 15
		.amdhsa_user_sgpr_dispatch_ptr 0
		.amdhsa_user_sgpr_queue_ptr 0
		.amdhsa_user_sgpr_kernarg_segment_ptr 1
		.amdhsa_user_sgpr_dispatch_id 0
		.amdhsa_user_sgpr_private_segment_size 0
		.amdhsa_wavefront_size32 1
		.amdhsa_uses_dynamic_stack 0
		.amdhsa_enable_private_segment 0
		.amdhsa_system_sgpr_workgroup_id_x 1
		.amdhsa_system_sgpr_workgroup_id_y 0
		.amdhsa_system_sgpr_workgroup_id_z 0
		.amdhsa_system_sgpr_workgroup_info 0
		.amdhsa_system_vgpr_workitem_id 0
		.amdhsa_next_free_vgpr 31
		.amdhsa_next_free_sgpr 68
		.amdhsa_reserve_vcc 1
		.amdhsa_float_round_mode_32 0
		.amdhsa_float_round_mode_16_64 0
		.amdhsa_float_denorm_mode_32 3
		.amdhsa_float_denorm_mode_16_64 3
		.amdhsa_dx10_clamp 1
		.amdhsa_ieee_mode 1
		.amdhsa_fp16_overflow 0
		.amdhsa_workgroup_processor_mode 1
		.amdhsa_memory_ordered 1
		.amdhsa_forward_progress 0
		.amdhsa_shared_vgpr_count 0
		.amdhsa_exception_fp_ieee_invalid_op 0
		.amdhsa_exception_fp_denorm_src 0
		.amdhsa_exception_fp_ieee_div_zero 0
		.amdhsa_exception_fp_ieee_overflow 0
		.amdhsa_exception_fp_ieee_underflow 0
		.amdhsa_exception_fp_ieee_inexact 0
		.amdhsa_exception_int_div_zero 0
	.end_amdhsa_kernel
	.section	.text._ZN9rocsolver6v33100L12sterf_kernelIfEEviPT_lS3_lPiS4_iS2_S2_S2_,"axG",@progbits,_ZN9rocsolver6v33100L12sterf_kernelIfEEviPT_lS3_lPiS4_iS2_S2_S2_,comdat
.Lfunc_end20:
	.size	_ZN9rocsolver6v33100L12sterf_kernelIfEEviPT_lS3_lPiS4_iS2_S2_S2_, .Lfunc_end20-_ZN9rocsolver6v33100L12sterf_kernelIfEEviPT_lS3_lPiS4_iS2_S2_S2_
                                        ; -- End function
	.section	.AMDGPU.csdata,"",@progbits
; Kernel info:
; codeLenInByte = 9260
; NumSgprs: 70
; NumVgprs: 31
; ScratchSize: 0
; MemoryBound: 0
; FloatMode: 240
; IeeeMode: 1
; LDSByteSize: 0 bytes/workgroup (compile time only)
; SGPRBlocks: 8
; VGPRBlocks: 3
; NumSGPRsForWavesPerEU: 70
; NumVGPRsForWavesPerEU: 31
; Occupancy: 16
; WaveLimiterHint : 0
; COMPUTE_PGM_RSRC2:SCRATCH_EN: 0
; COMPUTE_PGM_RSRC2:USER_SGPR: 15
; COMPUTE_PGM_RSRC2:TRAP_HANDLER: 0
; COMPUTE_PGM_RSRC2:TGID_X_EN: 1
; COMPUTE_PGM_RSRC2:TGID_Y_EN: 0
; COMPUTE_PGM_RSRC2:TGID_Z_EN: 0
; COMPUTE_PGM_RSRC2:TIDIG_COMP_CNT: 0
	.section	.text._ZN9rocsolver6v33100L11lasr_kernelIffPfiEEv13rocblas_side_14rocblas_pivot_15rocblas_direct_T2_S6_PT0_lS8_lT1_lS6_lS6_,"axG",@progbits,_ZN9rocsolver6v33100L11lasr_kernelIffPfiEEv13rocblas_side_14rocblas_pivot_15rocblas_direct_T2_S6_PT0_lS8_lT1_lS6_lS6_,comdat
	.globl	_ZN9rocsolver6v33100L11lasr_kernelIffPfiEEv13rocblas_side_14rocblas_pivot_15rocblas_direct_T2_S6_PT0_lS8_lT1_lS6_lS6_ ; -- Begin function _ZN9rocsolver6v33100L11lasr_kernelIffPfiEEv13rocblas_side_14rocblas_pivot_15rocblas_direct_T2_S6_PT0_lS8_lT1_lS6_lS6_
	.p2align	8
	.type	_ZN9rocsolver6v33100L11lasr_kernelIffPfiEEv13rocblas_side_14rocblas_pivot_15rocblas_direct_T2_S6_PT0_lS8_lT1_lS6_lS6_,@function
_ZN9rocsolver6v33100L11lasr_kernelIffPfiEEv13rocblas_side_14rocblas_pivot_15rocblas_direct_T2_S6_PT0_lS8_lT1_lS6_lS6_: ; @_ZN9rocsolver6v33100L11lasr_kernelIffPfiEEv13rocblas_side_14rocblas_pivot_15rocblas_direct_T2_S6_PT0_lS8_lT1_lS6_lS6_
; %bb.0:
	s_load_b32 s33, s[0:1], 0x58
	s_waitcnt lgkmcnt(0)
	s_cmp_ge_u32 s15, s33
	s_cbranch_scc1 .LBB21_98
; %bb.1:
	s_clause 0x5
	s_load_b32 s12, s[0:1], 0x48
	s_load_b128 s[20:23], s[0:1], 0x38
	s_load_b64 s[24:25], s[0:1], 0x68
	s_load_b128 s[16:19], s[0:1], 0x0
	s_load_b32 s52, s[0:1], 0x10
	s_load_b32 s28, s[0:1], 0x60
	s_mov_b32 s43, 0
	v_mov_b32_e32 v32, 0
	s_mov_b32 s45, s43
	s_waitcnt lgkmcnt(0)
	s_ashr_i32 s13, s12, 31
	s_lshl_b64 s[2:3], s[22:23], 2
	s_and_b32 s26, s25, 0xffff
	s_add_u32 s25, s20, s2
	s_addc_u32 s53, s21, s3
	s_cmpk_lg_i32 s16, 0x8d
	v_mad_u64_u32 v[1:2], null, s14, s26, v[0:1]
	s_cselect_b32 s27, -1, 0
	s_cmpk_lg_i32 s16, 0x8e
	s_mov_b32 s22, s19
	s_cselect_b32 s30, -1, 0
	s_cmpk_lg_i32 s17, 0x119
	s_cselect_b32 s29, -1, 0
	s_cmpk_lg_i32 s17, 0x11b
	v_mad_i64_i32 v[2:3], null, s12, v1, 0
	s_cselect_b32 s31, -1, 0
	s_cmpk_lg_i32 s17, 0x11a
	s_load_b64 s[16:17], s[0:1], 0x50
	s_cselect_b32 s34, -1, 0
	s_cmpk_lg_i32 s18, 0xab
	s_mul_i32 s26, s28, s26
	s_cselect_b32 s35, -1, 0
	s_or_b32 s36, s27, s29
	s_ashr_i32 s23, s19, 31
	s_or_b32 s4, s36, s35
	s_add_i32 s42, s19, -2
	s_xor_b32 s14, s4, -1
	s_cmpk_lg_i32 s18, 0xac
	s_load_b256 s[4:11], s[0:1], 0x18
	s_cselect_b32 s37, -1, 0
	v_lshlrev_b64 v[2:3], 2, v[2:3]
	s_or_b32 s0, s36, s37
	v_cmp_le_i32_e32 vcc_lo, s19, v1
	s_xor_b32 s18, s0, -1
	s_cmp_gt_i32 s19, 1
	v_cmp_gt_i32_e64 s0, s52, v1
	s_cselect_b32 s54, -1, 0
	s_or_b32 s1, s27, s34
	s_or_b32 s27, s27, s31
	;; [unrolled: 1-line block ×9, first 2 shown]
	s_xor_b32 s55, s29, -1
	s_xor_b32 s56, s1, -1
	;; [unrolled: 1-line block ×5, first 2 shown]
	s_add_i32 s60, s52, -1
	s_xor_b32 s61, s28, -1
	s_add_i32 s44, s52, -2
	s_cmp_gt_i32 s52, 1
	s_mul_i32 s36, s12, s26
	s_cselect_b32 s62, -1, 0
	s_or_b32 s27, s30, s34
	s_lshl_b64 s[38:39], s[42:43], 2
	s_or_b32 s34, s27, s35
	s_or_b32 s27, s27, s37
	s_xor_b32 s63, s34, -1
	s_xor_b32 s64, s27, -1
	s_or_b32 s27, s30, s31
	s_or_b32 s30, s37, vcc_lo
	v_add_co_u32 v4, vcc_lo, v2, s2
	v_add_co_ci_u32_e32 v3, vcc_lo, s3, v3, vcc_lo
	s_or_b32 s31, s27, s35
	s_or_b32 s27, s27, s30
	s_mul_hi_i32 s37, s12, s26
	v_add_co_u32 v0, vcc_lo, s20, v4
	s_xor_b32 s65, s31, -1
	s_xor_b32 s66, s27, -1
	s_add_i32 s30, s19, -1
	s_waitcnt lgkmcnt(0)
	s_lshl_b64 s[34:35], s[16:17], 2
	s_ashr_i32 s27, s26, 31
	s_lshl_b64 s[36:37], s[36:37], 2
	s_lshl_b64 s[6:7], s[6:7], 2
	s_lshl_b64 s[10:11], s[10:11], 2
	v_add_co_ci_u32_e32 v15, vcc_lo, s21, v3, vcc_lo
	s_add_u32 s67, s4, s38
	s_addc_u32 s68, s5, s39
	s_add_u32 s69, s8, s38
	v_add_co_u32 v16, vcc_lo, v0, 4
	s_addc_u32 s70, s9, s39
	s_add_u32 s31, s20, s38
	v_add_co_ci_u32_e32 v17, vcc_lo, 0, v15, vcc_lo
	s_addc_u32 s38, s21, s39
	v_add_co_u32 v18, vcc_lo, s31, v4
	v_add_co_ci_u32_e32 v19, vcc_lo, s38, v3, vcc_lo
	s_mov_b32 s31, s43
	s_mul_i32 s28, s12, s60
	s_lshl_b64 s[38:39], s[30:31], 2
	v_add_co_u32 v20, vcc_lo, v18, 4
	s_add_i32 s31, s19, 1
	s_mul_i32 s40, s13, s60
	s_mul_hi_u32 s41, s12, s60
	s_add_u32 s38, s20, s38
	v_add_co_ci_u32_e32 v21, vcc_lo, 0, v19, vcc_lo
	s_addc_u32 s39, s21, s39
	s_add_i32 s41, s41, s40
	s_mov_b32 s40, s28
	v_add_co_u32 v22, vcc_lo, s38, v4
	s_lshl_b64 s[46:47], s[40:41], 2
	v_add_co_ci_u32_e32 v23, vcc_lo, s39, v3, vcc_lo
	s_lshl_b64 s[38:39], s[12:13], 2
	s_lshl_b64 s[40:41], s[26:27], 2
	s_add_u32 s27, s46, s2
	v_ashrrev_i32_e32 v2, 31, v1
	s_addc_u32 s42, s47, s3
	s_add_u32 s46, s20, s27
	s_addc_u32 s47, s21, s42
	s_lshl_b64 s[42:43], s[44:45], 2
	v_lshlrev_b64 v[2:3], 2, v[1:2]
	s_add_u32 s27, s4, s42
	s_addc_u32 s71, s5, s43
	s_add_u32 s72, s8, s42
	s_mul_i32 s42, s13, s44
	s_mul_hi_u32 s45, s12, s44
	s_addc_u32 s13, s9, s43
	s_add_i32 s43, s45, s42
	s_mul_i32 s42, s12, s44
	v_add_co_u32 v24, vcc_lo, s25, v2
	s_lshl_b64 s[42:43], s[42:43], 2
	v_add_co_ci_u32_e32 v25, vcc_lo, s53, v3, vcc_lo
	s_add_u32 s42, s42, s2
	s_addc_u32 s43, s43, s3
	v_add_co_u32 v26, vcc_lo, s46, v2
	s_add_u32 s42, s20, s42
	s_addc_u32 s43, s21, s43
	v_add_co_ci_u32_e32 v27, vcc_lo, s47, v3, vcc_lo
	s_add_u32 s2, s2, s38
	v_add_co_u32 v28, vcc_lo, s42, v2
	s_addc_u32 s3, s3, s39
	s_add_u32 s2, s20, s2
	v_add_co_ci_u32_e32 v29, vcc_lo, s43, v3, vcc_lo
	s_addc_u32 s3, s21, s3
	v_add_co_u32 v30, vcc_lo, s2, v2
	v_cmp_gt_i32_e64 s1, s19, v1
	v_add_co_ci_u32_e32 v31, vcc_lo, s3, v3, vcc_lo
	s_add_i32 s73, s52, 1
	s_sub_u32 s74, 0, s38
	s_mul_hi_i32 s29, s12, s60
	s_subb_u32 s75, 0, s39
	s_branch .LBB21_4
.LBB21_2:                               ;   in Loop: Header=BB21_4 Depth=1
	s_or_b32 exec_lo, exec_lo, s42
.LBB21_3:                               ;   in Loop: Header=BB21_4 Depth=1
	s_add_i32 s15, s15, s24
	s_delay_alu instid0(SALU_CYCLE_1)
	s_cmp_ge_u32 s15, s33
	s_cbranch_scc1 .LBB21_98
.LBB21_4:                               ; =>This Loop Header: Depth=1
                                        ;     Child Loop BB21_8 Depth 2
                                        ;       Child Loop BB21_9 Depth 3
                                        ;     Child Loop BB21_16 Depth 2
                                        ;       Child Loop BB21_17 Depth 3
	;; [unrolled: 2-line block ×12, first 2 shown]
	s_mul_i32 s2, s7, s15
	s_mul_hi_u32 s3, s6, s15
	s_mul_i32 s80, s6, s15
	s_add_i32 s51, s3, s2
	s_mul_i32 s2, s11, s15
	s_mul_hi_u32 s3, s10, s15
	s_mul_i32 s81, s10, s15
	s_add_i32 s50, s3, s2
	;; [unrolled: 4-line block ×3, first 2 shown]
	s_add_u32 s20, s4, s80
	s_addc_u32 s21, s5, s51
	s_mul_i32 s2, s15, s17
	s_mul_hi_u32 s3, s15, s16
	s_add_u32 s42, s8, s81
	s_addc_u32 s43, s9, s50
	s_add_i32 s3, s3, s2
	s_mul_i32 s2, s15, s16
	v_add_co_u32 v2, vcc_lo, v16, s79
	s_lshl_b64 s[2:3], s[2:3], 2
	v_add_co_ci_u32_e32 v3, vcc_lo, s78, v17, vcc_lo
	s_add_u32 s76, s25, s2
	s_addc_u32 s77, s53, s3
	s_and_not1_b32 vcc_lo, exec_lo, s14
	s_mov_b32 s2, -1
	s_cbranch_vccnz .LBB21_11
; %bb.5:                                ;   in Loop: Header=BB21_4 Depth=1
	s_and_saveexec_b32 s46, s0
	s_cbranch_execz .LBB21_10
; %bb.6:                                ;   in Loop: Header=BB21_4 Depth=1
	s_lshl_b64 s[2:3], s[22:23], 2
	v_dual_mov_b32 v5, v3 :: v_dual_mov_b32 v4, v2
	s_add_u32 s2, s76, s2
	v_mov_b32_e32 v10, v1
	s_addc_u32 s3, s77, s3
	s_add_u32 s47, s2, -4
	s_addc_u32 s48, s3, -1
	s_mov_b32 s49, 0
	s_branch .LBB21_8
.LBB21_7:                               ;   in Loop: Header=BB21_8 Depth=2
	v_add_nc_u32_e32 v10, s26, v10
	v_add_co_u32 v6, vcc_lo, s47, v6
	v_add_co_ci_u32_e32 v7, vcc_lo, s48, v7, vcc_lo
	s_delay_alu instid0(VALU_DEP_3) | instskip(SKIP_1) | instid1(VALU_DEP_1)
	v_cmp_le_i32_e32 vcc_lo, s52, v10
	v_add_co_u32 v4, s2, v4, s36
	v_add_co_ci_u32_e64 v5, s2, s37, v5, s2
	s_or_b32 s49, vcc_lo, s49
	s_waitcnt vmcnt(0)
	global_store_b32 v[6:7], v11, off
	s_and_not1_b32 exec_lo, exec_lo, s49
	s_cbranch_execz .LBB21_10
.LBB21_8:                               ;   Parent Loop BB21_4 Depth=1
                                        ; =>  This Loop Header: Depth=2
                                        ;       Child Loop BB21_9 Depth 3
	v_mad_i64_i32 v[6:7], null, v10, s12, 0
	s_mov_b64 s[2:3], s[42:43]
	s_mov_b64 s[44:45], s[20:21]
	s_mov_b32 s82, s30
	s_delay_alu instid0(VALU_DEP_1) | instskip(NEXT) | instid1(VALU_DEP_1)
	v_lshlrev_b64 v[6:7], 2, v[6:7]
	v_add_co_u32 v8, vcc_lo, s76, v6
	s_delay_alu instid0(VALU_DEP_2)
	v_add_co_ci_u32_e32 v9, vcc_lo, s77, v7, vcc_lo
	s_and_not1_b32 vcc_lo, exec_lo, s54
	global_load_b32 v11, v[8:9], off
	v_dual_mov_b32 v9, v5 :: v_dual_mov_b32 v8, v4
	s_cbranch_vccnz .LBB21_7
	.p2align	6
.LBB21_9:                               ;   Parent Loop BB21_4 Depth=1
                                        ;     Parent Loop BB21_8 Depth=2
                                        ; =>    This Inner Loop Header: Depth=3
	global_load_b32 v12, v32, s[2:3]
	global_load_b32 v13, v[8:9], off
	global_load_b32 v14, v32, s[44:45]
	s_add_i32 s82, s82, -1
	s_add_u32 s44, s44, 4
	s_addc_u32 s45, s45, 0
	s_add_u32 s2, s2, 4
	s_addc_u32 s3, s3, 0
	s_cmp_eq_u32 s82, 0
	s_waitcnt vmcnt(1)
	v_dual_mul_f32 v33, v12, v13 :: v_dual_mul_f32 v12, v11, v12
	s_waitcnt vmcnt(0)
	s_delay_alu instid0(VALU_DEP_1) | instskip(NEXT) | instid1(VALU_DEP_2)
	v_fmac_f32_e32 v33, v11, v14
	v_fma_f32 v11, v14, v13, -v12
	global_store_b32 v[8:9], v33, off offset:-4
	v_add_co_u32 v8, vcc_lo, v8, 4
	v_add_co_ci_u32_e32 v9, vcc_lo, 0, v9, vcc_lo
	s_cbranch_scc0 .LBB21_9
	s_branch .LBB21_7
.LBB21_10:                              ;   in Loop: Header=BB21_4 Depth=1
	s_or_b32 exec_lo, exec_lo, s46
	s_mov_b32 s2, 0
.LBB21_11:                              ;   in Loop: Header=BB21_4 Depth=1
	s_delay_alu instid0(SALU_CYCLE_1)
	s_and_not1_b32 vcc_lo, exec_lo, s2
	s_cbranch_vccnz .LBB21_3
; %bb.12:                               ;   in Loop: Header=BB21_4 Depth=1
	s_add_u32 s44, s67, s80
	s_addc_u32 s45, s68, s51
	s_add_u32 s46, s69, s81
	s_addc_u32 s47, s70, s50
	s_and_not1_b32 vcc_lo, exec_lo, s18
	s_mov_b32 s2, -1
	s_cbranch_vccnz .LBB21_19
; %bb.13:                               ;   in Loop: Header=BB21_4 Depth=1
	s_and_saveexec_b32 s82, s0
	s_cbranch_execz .LBB21_18
; %bb.14:                               ;   in Loop: Header=BB21_4 Depth=1
	s_lshl_b64 s[2:3], s[22:23], 2
	v_add_co_u32 v4, vcc_lo, v20, s79
	v_add_co_ci_u32_e32 v5, vcc_lo, s78, v21, vcc_lo
	s_add_u32 s2, s76, s2
	v_mov_b32_e32 v10, v1
	s_addc_u32 s3, s77, s3
	s_add_u32 s83, s2, -4
	s_addc_u32 s84, s3, -1
	s_mov_b32 s85, 0
	s_branch .LBB21_16
.LBB21_15:                              ;   in Loop: Header=BB21_16 Depth=2
	v_add_nc_u32_e32 v10, s26, v10
	v_add_co_u32 v6, vcc_lo, s76, v6
	v_add_co_ci_u32_e32 v7, vcc_lo, s77, v7, vcc_lo
	s_delay_alu instid0(VALU_DEP_3) | instskip(SKIP_1) | instid1(VALU_DEP_1)
	v_cmp_le_i32_e32 vcc_lo, s52, v10
	v_add_co_u32 v4, s2, v4, s36
	v_add_co_ci_u32_e64 v5, s2, s37, v5, s2
	s_or_b32 s85, vcc_lo, s85
	s_waitcnt vmcnt(0)
	global_store_b32 v[6:7], v11, off
	s_and_not1_b32 exec_lo, exec_lo, s85
	s_cbranch_execz .LBB21_18
.LBB21_16:                              ;   Parent Loop BB21_4 Depth=1
                                        ; =>  This Loop Header: Depth=2
                                        ;       Child Loop BB21_17 Depth 3
	v_mad_i64_i32 v[6:7], null, v10, s12, 0
	s_mov_b64 s[2:3], s[46:47]
	s_mov_b64 s[48:49], s[44:45]
	s_mov_b32 s86, s30
	s_delay_alu instid0(VALU_DEP_1) | instskip(NEXT) | instid1(VALU_DEP_1)
	v_lshlrev_b64 v[6:7], 2, v[6:7]
	v_add_co_u32 v8, vcc_lo, s83, v6
	s_delay_alu instid0(VALU_DEP_2)
	v_add_co_ci_u32_e32 v9, vcc_lo, s84, v7, vcc_lo
	s_and_not1_b32 vcc_lo, exec_lo, s54
	global_load_b32 v11, v[8:9], off
	v_dual_mov_b32 v9, v5 :: v_dual_mov_b32 v8, v4
	s_cbranch_vccnz .LBB21_15
	.p2align	6
.LBB21_17:                              ;   Parent Loop BB21_4 Depth=1
                                        ;     Parent Loop BB21_16 Depth=2
                                        ; =>    This Inner Loop Header: Depth=3
	global_load_b32 v14, v32, s[2:3]
	global_load_b32 v33, v[8:9], off offset:-4
	global_load_b32 v34, v32, s[48:49]
	s_waitcnt vmcnt(3)
	v_mov_b32_e32 v35, v11
	v_add_co_u32 v12, vcc_lo, v8, -4
	v_add_co_ci_u32_e32 v13, vcc_lo, -1, v9, vcc_lo
	s_add_i32 s86, s86, -1
	s_add_u32 s48, s48, -4
	s_addc_u32 s49, s49, -1
	s_add_u32 s2, s2, -4
	s_addc_u32 s3, s3, -1
	s_cmp_eq_u32 s86, 0
	s_waitcnt vmcnt(1)
	v_mul_f32_e32 v36, v14, v33
	s_waitcnt vmcnt(0)
	v_mul_f32_e32 v11, v34, v33
	s_delay_alu instid0(VALU_DEP_2)
	v_fma_f32 v33, v35, v34, -v36
	global_store_b32 v[8:9], v33, off
	v_dual_mov_b32 v8, v12 :: v_dual_fmac_f32 v11, v35, v14
	v_mov_b32_e32 v9, v13
	s_cbranch_scc0 .LBB21_17
	s_branch .LBB21_15
.LBB21_18:                              ;   in Loop: Header=BB21_4 Depth=1
	s_or_b32 exec_lo, exec_lo, s82
	s_mov_b32 s2, 0
.LBB21_19:                              ;   in Loop: Header=BB21_4 Depth=1
	s_delay_alu instid0(SALU_CYCLE_1)
	s_and_not1_b32 vcc_lo, exec_lo, s2
	s_cbranch_vccnz .LBB21_3
; %bb.20:                               ;   in Loop: Header=BB21_4 Depth=1
	s_and_not1_b32 vcc_lo, exec_lo, s55
	s_mov_b32 s2, -1
	s_cbranch_vccnz .LBB21_27
; %bb.21:                               ;   in Loop: Header=BB21_4 Depth=1
	s_and_saveexec_b32 s82, s0
	s_cbranch_execz .LBB21_26
; %bb.22:                               ;   in Loop: Header=BB21_4 Depth=1
	v_mov_b32_e32 v8, v1
	s_mov_b32 s83, 0
	s_branch .LBB21_24
.LBB21_23:                              ;   in Loop: Header=BB21_24 Depth=2
	v_add_nc_u32_e32 v8, s26, v8
	v_add_co_u32 v2, s2, v2, s36
	s_delay_alu instid0(VALU_DEP_1) | instskip(NEXT) | instid1(VALU_DEP_3)
	v_add_co_ci_u32_e64 v3, s2, s37, v3, s2
	v_cmp_le_i32_e32 vcc_lo, s52, v8
	s_waitcnt vmcnt(0)
	global_store_b32 v[4:5], v9, off
	s_or_b32 s83, vcc_lo, s83
	s_delay_alu instid0(SALU_CYCLE_1)
	s_and_not1_b32 exec_lo, exec_lo, s83
	s_cbranch_execz .LBB21_26
.LBB21_24:                              ;   Parent Loop BB21_4 Depth=1
                                        ; =>  This Loop Header: Depth=2
                                        ;       Child Loop BB21_25 Depth 3
	s_delay_alu instid0(VALU_DEP_1) | instskip(SKIP_4) | instid1(VALU_DEP_2)
	v_mad_i64_i32 v[4:5], null, v8, s12, 0
	v_dual_mov_b32 v7, v3 :: v_dual_mov_b32 v6, v2
	s_mov_b32 s84, s30
	s_mov_b64 s[2:3], s[20:21]
	s_mov_b64 s[48:49], s[42:43]
	v_lshlrev_b64 v[4:5], 2, v[4:5]
	s_delay_alu instid0(VALU_DEP_1) | instskip(NEXT) | instid1(VALU_DEP_2)
	v_add_co_u32 v4, vcc_lo, s76, v4
	v_add_co_ci_u32_e32 v5, vcc_lo, s77, v5, vcc_lo
	s_and_not1_b32 vcc_lo, exec_lo, s54
	global_load_b32 v9, v[4:5], off
	s_cbranch_vccnz .LBB21_23
	.p2align	6
.LBB21_25:                              ;   Parent Loop BB21_4 Depth=1
                                        ;     Parent Loop BB21_24 Depth=2
                                        ; =>    This Inner Loop Header: Depth=3
	s_clause 0x1
	global_load_b32 v10, v32, s[48:49]
	global_load_b32 v11, v32, s[2:3]
	global_load_b32 v12, v[6:7], off
	s_waitcnt vmcnt(3)
	v_mov_b32_e32 v13, v9
	s_add_u32 s48, s48, 4
	s_addc_u32 s49, s49, 0
	s_add_u32 s2, s2, 4
	s_addc_u32 s3, s3, 0
	s_add_i32 s84, s84, -1
	s_delay_alu instid0(SALU_CYCLE_1) | instskip(SKIP_2) | instid1(VALU_DEP_1)
	s_cmp_eq_u32 s84, 0
	s_waitcnt vmcnt(0)
	v_dual_mul_f32 v14, v13, v10 :: v_dual_mul_f32 v9, v10, v12
	v_fma_f32 v10, v11, v12, -v14
	s_delay_alu instid0(VALU_DEP_2)
	v_fmac_f32_e32 v9, v13, v11
	global_store_b32 v[6:7], v10, off
	v_add_co_u32 v6, vcc_lo, v6, 4
	v_add_co_ci_u32_e32 v7, vcc_lo, 0, v7, vcc_lo
	s_cbranch_scc0 .LBB21_25
	s_branch .LBB21_23
.LBB21_26:                              ;   in Loop: Header=BB21_4 Depth=1
	s_or_b32 exec_lo, exec_lo, s82
	s_mov_b32 s2, 0
.LBB21_27:                              ;   in Loop: Header=BB21_4 Depth=1
	s_delay_alu instid0(SALU_CYCLE_1)
	s_and_not1_b32 vcc_lo, exec_lo, s2
	s_cbranch_vccnz .LBB21_3
; %bb.28:                               ;   in Loop: Header=BB21_4 Depth=1
	s_and_not1_b32 vcc_lo, exec_lo, s56
	s_mov_b32 s2, -1
	s_cbranch_vccnz .LBB21_35
; %bb.29:                               ;   in Loop: Header=BB21_4 Depth=1
	s_and_saveexec_b32 s82, s0
	s_cbranch_execz .LBB21_34
; %bb.30:                               ;   in Loop: Header=BB21_4 Depth=1
	v_add_co_u32 v2, vcc_lo, v22, s79
	v_add_co_ci_u32_e32 v3, vcc_lo, s78, v23, vcc_lo
	v_mov_b32_e32 v8, v1
	s_mov_b32 s83, 0
	s_branch .LBB21_32
.LBB21_31:                              ;   in Loop: Header=BB21_32 Depth=2
	v_add_nc_u32_e32 v8, s26, v8
	v_add_co_u32 v2, s2, v2, s36
	s_delay_alu instid0(VALU_DEP_1) | instskip(NEXT) | instid1(VALU_DEP_3)
	v_add_co_ci_u32_e64 v3, s2, s37, v3, s2
	v_cmp_le_i32_e32 vcc_lo, s52, v8
	s_waitcnt vmcnt(0)
	global_store_b32 v[4:5], v9, off
	s_or_b32 s83, vcc_lo, s83
	s_delay_alu instid0(SALU_CYCLE_1)
	s_and_not1_b32 exec_lo, exec_lo, s83
	s_cbranch_execz .LBB21_34
.LBB21_32:                              ;   Parent Loop BB21_4 Depth=1
                                        ; =>  This Loop Header: Depth=2
                                        ;       Child Loop BB21_33 Depth 3
	s_delay_alu instid0(VALU_DEP_1) | instskip(SKIP_4) | instid1(VALU_DEP_2)
	v_mad_i64_i32 v[4:5], null, v8, s12, 0
	v_dual_mov_b32 v7, v3 :: v_dual_mov_b32 v6, v2
	s_mov_b64 s[2:3], s[46:47]
	s_mov_b64 s[48:49], s[44:45]
	s_mov_b32 s84, s31
	v_lshlrev_b64 v[4:5], 2, v[4:5]
	s_delay_alu instid0(VALU_DEP_1) | instskip(NEXT) | instid1(VALU_DEP_2)
	v_add_co_u32 v4, vcc_lo, s76, v4
	v_add_co_ci_u32_e32 v5, vcc_lo, s77, v5, vcc_lo
	s_and_not1_b32 vcc_lo, exec_lo, s54
	global_load_b32 v9, v[4:5], off
	s_cbranch_vccnz .LBB21_31
	.p2align	6
.LBB21_33:                              ;   Parent Loop BB21_4 Depth=1
                                        ;     Parent Loop BB21_32 Depth=2
                                        ; =>    This Inner Loop Header: Depth=3
	s_clause 0x1
	global_load_b32 v10, v32, s[2:3]
	global_load_b32 v11, v32, s[48:49]
	global_load_b32 v12, v[6:7], off
	s_waitcnt vmcnt(3)
	v_mov_b32_e32 v13, v9
	s_add_i32 s84, s84, -1
	s_add_u32 s48, s48, -4
	s_addc_u32 s49, s49, -1
	s_add_u32 s2, s2, -4
	s_addc_u32 s3, s3, -1
	s_cmp_lt_u32 s84, 3
	s_waitcnt vmcnt(0)
	v_dual_mul_f32 v14, v13, v10 :: v_dual_mul_f32 v9, v10, v12
	s_delay_alu instid0(VALU_DEP_1) | instskip(NEXT) | instid1(VALU_DEP_2)
	v_fma_f32 v10, v11, v12, -v14
	v_fmac_f32_e32 v9, v13, v11
	global_store_b32 v[6:7], v10, off
	v_add_co_u32 v6, vcc_lo, v6, -4
	v_add_co_ci_u32_e32 v7, vcc_lo, -1, v7, vcc_lo
	s_cbranch_scc0 .LBB21_33
	s_branch .LBB21_31
.LBB21_34:                              ;   in Loop: Header=BB21_4 Depth=1
	s_or_b32 exec_lo, exec_lo, s82
	s_mov_b32 s2, 0
.LBB21_35:                              ;   in Loop: Header=BB21_4 Depth=1
	s_delay_alu instid0(SALU_CYCLE_1)
	s_and_not1_b32 vcc_lo, exec_lo, s2
	s_cbranch_vccnz .LBB21_3
; %bb.36:                               ;   in Loop: Header=BB21_4 Depth=1
	s_and_not1_b32 vcc_lo, exec_lo, s57
	s_mov_b32 s2, -1
	s_cbranch_vccnz .LBB21_43
; %bb.37:                               ;   in Loop: Header=BB21_4 Depth=1
	s_and_saveexec_b32 s82, s0
	s_cbranch_execz .LBB21_42
; %bb.38:                               ;   in Loop: Header=BB21_4 Depth=1
	s_lshl_b64 s[2:3], s[22:23], 2
	v_add_co_u32 v2, vcc_lo, v0, s79
	v_add_co_ci_u32_e32 v3, vcc_lo, s78, v15, vcc_lo
	s_add_u32 s2, s76, s2
	v_mov_b32_e32 v8, v1
	s_addc_u32 s3, s77, s3
	s_add_u32 s83, s2, -4
	s_addc_u32 s84, s3, -1
	s_mov_b32 s85, 0
	s_branch .LBB21_40
.LBB21_39:                              ;   in Loop: Header=BB21_40 Depth=2
	v_add_nc_u32_e32 v8, s26, v8
	v_add_co_u32 v2, s2, v2, s36
	s_delay_alu instid0(VALU_DEP_1) | instskip(NEXT) | instid1(VALU_DEP_3)
	v_add_co_ci_u32_e64 v3, s2, s37, v3, s2
	v_cmp_le_i32_e32 vcc_lo, s52, v8
	s_waitcnt vmcnt(0)
	global_store_b32 v[4:5], v9, off
	s_or_b32 s85, vcc_lo, s85
	s_delay_alu instid0(SALU_CYCLE_1)
	s_and_not1_b32 exec_lo, exec_lo, s85
	s_cbranch_execz .LBB21_42
.LBB21_40:                              ;   Parent Loop BB21_4 Depth=1
                                        ; =>  This Loop Header: Depth=2
                                        ;       Child Loop BB21_41 Depth 3
	v_mad_i64_i32 v[4:5], null, v8, s12, 0
	v_dual_mov_b32 v7, v3 :: v_dual_mov_b32 v6, v2
	s_mov_b64 s[2:3], s[42:43]
	s_mov_b64 s[48:49], s[20:21]
	s_mov_b32 s86, s30
	s_delay_alu instid0(VALU_DEP_2) | instskip(NEXT) | instid1(VALU_DEP_1)
	v_lshlrev_b64 v[4:5], 2, v[4:5]
	v_add_co_u32 v4, vcc_lo, s83, v4
	s_delay_alu instid0(VALU_DEP_2)
	v_add_co_ci_u32_e32 v5, vcc_lo, s84, v5, vcc_lo
	s_and_not1_b32 vcc_lo, exec_lo, s54
	global_load_b32 v9, v[4:5], off
	s_cbranch_vccnz .LBB21_39
	.p2align	6
.LBB21_41:                              ;   Parent Loop BB21_4 Depth=1
                                        ;     Parent Loop BB21_40 Depth=2
                                        ; =>    This Inner Loop Header: Depth=3
	global_load_b32 v10, v[6:7], off
	s_clause 0x1
	global_load_b32 v11, v32, s[48:49]
	global_load_b32 v12, v32, s[2:3]
	s_add_i32 s86, s86, -1
	s_add_u32 s48, s48, 4
	s_addc_u32 s49, s49, 0
	s_add_u32 s2, s2, 4
	s_addc_u32 s3, s3, 0
	s_cmp_eq_u32 s86, 0
	s_waitcnt vmcnt(1)
	v_mul_f32_e32 v13, v11, v10
	s_waitcnt vmcnt(0)
	s_delay_alu instid0(VALU_DEP_1) | instskip(NEXT) | instid1(VALU_DEP_1)
	v_dual_mul_f32 v10, v12, v10 :: v_dual_fmac_f32 v13, v9, v12
	v_fma_f32 v9, v9, v11, -v10
	global_store_b32 v[6:7], v13, off
	v_add_co_u32 v6, vcc_lo, v6, 4
	v_add_co_ci_u32_e32 v7, vcc_lo, 0, v7, vcc_lo
	s_cbranch_scc0 .LBB21_41
	s_branch .LBB21_39
.LBB21_42:                              ;   in Loop: Header=BB21_4 Depth=1
	s_or_b32 exec_lo, exec_lo, s82
	s_mov_b32 s2, 0
.LBB21_43:                              ;   in Loop: Header=BB21_4 Depth=1
	s_delay_alu instid0(SALU_CYCLE_1)
	s_and_not1_b32 vcc_lo, exec_lo, s2
	s_cbranch_vccnz .LBB21_3
; %bb.44:                               ;   in Loop: Header=BB21_4 Depth=1
	s_and_not1_b32 vcc_lo, exec_lo, s58
	s_mov_b32 s2, -1
	s_cbranch_vccnz .LBB21_51
; %bb.45:                               ;   in Loop: Header=BB21_4 Depth=1
	s_and_saveexec_b32 s82, s0
	s_cbranch_execz .LBB21_50
; %bb.46:                               ;   in Loop: Header=BB21_4 Depth=1
	s_lshl_b64 s[2:3], s[22:23], 2
	v_add_co_u32 v2, vcc_lo, v18, s79
	v_add_co_ci_u32_e32 v3, vcc_lo, s78, v19, vcc_lo
	s_add_u32 s2, s76, s2
	v_mov_b32_e32 v8, v1
	s_addc_u32 s3, s77, s3
	s_add_u32 s83, s2, -4
	s_addc_u32 s84, s3, -1
	s_mov_b32 s85, 0
	s_branch .LBB21_48
.LBB21_47:                              ;   in Loop: Header=BB21_48 Depth=2
	v_add_nc_u32_e32 v8, s26, v8
	v_add_co_u32 v2, s2, v2, s36
	s_delay_alu instid0(VALU_DEP_1) | instskip(NEXT) | instid1(VALU_DEP_3)
	v_add_co_ci_u32_e64 v3, s2, s37, v3, s2
	v_cmp_le_i32_e32 vcc_lo, s52, v8
	s_waitcnt vmcnt(0)
	global_store_b32 v[4:5], v9, off
	s_or_b32 s85, vcc_lo, s85
	s_delay_alu instid0(SALU_CYCLE_1)
	s_and_not1_b32 exec_lo, exec_lo, s85
	s_cbranch_execz .LBB21_50
.LBB21_48:                              ;   Parent Loop BB21_4 Depth=1
                                        ; =>  This Loop Header: Depth=2
                                        ;       Child Loop BB21_49 Depth 3
	v_mad_i64_i32 v[4:5], null, v8, s12, 0
	v_dual_mov_b32 v7, v3 :: v_dual_mov_b32 v6, v2
	s_mov_b64 s[2:3], s[46:47]
	s_mov_b64 s[48:49], s[44:45]
	s_mov_b32 s86, s30
	s_delay_alu instid0(VALU_DEP_2) | instskip(NEXT) | instid1(VALU_DEP_1)
	v_lshlrev_b64 v[4:5], 2, v[4:5]
	v_add_co_u32 v4, vcc_lo, s83, v4
	s_delay_alu instid0(VALU_DEP_2)
	v_add_co_ci_u32_e32 v5, vcc_lo, s84, v5, vcc_lo
	s_and_not1_b32 vcc_lo, exec_lo, s54
	global_load_b32 v9, v[4:5], off
	s_cbranch_vccnz .LBB21_47
	.p2align	6
.LBB21_49:                              ;   Parent Loop BB21_4 Depth=1
                                        ;     Parent Loop BB21_48 Depth=2
                                        ; =>    This Inner Loop Header: Depth=3
	global_load_b32 v10, v[6:7], off
	s_clause 0x1
	global_load_b32 v11, v32, s[48:49]
	global_load_b32 v12, v32, s[2:3]
	s_add_i32 s86, s86, -1
	s_add_u32 s48, s48, -4
	s_addc_u32 s49, s49, -1
	s_add_u32 s2, s2, -4
	s_addc_u32 s3, s3, -1
	s_cmp_eq_u32 s86, 0
	s_waitcnt vmcnt(1)
	v_mul_f32_e32 v13, v11, v10
	s_waitcnt vmcnt(0)
	s_delay_alu instid0(VALU_DEP_1) | instskip(NEXT) | instid1(VALU_DEP_1)
	v_dual_mul_f32 v10, v12, v10 :: v_dual_fmac_f32 v13, v9, v12
	v_fma_f32 v9, v9, v11, -v10
	global_store_b32 v[6:7], v13, off
	v_add_co_u32 v6, vcc_lo, v6, -4
	v_add_co_ci_u32_e32 v7, vcc_lo, -1, v7, vcc_lo
	s_cbranch_scc0 .LBB21_49
	s_branch .LBB21_47
.LBB21_50:                              ;   in Loop: Header=BB21_4 Depth=1
	s_or_b32 exec_lo, exec_lo, s82
	s_mov_b32 s2, 0
.LBB21_51:                              ;   in Loop: Header=BB21_4 Depth=1
	s_delay_alu instid0(SALU_CYCLE_1)
	s_and_not1_b32 vcc_lo, exec_lo, s2
	s_cbranch_vccnz .LBB21_3
; %bb.52:                               ;   in Loop: Header=BB21_4 Depth=1
	v_add_co_u32 v2, vcc_lo, v24, s79
	v_add_co_ci_u32_e32 v3, vcc_lo, s78, v25, vcc_lo
	s_and_not1_b32 vcc_lo, exec_lo, s59
	s_mov_b32 s2, -1
	s_cbranch_vccnz .LBB21_59
; %bb.53:                               ;   in Loop: Header=BB21_4 Depth=1
	s_and_saveexec_b32 s46, s1
	s_cbranch_execz .LBB21_58
; %bb.54:                               ;   in Loop: Header=BB21_4 Depth=1
	s_lshl_b64 s[2:3], s[28:29], 2
	v_dual_mov_b32 v5, v3 :: v_dual_mov_b32 v4, v2
	v_mov_b32_e32 v6, v1
	s_add_u32 s47, s76, s2
	s_addc_u32 s48, s77, s3
	s_mov_b32 s49, 0
	s_branch .LBB21_56
.LBB21_55:                              ;   in Loop: Header=BB21_56 Depth=2
	v_add_nc_u32_e32 v6, s26, v6
	v_add_co_u32 v7, vcc_lo, s47, v7
	v_add_co_ci_u32_e32 v8, vcc_lo, s48, v8, vcc_lo
	s_delay_alu instid0(VALU_DEP_3) | instskip(SKIP_1) | instid1(VALU_DEP_1)
	v_cmp_le_i32_e32 vcc_lo, s19, v6
	v_add_co_u32 v4, s2, v4, s40
	v_add_co_ci_u32_e64 v5, s2, s41, v5, s2
	s_or_b32 s49, vcc_lo, s49
	s_waitcnt vmcnt(0)
	global_store_b32 v[7:8], v11, off
	s_and_not1_b32 exec_lo, exec_lo, s49
	s_cbranch_execz .LBB21_58
.LBB21_56:                              ;   Parent Loop BB21_4 Depth=1
                                        ; =>  This Loop Header: Depth=2
                                        ;       Child Loop BB21_57 Depth 3
	v_ashrrev_i32_e32 v7, 31, v6
	s_mov_b64 s[2:3], s[42:43]
	s_mov_b64 s[44:45], s[20:21]
	s_mov_b32 s82, s60
	s_delay_alu instid0(VALU_DEP_1) | instskip(NEXT) | instid1(VALU_DEP_1)
	v_lshlrev_b64 v[7:8], 2, v[6:7]
	v_add_co_u32 v9, vcc_lo, s76, v7
	s_delay_alu instid0(VALU_DEP_2)
	v_add_co_ci_u32_e32 v10, vcc_lo, s77, v8, vcc_lo
	s_and_not1_b32 vcc_lo, exec_lo, s62
	global_load_b32 v11, v[9:10], off
	v_dual_mov_b32 v10, v5 :: v_dual_mov_b32 v9, v4
	s_cbranch_vccnz .LBB21_55
	.p2align	6
.LBB21_57:                              ;   Parent Loop BB21_4 Depth=1
                                        ;     Parent Loop BB21_56 Depth=2
                                        ; =>    This Inner Loop Header: Depth=3
	s_delay_alu instid0(VALU_DEP_1) | instskip(NEXT) | instid1(VALU_DEP_2)
	v_add_co_u32 v12, vcc_lo, v9, s38
	v_add_co_ci_u32_e32 v13, vcc_lo, s39, v10, vcc_lo
	s_add_i32 s82, s82, -1
	global_load_b32 v14, v32, s[2:3]
	global_load_b32 v33, v[12:13], off
	global_load_b32 v34, v32, s[44:45]
	s_add_u32 s44, s44, 4
	s_addc_u32 s45, s45, 0
	s_add_u32 s2, s2, 4
	s_addc_u32 s3, s3, 0
	s_cmp_eq_u32 s82, 0
	s_waitcnt vmcnt(1)
	v_dual_mul_f32 v35, v14, v33 :: v_dual_mul_f32 v14, v11, v14
	s_waitcnt vmcnt(0)
	s_delay_alu instid0(VALU_DEP_1) | instskip(NEXT) | instid1(VALU_DEP_2)
	v_fmac_f32_e32 v35, v11, v34
	v_fma_f32 v11, v34, v33, -v14
	global_store_b32 v[9:10], v35, off
	v_dual_mov_b32 v9, v12 :: v_dual_mov_b32 v10, v13
	s_cbranch_scc0 .LBB21_57
	s_branch .LBB21_55
.LBB21_58:                              ;   in Loop: Header=BB21_4 Depth=1
	s_or_b32 exec_lo, exec_lo, s46
	s_mov_b32 s2, 0
.LBB21_59:                              ;   in Loop: Header=BB21_4 Depth=1
	s_delay_alu instid0(SALU_CYCLE_1)
	s_and_not1_b32 vcc_lo, exec_lo, s2
	s_cbranch_vccnz .LBB21_3
; %bb.60:                               ;   in Loop: Header=BB21_4 Depth=1
	v_add_co_u32 v4, vcc_lo, v28, s79
	v_add_co_ci_u32_e32 v5, vcc_lo, s78, v29, vcc_lo
	v_add_co_u32 v6, vcc_lo, v26, s79
	s_add_u32 s44, s27, s80
	v_add_co_ci_u32_e32 v7, vcc_lo, s78, v27, vcc_lo
	s_addc_u32 s45, s71, s51
	s_add_u32 s46, s72, s81
	s_addc_u32 s47, s13, s50
	s_and_not1_b32 vcc_lo, exec_lo, s61
	s_mov_b32 s2, -1
	s_cbranch_vccnz .LBB21_68
; %bb.61:                               ;   in Loop: Header=BB21_4 Depth=1
	s_and_saveexec_b32 s80, s1
	s_cbranch_execz .LBB21_67
; %bb.62:                               ;   in Loop: Header=BB21_4 Depth=1
	s_lshl_b64 s[2:3], s[28:29], 2
	v_dual_mov_b32 v9, v5 :: v_dual_mov_b32 v8, v4
	v_dual_mov_b32 v11, v7 :: v_dual_mov_b32 v10, v6
	v_mov_b32_e32 v12, v1
	s_add_u32 s81, s76, s2
	s_addc_u32 s82, s77, s3
	s_mov_b32 s83, 0
	s_branch .LBB21_64
.LBB21_63:                              ;   in Loop: Header=BB21_64 Depth=2
	v_add_co_u32 v13, vcc_lo, s76, v13
	v_add_nc_u32_e32 v12, s26, v12
	v_add_co_ci_u32_e32 v14, vcc_lo, s77, v14, vcc_lo
	v_add_co_u32 v10, vcc_lo, v10, s40
	v_add_co_ci_u32_e32 v11, vcc_lo, s41, v11, vcc_lo
	s_delay_alu instid0(VALU_DEP_4) | instskip(SKIP_1) | instid1(VALU_DEP_1)
	v_cmp_le_i32_e32 vcc_lo, s19, v12
	v_add_co_u32 v8, s2, v8, s40
	v_add_co_ci_u32_e64 v9, s2, s41, v9, s2
	s_or_b32 s83, vcc_lo, s83
	s_waitcnt vmcnt(0)
	global_store_b32 v[13:14], v33, off
	s_and_not1_b32 exec_lo, exec_lo, s83
	s_cbranch_execz .LBB21_67
.LBB21_64:                              ;   Parent Loop BB21_4 Depth=1
                                        ; =>  This Loop Header: Depth=2
                                        ;       Child Loop BB21_66 Depth 3
	v_ashrrev_i32_e32 v13, 31, v12
	s_delay_alu instid0(VALU_DEP_1) | instskip(NEXT) | instid1(VALU_DEP_1)
	v_lshlrev_b64 v[13:14], 2, v[12:13]
	v_add_co_u32 v33, vcc_lo, s81, v13
	s_delay_alu instid0(VALU_DEP_2)
	v_add_co_ci_u32_e32 v34, vcc_lo, s82, v14, vcc_lo
	s_and_not1_b32 vcc_lo, exec_lo, s62
	global_load_b32 v33, v[33:34], off
	s_cbranch_vccnz .LBB21_63
; %bb.65:                               ;   in Loop: Header=BB21_64 Depth=2
	s_mov_b64 s[2:3], 0
	s_mov_b64 s[48:49], s[46:47]
	;; [unrolled: 1-line block ×3, first 2 shown]
	s_mov_b32 s84, s60
	.p2align	6
.LBB21_66:                              ;   Parent Loop BB21_4 Depth=1
                                        ;     Parent Loop BB21_64 Depth=2
                                        ; =>    This Inner Loop Header: Depth=3
	v_add_co_u32 v34, vcc_lo, v8, s2
	v_add_co_ci_u32_e32 v35, vcc_lo, s3, v9, vcc_lo
	s_waitcnt vmcnt(0)
	v_mov_b32_e32 v39, v33
	s_clause 0x1
	global_load_b32 v36, v32, s[50:51]
	global_load_b32 v37, v32, s[48:49]
	global_load_b32 v38, v[34:35], off
	v_add_co_u32 v34, vcc_lo, v10, s2
	s_add_i32 s84, s84, -1
	s_sub_u32 s2, s2, s38
	v_add_co_ci_u32_e32 v35, vcc_lo, s3, v11, vcc_lo
	s_subb_u32 s3, s3, s39
	s_add_u32 s50, s50, -4
	s_addc_u32 s51, s51, -1
	s_add_u32 s48, s48, -4
	s_addc_u32 s49, s49, -1
	s_cmp_eq_u32 s84, 0
	s_waitcnt vmcnt(0)
	v_mul_f32_e32 v33, v36, v38
	s_delay_alu instid0(VALU_DEP_1) | instskip(NEXT) | instid1(VALU_DEP_1)
	v_dual_mul_f32 v40, v37, v38 :: v_dual_fmac_f32 v33, v39, v37
	v_fma_f32 v36, v39, v36, -v40
	global_store_b32 v[34:35], v36, off
	s_cbranch_scc0 .LBB21_66
	s_branch .LBB21_63
.LBB21_67:                              ;   in Loop: Header=BB21_4 Depth=1
	s_or_b32 exec_lo, exec_lo, s80
	s_mov_b32 s2, 0
.LBB21_68:                              ;   in Loop: Header=BB21_4 Depth=1
	s_delay_alu instid0(SALU_CYCLE_1)
	s_and_not1_b32 vcc_lo, exec_lo, s2
	s_cbranch_vccnz .LBB21_3
; %bb.69:                               ;   in Loop: Header=BB21_4 Depth=1
	s_and_not1_b32 vcc_lo, exec_lo, s63
	s_mov_b32 s2, -1
	s_cbranch_vccnz .LBB21_76
; %bb.70:                               ;   in Loop: Header=BB21_4 Depth=1
	s_and_saveexec_b32 s50, s1
	s_cbranch_execz .LBB21_75
; %bb.71:                               ;   in Loop: Header=BB21_4 Depth=1
	v_add_co_u32 v8, vcc_lo, v30, s79
	v_add_co_ci_u32_e32 v9, vcc_lo, s78, v31, vcc_lo
	v_mov_b32_e32 v10, v1
	s_mov_b32 s51, 0
	s_branch .LBB21_73
.LBB21_72:                              ;   in Loop: Header=BB21_73 Depth=2
	v_add_nc_u32_e32 v10, s26, v10
	v_add_co_u32 v8, s2, v8, s40
	s_delay_alu instid0(VALU_DEP_1) | instskip(NEXT) | instid1(VALU_DEP_3)
	v_add_co_ci_u32_e64 v9, s2, s41, v9, s2
	v_cmp_le_i32_e32 vcc_lo, s19, v10
	s_waitcnt vmcnt(0)
	global_store_b32 v[11:12], v33, off
	s_or_b32 s51, vcc_lo, s51
	s_delay_alu instid0(SALU_CYCLE_1)
	s_and_not1_b32 exec_lo, exec_lo, s51
	s_cbranch_execz .LBB21_75
.LBB21_73:                              ;   Parent Loop BB21_4 Depth=1
                                        ; =>  This Loop Header: Depth=2
                                        ;       Child Loop BB21_74 Depth 3
	s_delay_alu instid0(VALU_DEP_1) | instskip(SKIP_3) | instid1(VALU_DEP_2)
	v_ashrrev_i32_e32 v11, 31, v10
	v_dual_mov_b32 v14, v9 :: v_dual_mov_b32 v13, v8
	s_mov_b32 s78, s60
	s_mov_b64 s[2:3], s[20:21]
	v_lshlrev_b64 v[11:12], 2, v[10:11]
	s_mov_b64 s[48:49], s[42:43]
	s_delay_alu instid0(VALU_DEP_1) | instskip(NEXT) | instid1(VALU_DEP_2)
	v_add_co_u32 v11, vcc_lo, s76, v11
	v_add_co_ci_u32_e32 v12, vcc_lo, s77, v12, vcc_lo
	s_and_not1_b32 vcc_lo, exec_lo, s62
	global_load_b32 v33, v[11:12], off
	s_cbranch_vccnz .LBB21_72
	.p2align	6
.LBB21_74:                              ;   Parent Loop BB21_4 Depth=1
                                        ;     Parent Loop BB21_73 Depth=2
                                        ; =>    This Inner Loop Header: Depth=3
	s_clause 0x1
	global_load_b32 v34, v32, s[48:49]
	global_load_b32 v35, v32, s[2:3]
	global_load_b32 v36, v[13:14], off
	s_waitcnt vmcnt(3)
	v_mov_b32_e32 v37, v33
	s_add_u32 s48, s48, 4
	s_addc_u32 s49, s49, 0
	s_add_u32 s2, s2, 4
	s_addc_u32 s3, s3, 0
	s_add_i32 s78, s78, -1
	s_delay_alu instid0(SALU_CYCLE_1) | instskip(SKIP_2) | instid1(VALU_DEP_1)
	s_cmp_eq_u32 s78, 0
	s_waitcnt vmcnt(0)
	v_dual_mul_f32 v38, v37, v34 :: v_dual_mul_f32 v33, v34, v36
	v_fma_f32 v34, v35, v36, -v38
	s_delay_alu instid0(VALU_DEP_2)
	v_fmac_f32_e32 v33, v37, v35
	global_store_b32 v[13:14], v34, off
	v_add_co_u32 v13, vcc_lo, v13, s38
	v_add_co_ci_u32_e32 v14, vcc_lo, s39, v14, vcc_lo
	s_cbranch_scc0 .LBB21_74
	s_branch .LBB21_72
.LBB21_75:                              ;   in Loop: Header=BB21_4 Depth=1
	s_or_b32 exec_lo, exec_lo, s50
	s_mov_b32 s2, 0
.LBB21_76:                              ;   in Loop: Header=BB21_4 Depth=1
	s_delay_alu instid0(SALU_CYCLE_1)
	s_and_not1_b32 vcc_lo, exec_lo, s2
	s_cbranch_vccnz .LBB21_3
; %bb.77:                               ;   in Loop: Header=BB21_4 Depth=1
	s_and_not1_b32 vcc_lo, exec_lo, s64
	s_mov_b32 s2, -1
	s_cbranch_vccnz .LBB21_84
; %bb.78:                               ;   in Loop: Header=BB21_4 Depth=1
	s_and_saveexec_b32 s50, s1
	s_cbranch_execz .LBB21_83
; %bb.79:                               ;   in Loop: Header=BB21_4 Depth=1
	v_mov_b32_e32 v8, v1
	s_mov_b32 s51, 0
	s_branch .LBB21_81
.LBB21_80:                              ;   in Loop: Header=BB21_81 Depth=2
	v_add_nc_u32_e32 v8, s26, v8
	v_add_co_u32 v6, s2, v6, s40
	s_delay_alu instid0(VALU_DEP_1) | instskip(NEXT) | instid1(VALU_DEP_3)
	v_add_co_ci_u32_e64 v7, s2, s41, v7, s2
	v_cmp_le_i32_e32 vcc_lo, s19, v8
	s_waitcnt vmcnt(0)
	global_store_b32 v[9:10], v13, off
	s_or_b32 s51, vcc_lo, s51
	s_delay_alu instid0(SALU_CYCLE_1)
	s_and_not1_b32 exec_lo, exec_lo, s51
	s_cbranch_execz .LBB21_83
.LBB21_81:                              ;   Parent Loop BB21_4 Depth=1
                                        ; =>  This Loop Header: Depth=2
                                        ;       Child Loop BB21_82 Depth 3
	s_delay_alu instid0(VALU_DEP_1) | instskip(SKIP_3) | instid1(VALU_DEP_2)
	v_ashrrev_i32_e32 v9, 31, v8
	v_dual_mov_b32 v12, v7 :: v_dual_mov_b32 v11, v6
	s_mov_b64 s[2:3], s[46:47]
	s_mov_b64 s[48:49], s[44:45]
	v_lshlrev_b64 v[9:10], 2, v[8:9]
	s_mov_b32 s78, s73
	s_delay_alu instid0(VALU_DEP_1) | instskip(NEXT) | instid1(VALU_DEP_2)
	v_add_co_u32 v9, vcc_lo, s76, v9
	v_add_co_ci_u32_e32 v10, vcc_lo, s77, v10, vcc_lo
	s_and_not1_b32 vcc_lo, exec_lo, s62
	global_load_b32 v13, v[9:10], off
	s_cbranch_vccnz .LBB21_80
	.p2align	6
.LBB21_82:                              ;   Parent Loop BB21_4 Depth=1
                                        ;     Parent Loop BB21_81 Depth=2
                                        ; =>    This Inner Loop Header: Depth=3
	s_clause 0x1
	global_load_b32 v14, v32, s[2:3]
	global_load_b32 v33, v32, s[48:49]
	global_load_b32 v34, v[11:12], off
	s_waitcnt vmcnt(3)
	v_mov_b32_e32 v35, v13
	s_add_i32 s78, s78, -1
	s_add_u32 s48, s48, -4
	s_addc_u32 s49, s49, -1
	s_add_u32 s2, s2, -4
	s_addc_u32 s3, s3, -1
	s_cmp_lt_u32 s78, 3
	s_waitcnt vmcnt(2)
	v_mul_f32_e32 v36, v35, v14
	s_waitcnt vmcnt(0)
	v_mul_f32_e32 v13, v14, v34
	s_delay_alu instid0(VALU_DEP_2) | instskip(NEXT) | instid1(VALU_DEP_2)
	v_fma_f32 v14, v33, v34, -v36
	v_fmac_f32_e32 v13, v35, v33
	global_store_b32 v[11:12], v14, off
	v_add_co_u32 v11, vcc_lo, v11, s74
	v_add_co_ci_u32_e32 v12, vcc_lo, s75, v12, vcc_lo
	s_cbranch_scc0 .LBB21_82
	s_branch .LBB21_80
.LBB21_83:                              ;   in Loop: Header=BB21_4 Depth=1
	s_or_b32 exec_lo, exec_lo, s50
	s_mov_b32 s2, 0
.LBB21_84:                              ;   in Loop: Header=BB21_4 Depth=1
	s_delay_alu instid0(SALU_CYCLE_1)
	s_and_not1_b32 vcc_lo, exec_lo, s2
	s_cbranch_vccnz .LBB21_3
; %bb.85:                               ;   in Loop: Header=BB21_4 Depth=1
	s_and_not1_b32 vcc_lo, exec_lo, s65
	s_mov_b32 s2, -1
	s_cbranch_vccnz .LBB21_92
; %bb.86:                               ;   in Loop: Header=BB21_4 Depth=1
	s_and_saveexec_b32 s50, s1
	s_cbranch_execz .LBB21_91
; %bb.87:                               ;   in Loop: Header=BB21_4 Depth=1
	s_lshl_b64 s[2:3], s[28:29], 2
	v_mov_b32_e32 v6, v1
	s_add_u32 s51, s76, s2
	s_addc_u32 s78, s77, s3
	s_mov_b32 s79, 0
	s_branch .LBB21_89
.LBB21_88:                              ;   in Loop: Header=BB21_89 Depth=2
	v_add_nc_u32_e32 v6, s26, v6
	v_add_co_u32 v2, s2, v2, s40
	s_delay_alu instid0(VALU_DEP_1) | instskip(NEXT) | instid1(VALU_DEP_3)
	v_add_co_ci_u32_e64 v3, s2, s41, v3, s2
	v_cmp_le_i32_e32 vcc_lo, s19, v6
	s_waitcnt vmcnt(0)
	global_store_b32 v[7:8], v11, off
	s_or_b32 s79, vcc_lo, s79
	s_delay_alu instid0(SALU_CYCLE_1)
	s_and_not1_b32 exec_lo, exec_lo, s79
	s_cbranch_execz .LBB21_91
.LBB21_89:                              ;   Parent Loop BB21_4 Depth=1
                                        ; =>  This Loop Header: Depth=2
                                        ;       Child Loop BB21_90 Depth 3
	v_ashrrev_i32_e32 v7, 31, v6
	v_dual_mov_b32 v10, v3 :: v_dual_mov_b32 v9, v2
	s_mov_b64 s[2:3], s[42:43]
	s_mov_b64 s[48:49], s[20:21]
	s_delay_alu instid0(VALU_DEP_2) | instskip(SKIP_1) | instid1(VALU_DEP_1)
	v_lshlrev_b64 v[7:8], 2, v[6:7]
	s_mov_b32 s80, s60
	v_add_co_u32 v7, vcc_lo, s51, v7
	s_delay_alu instid0(VALU_DEP_2)
	v_add_co_ci_u32_e32 v8, vcc_lo, s78, v8, vcc_lo
	s_and_not1_b32 vcc_lo, exec_lo, s62
	global_load_b32 v11, v[7:8], off
	s_cbranch_vccnz .LBB21_88
	.p2align	6
.LBB21_90:                              ;   Parent Loop BB21_4 Depth=1
                                        ;     Parent Loop BB21_89 Depth=2
                                        ; =>    This Inner Loop Header: Depth=3
	global_load_b32 v12, v[9:10], off
	s_clause 0x1
	global_load_b32 v13, v32, s[48:49]
	global_load_b32 v14, v32, s[2:3]
	s_add_i32 s80, s80, -1
	s_add_u32 s48, s48, 4
	s_addc_u32 s49, s49, 0
	s_add_u32 s2, s2, 4
	s_addc_u32 s3, s3, 0
	s_cmp_eq_u32 s80, 0
	s_waitcnt vmcnt(1)
	v_mul_f32_e32 v33, v13, v12
	s_waitcnt vmcnt(0)
	s_delay_alu instid0(VALU_DEP_1) | instskip(NEXT) | instid1(VALU_DEP_1)
	v_dual_mul_f32 v12, v14, v12 :: v_dual_fmac_f32 v33, v11, v14
	v_fma_f32 v11, v11, v13, -v12
	global_store_b32 v[9:10], v33, off
	v_add_co_u32 v9, vcc_lo, v9, s38
	v_add_co_ci_u32_e32 v10, vcc_lo, s39, v10, vcc_lo
	s_cbranch_scc0 .LBB21_90
	s_branch .LBB21_88
.LBB21_91:                              ;   in Loop: Header=BB21_4 Depth=1
	s_or_b32 exec_lo, exec_lo, s50
	s_mov_b32 s2, 0
.LBB21_92:                              ;   in Loop: Header=BB21_4 Depth=1
	s_delay_alu instid0(SALU_CYCLE_1)
	s_and_not1_b32 vcc_lo, exec_lo, s2
	s_cbranch_vccnz .LBB21_3
; %bb.93:                               ;   in Loop: Header=BB21_4 Depth=1
	s_and_saveexec_b32 s42, s66
	s_cbranch_execz .LBB21_2
; %bb.94:                               ;   in Loop: Header=BB21_4 Depth=1
	s_lshl_b64 s[2:3], s[28:29], 2
	v_mov_b32_e32 v2, v1
	s_add_u32 s43, s76, s2
	s_addc_u32 s48, s77, s3
	s_mov_b32 s49, 0
	s_branch .LBB21_96
.LBB21_95:                              ;   in Loop: Header=BB21_96 Depth=2
	v_add_nc_u32_e32 v2, s26, v2
	v_add_co_u32 v4, s2, v4, s40
	s_delay_alu instid0(VALU_DEP_1) | instskip(NEXT) | instid1(VALU_DEP_3)
	v_add_co_ci_u32_e64 v5, s2, s41, v5, s2
	v_cmp_le_i32_e32 vcc_lo, s19, v2
	s_waitcnt vmcnt(0)
	global_store_b32 v[6:7], v3, off
	s_or_b32 s49, vcc_lo, s49
	s_delay_alu instid0(SALU_CYCLE_1)
	s_and_not1_b32 exec_lo, exec_lo, s49
	s_cbranch_execz .LBB21_2
.LBB21_96:                              ;   Parent Loop BB21_4 Depth=1
                                        ; =>  This Loop Header: Depth=2
                                        ;       Child Loop BB21_97 Depth 3
	v_ashrrev_i32_e32 v3, 31, v2
	v_dual_mov_b32 v9, v5 :: v_dual_mov_b32 v8, v4
	s_mov_b64 s[2:3], s[46:47]
	s_mov_b64 s[20:21], s[44:45]
	s_delay_alu instid0(VALU_DEP_2) | instskip(SKIP_1) | instid1(VALU_DEP_1)
	v_lshlrev_b64 v[6:7], 2, v[2:3]
	s_mov_b32 s50, s60
	v_add_co_u32 v6, vcc_lo, s43, v6
	s_delay_alu instid0(VALU_DEP_2)
	v_add_co_ci_u32_e32 v7, vcc_lo, s48, v7, vcc_lo
	s_and_not1_b32 vcc_lo, exec_lo, s62
	global_load_b32 v3, v[6:7], off
	s_cbranch_vccnz .LBB21_95
	.p2align	6
.LBB21_97:                              ;   Parent Loop BB21_4 Depth=1
                                        ;     Parent Loop BB21_96 Depth=2
                                        ; =>    This Inner Loop Header: Depth=3
	global_load_b32 v10, v[8:9], off
	s_clause 0x1
	global_load_b32 v11, v32, s[20:21]
	global_load_b32 v12, v32, s[2:3]
	s_add_i32 s50, s50, -1
	s_add_u32 s20, s20, -4
	s_addc_u32 s21, s21, -1
	s_add_u32 s2, s2, -4
	s_addc_u32 s3, s3, -1
	s_cmp_eq_u32 s50, 0
	s_waitcnt vmcnt(1)
	v_mul_f32_e32 v13, v11, v10
	s_waitcnt vmcnt(0)
	s_delay_alu instid0(VALU_DEP_1) | instskip(NEXT) | instid1(VALU_DEP_1)
	v_dual_mul_f32 v10, v12, v10 :: v_dual_fmac_f32 v13, v3, v12
	v_fma_f32 v3, v3, v11, -v10
	global_store_b32 v[8:9], v13, off
	v_add_co_u32 v8, vcc_lo, v8, s74
	v_add_co_ci_u32_e32 v9, vcc_lo, s75, v9, vcc_lo
	s_cbranch_scc0 .LBB21_97
	s_branch .LBB21_95
.LBB21_98:
	s_nop 0
	s_sendmsg sendmsg(MSG_DEALLOC_VGPRS)
	s_endpgm
	.section	.rodata,"a",@progbits
	.p2align	6, 0x0
	.amdhsa_kernel _ZN9rocsolver6v33100L11lasr_kernelIffPfiEEv13rocblas_side_14rocblas_pivot_15rocblas_direct_T2_S6_PT0_lS8_lT1_lS6_lS6_
		.amdhsa_group_segment_fixed_size 0
		.amdhsa_private_segment_fixed_size 0
		.amdhsa_kernarg_size 352
		.amdhsa_user_sgpr_count 14
		.amdhsa_user_sgpr_dispatch_ptr 0
		.amdhsa_user_sgpr_queue_ptr 0
		.amdhsa_user_sgpr_kernarg_segment_ptr 1
		.amdhsa_user_sgpr_dispatch_id 0
		.amdhsa_user_sgpr_private_segment_size 0
		.amdhsa_wavefront_size32 1
		.amdhsa_uses_dynamic_stack 0
		.amdhsa_enable_private_segment 0
		.amdhsa_system_sgpr_workgroup_id_x 1
		.amdhsa_system_sgpr_workgroup_id_y 0
		.amdhsa_system_sgpr_workgroup_id_z 1
		.amdhsa_system_sgpr_workgroup_info 0
		.amdhsa_system_vgpr_workitem_id 0
		.amdhsa_next_free_vgpr 41
		.amdhsa_next_free_sgpr 87
		.amdhsa_reserve_vcc 1
		.amdhsa_float_round_mode_32 0
		.amdhsa_float_round_mode_16_64 0
		.amdhsa_float_denorm_mode_32 3
		.amdhsa_float_denorm_mode_16_64 3
		.amdhsa_dx10_clamp 1
		.amdhsa_ieee_mode 1
		.amdhsa_fp16_overflow 0
		.amdhsa_workgroup_processor_mode 1
		.amdhsa_memory_ordered 1
		.amdhsa_forward_progress 0
		.amdhsa_shared_vgpr_count 0
		.amdhsa_exception_fp_ieee_invalid_op 0
		.amdhsa_exception_fp_denorm_src 0
		.amdhsa_exception_fp_ieee_div_zero 0
		.amdhsa_exception_fp_ieee_overflow 0
		.amdhsa_exception_fp_ieee_underflow 0
		.amdhsa_exception_fp_ieee_inexact 0
		.amdhsa_exception_int_div_zero 0
	.end_amdhsa_kernel
	.section	.text._ZN9rocsolver6v33100L11lasr_kernelIffPfiEEv13rocblas_side_14rocblas_pivot_15rocblas_direct_T2_S6_PT0_lS8_lT1_lS6_lS6_,"axG",@progbits,_ZN9rocsolver6v33100L11lasr_kernelIffPfiEEv13rocblas_side_14rocblas_pivot_15rocblas_direct_T2_S6_PT0_lS8_lT1_lS6_lS6_,comdat
.Lfunc_end21:
	.size	_ZN9rocsolver6v33100L11lasr_kernelIffPfiEEv13rocblas_side_14rocblas_pivot_15rocblas_direct_T2_S6_PT0_lS8_lT1_lS6_lS6_, .Lfunc_end21-_ZN9rocsolver6v33100L11lasr_kernelIffPfiEEv13rocblas_side_14rocblas_pivot_15rocblas_direct_T2_S6_PT0_lS8_lT1_lS6_lS6_
                                        ; -- End function
	.section	.AMDGPU.csdata,"",@progbits
; Kernel info:
; codeLenInByte = 4728
; NumSgprs: 89
; NumVgprs: 41
; ScratchSize: 0
; MemoryBound: 0
; FloatMode: 240
; IeeeMode: 1
; LDSByteSize: 0 bytes/workgroup (compile time only)
; SGPRBlocks: 11
; VGPRBlocks: 5
; NumSGPRsForWavesPerEU: 89
; NumVGPRsForWavesPerEU: 41
; Occupancy: 16
; WaveLimiterHint : 0
; COMPUTE_PGM_RSRC2:SCRATCH_EN: 0
; COMPUTE_PGM_RSRC2:USER_SGPR: 14
; COMPUTE_PGM_RSRC2:TRAP_HANDLER: 0
; COMPUTE_PGM_RSRC2:TGID_X_EN: 1
; COMPUTE_PGM_RSRC2:TGID_Y_EN: 0
; COMPUTE_PGM_RSRC2:TGID_Z_EN: 1
; COMPUTE_PGM_RSRC2:TIDIG_COMP_CNT: 0
	.section	.text._ZN9rocsolver6v33100L11swap_kernelIfiEEvT0_PT_S2_S4_S2_,"axG",@progbits,_ZN9rocsolver6v33100L11swap_kernelIfiEEvT0_PT_S2_S4_S2_,comdat
	.globl	_ZN9rocsolver6v33100L11swap_kernelIfiEEvT0_PT_S2_S4_S2_ ; -- Begin function _ZN9rocsolver6v33100L11swap_kernelIfiEEvT0_PT_S2_S4_S2_
	.p2align	8
	.type	_ZN9rocsolver6v33100L11swap_kernelIfiEEvT0_PT_S2_S4_S2_,@function
_ZN9rocsolver6v33100L11swap_kernelIfiEEvT0_PT_S2_S4_S2_: ; @_ZN9rocsolver6v33100L11swap_kernelIfiEEvT0_PT_S2_S4_S2_
; %bb.0:
	s_load_b32 s12, s[0:1], 0x0
	s_waitcnt lgkmcnt(0)
	s_cmp_lt_i32 s12, 1
	s_cbranch_scc1 .LBB22_10
; %bb.1:
	s_clause 0x5
	s_load_b32 s6, s[0:1], 0x34
	s_load_b32 s8, s[0:1], 0x10
	;; [unrolled: 1-line block ×4, first 2 shown]
	s_load_b64 s[2:3], s[0:1], 0x8
	s_load_b64 s[4:5], s[0:1], 0x18
	s_waitcnt lgkmcnt(0)
	s_and_b32 s0, s6, 0xffff
	s_cmp_eq_u32 s8, 1
	v_mad_u64_u32 v[1:2], null, s15, s0, v[0:1]
	s_cselect_b32 s1, -1, 0
	s_cmp_eq_u32 s9, 1
	s_mul_i32 s6, s7, s0
	s_cselect_b32 s10, -1, 0
	s_delay_alu instid0(SALU_CYCLE_1) | instskip(NEXT) | instid1(VALU_DEP_1)
	s_and_b32 s1, s1, s10
	v_cmp_gt_i32_e64 s0, s12, v1
	s_and_b32 vcc_lo, exec_lo, s1
	s_mov_b32 s1, -1
	s_cbranch_vccnz .LBB22_6
; %bb.2:
	s_delay_alu instid0(VALU_DEP_1)
	s_and_saveexec_b32 s7, s0
	s_cbranch_execz .LBB22_5
; %bb.3:
	v_mad_i64_i32 v[2:3], null, s9, v1, 0
	v_mad_i64_i32 v[4:5], null, s8, v1, 0
	v_mov_b32_e32 v0, v1
	s_mul_hi_i32 s11, s9, s6
	s_mul_i32 s10, s9, s6
	s_mul_hi_i32 s15, s8, s6
	s_delay_alu instid0(VALU_DEP_3) | instskip(SKIP_1) | instid1(VALU_DEP_3)
	v_lshlrev_b64 v[2:3], 2, v[2:3]
	s_mul_i32 s14, s8, s6
	v_lshlrev_b64 v[4:5], 2, v[4:5]
	s_lshl_b64 s[8:9], s[10:11], 2
	s_lshl_b64 s[10:11], s[14:15], 2
	s_mov_b32 s13, 0
	v_add_co_u32 v2, vcc_lo, s4, v2
	v_add_co_ci_u32_e32 v3, vcc_lo, s5, v3, vcc_lo
	v_add_co_u32 v4, vcc_lo, s2, v4
	v_add_co_ci_u32_e32 v5, vcc_lo, s3, v5, vcc_lo
	.p2align	6
.LBB22_4:                               ; =>This Inner Loop Header: Depth=1
	global_load_b32 v6, v[4:5], off
	global_load_b32 v7, v[2:3], off
	v_add_nc_u32_e32 v0, s6, v0
	s_waitcnt vmcnt(1)
	global_store_b32 v[2:3], v6, off
	s_waitcnt vmcnt(0)
	global_store_b32 v[4:5], v7, off
	v_add_co_u32 v2, s1, v2, s8
	s_delay_alu instid0(VALU_DEP_1) | instskip(SKIP_2) | instid1(VALU_DEP_1)
	v_add_co_ci_u32_e64 v3, s1, s9, v3, s1
	v_cmp_le_i32_e32 vcc_lo, s12, v0
	v_add_co_u32 v4, s1, v4, s10
	v_add_co_ci_u32_e64 v5, s1, s11, v5, s1
	s_or_b32 s13, vcc_lo, s13
	s_delay_alu instid0(SALU_CYCLE_1)
	s_and_not1_b32 exec_lo, exec_lo, s13
	s_cbranch_execnz .LBB22_4
.LBB22_5:
	s_or_b32 exec_lo, exec_lo, s7
	s_mov_b32 s1, 0
.LBB22_6:
	s_delay_alu instid0(SALU_CYCLE_1)
	s_and_not1_b32 vcc_lo, exec_lo, s1
	s_cbranch_vccnz .LBB22_10
; %bb.7:
	s_and_saveexec_b32 s1, s0
	s_cbranch_execz .LBB22_10
; %bb.8:
	v_ashrrev_i32_e32 v2, 31, v1
	s_ashr_i32 s7, s6, 31
	s_mov_b32 s1, 0
	s_lshl_b64 s[8:9], s[6:7], 2
	s_delay_alu instid0(VALU_DEP_1)
	v_lshlrev_b64 v[2:3], 2, v[1:2]
	.p2align	6
.LBB22_9:                               ; =>This Inner Loop Header: Depth=1
	s_delay_alu instid0(VALU_DEP_1) | instskip(NEXT) | instid1(VALU_DEP_2)
	v_add_co_u32 v4, vcc_lo, s2, v2
	v_add_co_ci_u32_e32 v5, vcc_lo, s3, v3, vcc_lo
	v_add_co_u32 v6, vcc_lo, s4, v2
	v_add_co_ci_u32_e32 v7, vcc_lo, s5, v3, vcc_lo
	v_add_nc_u32_e32 v1, s6, v1
	global_load_b32 v0, v[4:5], off
	global_load_b32 v8, v[6:7], off
	v_add_co_u32 v2, s0, v2, s8
	v_cmp_le_i32_e32 vcc_lo, s12, v1
	v_add_co_ci_u32_e64 v3, s0, s9, v3, s0
	s_waitcnt vmcnt(1)
	global_store_b32 v[6:7], v0, off
	s_waitcnt vmcnt(0)
	global_store_b32 v[4:5], v8, off
	s_or_b32 s1, vcc_lo, s1
	s_delay_alu instid0(SALU_CYCLE_1)
	s_and_not1_b32 exec_lo, exec_lo, s1
	s_cbranch_execnz .LBB22_9
.LBB22_10:
	s_nop 0
	s_sendmsg sendmsg(MSG_DEALLOC_VGPRS)
	s_endpgm
	.section	.rodata,"a",@progbits
	.p2align	6, 0x0
	.amdhsa_kernel _ZN9rocsolver6v33100L11swap_kernelIfiEEvT0_PT_S2_S4_S2_
		.amdhsa_group_segment_fixed_size 0
		.amdhsa_private_segment_fixed_size 0
		.amdhsa_kernarg_size 296
		.amdhsa_user_sgpr_count 15
		.amdhsa_user_sgpr_dispatch_ptr 0
		.amdhsa_user_sgpr_queue_ptr 0
		.amdhsa_user_sgpr_kernarg_segment_ptr 1
		.amdhsa_user_sgpr_dispatch_id 0
		.amdhsa_user_sgpr_private_segment_size 0
		.amdhsa_wavefront_size32 1
		.amdhsa_uses_dynamic_stack 0
		.amdhsa_enable_private_segment 0
		.amdhsa_system_sgpr_workgroup_id_x 1
		.amdhsa_system_sgpr_workgroup_id_y 0
		.amdhsa_system_sgpr_workgroup_id_z 0
		.amdhsa_system_sgpr_workgroup_info 0
		.amdhsa_system_vgpr_workitem_id 0
		.amdhsa_next_free_vgpr 9
		.amdhsa_next_free_sgpr 16
		.amdhsa_reserve_vcc 1
		.amdhsa_float_round_mode_32 0
		.amdhsa_float_round_mode_16_64 0
		.amdhsa_float_denorm_mode_32 3
		.amdhsa_float_denorm_mode_16_64 3
		.amdhsa_dx10_clamp 1
		.amdhsa_ieee_mode 1
		.amdhsa_fp16_overflow 0
		.amdhsa_workgroup_processor_mode 1
		.amdhsa_memory_ordered 1
		.amdhsa_forward_progress 0
		.amdhsa_shared_vgpr_count 0
		.amdhsa_exception_fp_ieee_invalid_op 0
		.amdhsa_exception_fp_denorm_src 0
		.amdhsa_exception_fp_ieee_div_zero 0
		.amdhsa_exception_fp_ieee_overflow 0
		.amdhsa_exception_fp_ieee_underflow 0
		.amdhsa_exception_fp_ieee_inexact 0
		.amdhsa_exception_int_div_zero 0
	.end_amdhsa_kernel
	.section	.text._ZN9rocsolver6v33100L11swap_kernelIfiEEvT0_PT_S2_S4_S2_,"axG",@progbits,_ZN9rocsolver6v33100L11swap_kernelIfiEEvT0_PT_S2_S4_S2_,comdat
.Lfunc_end22:
	.size	_ZN9rocsolver6v33100L11swap_kernelIfiEEvT0_PT_S2_S4_S2_, .Lfunc_end22-_ZN9rocsolver6v33100L11swap_kernelIfiEEvT0_PT_S2_S4_S2_
                                        ; -- End function
	.section	.AMDGPU.csdata,"",@progbits
; Kernel info:
; codeLenInByte = 520
; NumSgprs: 18
; NumVgprs: 9
; ScratchSize: 0
; MemoryBound: 0
; FloatMode: 240
; IeeeMode: 1
; LDSByteSize: 0 bytes/workgroup (compile time only)
; SGPRBlocks: 2
; VGPRBlocks: 1
; NumSGPRsForWavesPerEU: 18
; NumVGPRsForWavesPerEU: 9
; Occupancy: 16
; WaveLimiterHint : 0
; COMPUTE_PGM_RSRC2:SCRATCH_EN: 0
; COMPUTE_PGM_RSRC2:USER_SGPR: 15
; COMPUTE_PGM_RSRC2:TRAP_HANDLER: 0
; COMPUTE_PGM_RSRC2:TGID_X_EN: 1
; COMPUTE_PGM_RSRC2:TGID_Y_EN: 0
; COMPUTE_PGM_RSRC2:TGID_Z_EN: 0
; COMPUTE_PGM_RSRC2:TIDIG_COMP_CNT: 0
	.text
	.p2align	2                               ; -- Begin function _ZN9rocsolver6v331009run_steqrIffEEviiiPT0_S3_PT_iPiS3_iS2_S2_S2_b
	.type	_ZN9rocsolver6v331009run_steqrIffEEviiiPT0_S3_PT_iPiS3_iS2_S2_S2_b,@function
_ZN9rocsolver6v331009run_steqrIffEEviiiPT0_S3_PT_iPiS3_iS2_S2_S2_b: ; @_ZN9rocsolver6v331009run_steqrIffEEviiiPT0_S3_PT_iPiS3_iS2_S2_S2_b
; %bb.0:
	s_waitcnt vmcnt(0) expcnt(0) lgkmcnt(0)
	v_dual_mov_b32 v20, v3 :: v_dual_mov_b32 v23, v1
	v_dual_mov_b32 v22, v11 :: v_dual_and_b32 v1, 1, v18
	v_mov_b32_e32 v21, v10
	v_cmp_eq_u32_e64 s0, 0, v0
	s_delay_alu instid0(VALU_DEP_3) | instskip(NEXT) | instid1(VALU_DEP_2)
	v_cmp_eq_u32_e64 s1, 1, v1
	s_and_saveexec_b32 s2, s0
	s_cbranch_execz .LBB23_2
; %bb.1:
	v_mov_b32_e32 v1, 0
	ds_store_2addr_b32 v1, v1, v1 offset0:3 offset1:7
.LBB23_2:
	s_or_b32 exec_lo, exec_lo, s2
	v_dual_mov_b32 v25, 0 :: v_dual_add_nc_u32 v18, -1, v2
	s_waitcnt lgkmcnt(0)
	s_waitcnt_vscnt null, 0x0
	s_barrier
	buffer_gl0_inv
	ds_load_2addr_b32 v[54:55], v25 offset0:3 offset1:7
	s_waitcnt lgkmcnt(0)
	v_cmp_lt_i32_e32 vcc_lo, v54, v2
	v_cmp_lt_i32_e64 s2, v55, v14
	s_delay_alu instid0(VALU_DEP_1) | instskip(NEXT) | instid1(SALU_CYCLE_1)
	s_and_b32 s2, vcc_lo, s2
	s_and_saveexec_b32 s8, s2
	s_cbranch_execz .LBB23_222
; %bb.3:
	v_ashrrev_i32_e32 v1, 31, v0
	v_add_co_u32 v11, vcc_lo, v5, -4
	v_add_co_ci_u32_e32 v100, vcc_lo, -1, v6, vcc_lo
	v_add_co_u32 v101, vcc_lo, v12, -4
	v_ashrrev_i32_e32 v10, 31, v9
	v_lshlrev_b64 v[32:33], 2, v[0:1]
	v_add_co_ci_u32_e32 v102, vcc_lo, -1, v13, vcc_lo
	v_ashrrev_i32_e32 v3, 31, v2
	v_add_co_u32 v1, vcc_lo, v20, -4
	v_add_co_ci_u32_e32 v112, vcc_lo, -1, v4, vcc_lo
	v_lshlrev_b64 v[30:31], 2, v[9:10]
	v_add_co_u32 v113, vcc_lo, v7, v32
	v_add_co_ci_u32_e32 v114, vcc_lo, v8, v33, vcc_lo
	v_lshlrev_b64 v[32:33], 2, v[2:3]
	v_ashrrev_i32_e32 v24, 31, v23
	v_ashrrev_i32_e32 v19, 31, v18
	v_sub_co_u32 v3, vcc_lo, 0, v30
	v_sub_co_ci_u32_e32 v115, vcc_lo, 0, v31, vcc_lo
	v_add_co_u32 v116, vcc_lo, v32, -4
	v_lshlrev_b64 v[26:27], 2, v[23:24]
	v_lshlrev_b64 v[28:29], 2, v[18:19]
	v_mul_f32_e32 v103, v15, v15
	v_cmp_lt_i32_e64 s2, v0, v2
	v_add_co_ci_u32_e32 v117, vcc_lo, -1, v33, vcc_lo
	s_mov_b32 s6, 0x667f3bcd
	s_mov_b32 s7, 0x3ff6a09e
	s_mov_b32 s9, 0
                                        ; implicit-def: $vgpr36_vgpr37
                                        ; implicit-def: $vgpr34_vgpr35
                                        ; implicit-def: $vgpr48_vgpr49
                                        ; implicit-def: $vgpr118
                                        ; implicit-def: $vgpr32_vgpr33
                                        ; implicit-def: $vgpr38_vgpr39
                                        ; implicit-def: $vgpr119
                                        ; implicit-def: $vgpr52_vgpr53
                                        ; implicit-def: $vgpr50_vgpr51
	s_branch .LBB23_6
.LBB23_4:                               ;   in Loop: Header=BB23_6 Depth=1
	s_or_b32 exec_lo, exec_lo, s4
	v_dual_mov_b32 v50, v68 :: v_dual_mov_b32 v51, v69
	v_dual_mov_b32 v52, v66 :: v_dual_mov_b32 v53, v67
	v_mov_b32_e32 v119, v55
	s_waitcnt lgkmcnt(0)
	s_waitcnt_vscnt null, 0x0
	s_barrier
	buffer_gl0_inv
.LBB23_5:                               ;   in Loop: Header=BB23_6 Depth=1
	ds_load_2addr_b32 v[54:55], v25 offset0:3 offset1:7
	s_waitcnt lgkmcnt(0)
	v_cmp_ge_i32_e32 vcc_lo, v54, v2
	v_cmp_ge_i32_e64 s3, v55, v14
	s_delay_alu instid0(VALU_DEP_1) | instskip(NEXT) | instid1(SALU_CYCLE_1)
	s_or_b32 s3, vcc_lo, s3
	s_and_b32 s3, exec_lo, s3
	s_delay_alu instid0(SALU_CYCLE_1) | instskip(NEXT) | instid1(SALU_CYCLE_1)
	s_or_b32 s9, s3, s9
	s_and_not1_b32 exec_lo, exec_lo, s9
	s_cbranch_execz .LBB23_222
.LBB23_6:                               ; =>This Loop Header: Depth=1
                                        ;     Child Loop BB23_121 Depth 2
                                        ;     Child Loop BB23_19 Depth 2
	;; [unrolled: 1-line block ×5, first 2 shown]
                                        ;       Child Loop BB23_49 Depth 3
                                        ;       Child Loop BB23_69 Depth 3
	;; [unrolled: 1-line block ×3, first 2 shown]
                                        ;         Child Loop BB23_117 Depth 4
                                        ;     Child Loop BB23_132 Depth 2
                                        ;       Child Loop BB23_138 Depth 3
                                        ;       Child Loop BB23_158 Depth 3
                                        ;       Child Loop BB23_205 Depth 3
                                        ;         Child Loop BB23_206 Depth 4
                                        ;     Child Loop BB23_215 Depth 2
                                        ;     Child Loop BB23_221 Depth 2
	s_and_saveexec_b32 s5, s0
	s_cbranch_execz .LBB23_22
; %bb.7:                                ;   in Loop: Header=BB23_6 Depth=1
	v_cmp_gt_i32_e32 vcc_lo, 1, v54
	s_cbranch_vccnz .LBB23_9
; %bb.8:                                ;   in Loop: Header=BB23_6 Depth=1
	v_mov_b32_e32 v55, v25
	s_delay_alu instid0(VALU_DEP_1) | instskip(NEXT) | instid1(VALU_DEP_1)
	v_lshlrev_b64 v[64:65], 2, v[54:55]
	v_add_co_u32 v64, vcc_lo, v11, v64
	s_delay_alu instid0(VALU_DEP_2)
	v_add_co_ci_u32_e32 v65, vcc_lo, v100, v65, vcc_lo
	flat_store_b32 v[64:65], v25
.LBB23_9:                               ;   in Loop: Header=BB23_6 Depth=1
	v_ashrrev_i32_e32 v55, 31, v54
	s_mov_b32 s3, 0
	s_mov_b32 s10, 0
	s_mov_b32 s4, exec_lo
                                        ; implicit-def: $vgpr64_vgpr65
	v_cmpx_ge_i32_e64 v54, v18
	s_xor_b32 s4, exec_lo, s4
; %bb.10:                               ;   in Loop: Header=BB23_6 Depth=1
	v_dual_mov_b32 v65, v55 :: v_dual_mov_b32 v64, v54
	s_mov_b32 s10, exec_lo
; %bb.11:                               ;   in Loop: Header=BB23_6 Depth=1
	s_or_saveexec_b32 s11, s4
	s_delay_alu instid0(VALU_DEP_1) | instskip(NEXT) | instid1(VALU_DEP_2)
	v_dual_mov_b32 v24, v54 :: v_dual_mov_b32 v67, v65
	v_mov_b32_e32 v66, v64
	s_xor_b32 exec_lo, exec_lo, s11
	s_cbranch_execnz .LBB23_119
; %bb.12:                               ;   in Loop: Header=BB23_6 Depth=1
	s_or_b32 exec_lo, exec_lo, s11
	s_and_saveexec_b32 s4, s10
	s_cbranch_execnz .LBB23_125
.LBB23_13:                              ;   in Loop: Header=BB23_6 Depth=1
	s_or_b32 exec_lo, exec_lo, s4
	s_and_saveexec_b32 s4, s3
	s_cbranch_execz .LBB23_15
.LBB23_14:                              ;   in Loop: Header=BB23_6 Depth=1
	v_dual_mov_b32 v67, v49 :: v_dual_mov_b32 v66, v48
	v_dual_mov_b32 v65, v37 :: v_dual_mov_b32 v64, v36
	v_mov_b32_e32 v24, v36
	ds_store_b32 v25, v36 offset:4
	flat_store_b32 v[34:35], v25
.LBB23_15:                              ;   in Loop: Header=BB23_6 Depth=1
	s_or_b32 exec_lo, exec_lo, s4
	v_lshlrev_b64 v[64:65], 2, v[64:65]
	v_lshlrev_b64 v[66:67], 2, v[66:67]
	s_mov_b32 s3, exec_lo
	s_delay_alu instid0(VALU_DEP_2) | instskip(NEXT) | instid1(VALU_DEP_3)
	v_add_co_u32 v68, vcc_lo, v20, v64
	v_add_co_ci_u32_e32 v69, vcc_lo, v4, v65, vcc_lo
	s_delay_alu instid0(VALU_DEP_3) | instskip(NEXT) | instid1(VALU_DEP_4)
	v_add_co_u32 v64, vcc_lo, v20, v66
	v_add_co_ci_u32_e32 v65, vcc_lo, v4, v67, vcc_lo
	s_clause 0x1
	flat_load_b32 v55, v[68:69]
	flat_load_b32 v68, v[64:65]
	v_add_nc_u32_e32 v69, 1, v24
	ds_store_2addr_b32 v25, v54, v24 offset1:5
	ds_store_b32 v25, v24 offset:32
	ds_store_2addr_b32 v25, v69, v54 offset0:3 offset1:4
	s_waitcnt vmcnt(0) lgkmcnt(3)
	v_cmpx_lt_f32_e64 |v55|, |v68|
	s_cbranch_execz .LBB23_17
; %bb.16:                               ;   in Loop: Header=BB23_6 Depth=1
	ds_store_2addr_b32 v25, v24, v54 offset1:5
.LBB23_17:                              ;   in Loop: Header=BB23_6 Depth=1
	s_or_b32 exec_lo, exec_lo, s3
	v_and_b32_e32 v55, 0x7fffffff, v55
	s_mov_b32 s4, exec_lo
	v_cmpx_lt_i32_e64 v54, v24
	s_cbranch_execz .LBB23_21
; %bb.18:                               ;   in Loop: Header=BB23_6 Depth=1
	v_add_co_u32 v66, vcc_lo, v5, v66
	v_add_co_ci_u32_e32 v67, vcc_lo, v6, v67, vcc_lo
	s_mov_b32 s10, 0
	.p2align	6
.LBB23_19:                              ;   Parent Loop BB23_6 Depth=1
                                        ; =>  This Inner Loop Header: Depth=2
	flat_load_b32 v68, v[64:65]
	flat_load_b32 v69, v[66:67]
	v_add_nc_u32_e32 v54, 1, v54
	v_add_co_u32 v66, vcc_lo, v66, 4
	v_add_co_ci_u32_e32 v67, vcc_lo, 0, v67, vcc_lo
	v_add_co_u32 v64, vcc_lo, v64, 4
	s_delay_alu instid0(VALU_DEP_4) | instskip(SKIP_1) | instid1(VALU_DEP_2)
	v_cmp_ge_i32_e64 s3, v54, v24
	v_add_co_ci_u32_e32 v65, vcc_lo, 0, v65, vcc_lo
	s_or_b32 s10, s3, s10
	s_waitcnt vmcnt(0) lgkmcnt(0)
	v_max3_f32 v55, v55, |v68|, |v69|
	s_and_not1_b32 exec_lo, exec_lo, s10
	s_cbranch_execnz .LBB23_19
; %bb.20:                               ;   in Loop: Header=BB23_6 Depth=1
	s_or_b32 exec_lo, exec_lo, s10
.LBB23_21:                              ;   in Loop: Header=BB23_6 Depth=1
	s_delay_alu instid0(SALU_CYCLE_1)
	s_or_b32 exec_lo, exec_lo, s4
	ds_store_b32 v25, v55 offset:24
.LBB23_22:                              ;   in Loop: Header=BB23_6 Depth=1
	s_or_b32 exec_lo, exec_lo, s5
	s_waitcnt lgkmcnt(0)
	s_waitcnt_vscnt null, 0x0
	s_barrier
	buffer_gl0_inv
	ds_load_2addr_b32 v[64:65], v25 offset0:5 offset1:6
	ds_load_b32 v24, v25
	s_waitcnt lgkmcnt(1)
	v_cmp_eq_f32_e64 s3, 0, v65
	s_waitcnt lgkmcnt(0)
	v_cmp_eq_u32_e32 vcc_lo, v64, v24
	s_delay_alu instid0(VALU_DEP_2) | instskip(NEXT) | instid1(SALU_CYCLE_1)
	s_or_b32 s3, vcc_lo, s3
	s_and_b32 vcc_lo, exec_lo, s3
	s_cbranch_vccnz .LBB23_5
; %bb.23:                               ;   in Loop: Header=BB23_6 Depth=1
	s_mov_b32 s3, exec_lo
	v_cmpx_ngt_f32_e32 v65, v17
	s_xor_b32 s4, exec_lo, s3
	s_cbranch_execz .LBB23_31
; %bb.24:                               ;   in Loop: Header=BB23_6 Depth=1
	s_mov_b32 s5, exec_lo
	v_cmpx_lt_f32_e32 v65, v16
	s_cbranch_execz .LBB23_30
; %bb.25:                               ;   in Loop: Header=BB23_6 Depth=1
	v_div_scale_f32 v24, null, v16, v16, v65
	v_div_scale_f32 v66, vcc_lo, v65, v16, v65
	s_delay_alu instid0(VALU_DEP_2) | instskip(SKIP_2) | instid1(VALU_DEP_1)
	v_rcp_f32_e32 v64, v24
	s_waitcnt_depctr 0xfff
	v_fma_f32 v54, -v24, v64, 1.0
	v_fmac_f32_e32 v64, v54, v64
	ds_load_2addr_b32 v[54:55], v25 offset0:4 offset1:8
	v_mul_f32_e32 v67, v66, v64
	s_delay_alu instid0(VALU_DEP_1) | instskip(NEXT) | instid1(VALU_DEP_1)
	v_fma_f32 v68, -v24, v67, v66
	v_fmac_f32_e32 v67, v68, v64
	s_delay_alu instid0(VALU_DEP_1) | instskip(NEXT) | instid1(VALU_DEP_1)
	v_fma_f32 v24, -v24, v67, v66
	v_div_fmas_f32 v24, v24, v64, v67
	s_delay_alu instid0(VALU_DEP_1)
	v_div_fixup_f32 v24, v24, v16, v65
	s_and_saveexec_b32 s3, s0
	s_cbranch_execz .LBB23_27
; %bb.26:                               ;   in Loop: Header=BB23_6 Depth=1
	s_waitcnt lgkmcnt(0)
	v_ashrrev_i32_e32 v65, 31, v55
	v_mov_b32_e32 v64, v55
	s_delay_alu instid0(VALU_DEP_1) | instskip(NEXT) | instid1(VALU_DEP_1)
	v_lshlrev_b64 v[64:65], 2, v[64:65]
	v_add_co_u32 v64, vcc_lo, v20, v64
	s_delay_alu instid0(VALU_DEP_2)
	v_add_co_ci_u32_e32 v65, vcc_lo, v4, v65, vcc_lo
	flat_load_b32 v66, v[64:65]
	s_waitcnt vmcnt(0) lgkmcnt(0)
	v_mul_f32_e32 v66, v24, v66
	flat_store_b32 v[64:65], v66
.LBB23_27:                              ;   in Loop: Header=BB23_6 Depth=1
	s_or_b32 exec_lo, exec_lo, s3
	s_waitcnt lgkmcnt(0)
	v_add_nc_u32_e32 v64, v54, v0
	s_delay_alu instid0(VALU_DEP_1)
	v_cmp_lt_i32_e32 vcc_lo, v64, v55
	s_and_b32 exec_lo, exec_lo, vcc_lo
	s_cbranch_execz .LBB23_30
; %bb.28:                               ;   in Loop: Header=BB23_6 Depth=1
	v_ashrrev_i32_e32 v65, 31, v64
	s_mov_b32 s10, 0
	s_delay_alu instid0(VALU_DEP_1)
	v_lshlrev_b64 v[65:66], 2, v[64:65]
	.p2align	6
.LBB23_29:                              ;   Parent Loop BB23_6 Depth=1
                                        ; =>  This Inner Loop Header: Depth=2
	s_delay_alu instid0(VALU_DEP_1) | instskip(NEXT) | instid1(VALU_DEP_2)
	v_add_co_u32 v67, vcc_lo, v20, v65
	v_add_co_ci_u32_e32 v68, vcc_lo, v4, v66, vcc_lo
	v_add_co_u32 v69, vcc_lo, v5, v65
	v_add_co_ci_u32_e32 v70, vcc_lo, v6, v66, vcc_lo
	flat_load_b32 v54, v[67:68]
	v_add_nc_u32_e32 v64, v64, v23
	v_add_co_u32 v65, vcc_lo, v65, v26
	v_add_co_ci_u32_e32 v66, vcc_lo, v66, v27, vcc_lo
	s_delay_alu instid0(VALU_DEP_3) | instskip(NEXT) | instid1(VALU_DEP_1)
	v_cmp_ge_i32_e64 s3, v64, v55
	s_or_b32 s10, s3, s10
	s_waitcnt vmcnt(0) lgkmcnt(0)
	v_mul_f32_e32 v54, v24, v54
	flat_store_b32 v[67:68], v54
	flat_load_b32 v54, v[69:70]
	s_waitcnt vmcnt(0) lgkmcnt(0)
	v_mul_f32_e32 v54, v24, v54
	flat_store_b32 v[69:70], v54
	s_and_not1_b32 exec_lo, exec_lo, s10
	s_cbranch_execnz .LBB23_29
.LBB23_30:                              ;   in Loop: Header=BB23_6 Depth=1
	s_or_b32 exec_lo, exec_lo, s5
                                        ; implicit-def: $vgpr64_vgpr65
.LBB23_31:                              ;   in Loop: Header=BB23_6 Depth=1
	s_and_not1_saveexec_b32 s4, s4
	s_cbranch_execz .LBB23_38
; %bb.32:                               ;   in Loop: Header=BB23_6 Depth=1
	v_div_scale_f32 v24, null, v17, v17, v65
	v_div_scale_f32 v66, vcc_lo, v65, v17, v65
	s_delay_alu instid0(VALU_DEP_2) | instskip(SKIP_2) | instid1(VALU_DEP_1)
	v_rcp_f32_e32 v64, v24
	s_waitcnt_depctr 0xfff
	v_fma_f32 v54, -v24, v64, 1.0
	v_fmac_f32_e32 v64, v54, v64
	ds_load_2addr_b32 v[54:55], v25 offset0:4 offset1:8
	v_mul_f32_e32 v67, v66, v64
	s_delay_alu instid0(VALU_DEP_1) | instskip(NEXT) | instid1(VALU_DEP_1)
	v_fma_f32 v68, -v24, v67, v66
	v_fmac_f32_e32 v67, v68, v64
	s_delay_alu instid0(VALU_DEP_1) | instskip(NEXT) | instid1(VALU_DEP_1)
	v_fma_f32 v24, -v24, v67, v66
	v_div_fmas_f32 v24, v24, v64, v67
	s_delay_alu instid0(VALU_DEP_1)
	v_div_fixup_f32 v24, v24, v17, v65
	s_and_saveexec_b32 s3, s0
	s_cbranch_execz .LBB23_34
; %bb.33:                               ;   in Loop: Header=BB23_6 Depth=1
	s_waitcnt lgkmcnt(0)
	v_ashrrev_i32_e32 v65, 31, v55
	v_mov_b32_e32 v64, v55
	s_delay_alu instid0(VALU_DEP_1) | instskip(NEXT) | instid1(VALU_DEP_1)
	v_lshlrev_b64 v[64:65], 2, v[64:65]
	v_add_co_u32 v64, vcc_lo, v20, v64
	s_delay_alu instid0(VALU_DEP_2)
	v_add_co_ci_u32_e32 v65, vcc_lo, v4, v65, vcc_lo
	flat_load_b32 v66, v[64:65]
	s_waitcnt vmcnt(0) lgkmcnt(0)
	v_mul_f32_e32 v66, v24, v66
	flat_store_b32 v[64:65], v66
.LBB23_34:                              ;   in Loop: Header=BB23_6 Depth=1
	s_or_b32 exec_lo, exec_lo, s3
	s_waitcnt lgkmcnt(0)
	v_add_nc_u32_e32 v64, v54, v0
	s_mov_b32 s5, exec_lo
	s_delay_alu instid0(VALU_DEP_1)
	v_cmpx_lt_i32_e64 v64, v55
	s_cbranch_execz .LBB23_37
; %bb.35:                               ;   in Loop: Header=BB23_6 Depth=1
	v_ashrrev_i32_e32 v65, 31, v64
	s_mov_b32 s10, 0
	s_delay_alu instid0(VALU_DEP_1)
	v_lshlrev_b64 v[65:66], 2, v[64:65]
	.p2align	6
.LBB23_36:                              ;   Parent Loop BB23_6 Depth=1
                                        ; =>  This Inner Loop Header: Depth=2
	s_delay_alu instid0(VALU_DEP_1) | instskip(NEXT) | instid1(VALU_DEP_2)
	v_add_co_u32 v67, vcc_lo, v20, v65
	v_add_co_ci_u32_e32 v68, vcc_lo, v4, v66, vcc_lo
	v_add_co_u32 v69, vcc_lo, v5, v65
	v_add_co_ci_u32_e32 v70, vcc_lo, v6, v66, vcc_lo
	flat_load_b32 v54, v[67:68]
	v_add_nc_u32_e32 v64, v64, v23
	v_add_co_u32 v65, vcc_lo, v65, v26
	v_add_co_ci_u32_e32 v66, vcc_lo, v66, v27, vcc_lo
	s_delay_alu instid0(VALU_DEP_3) | instskip(NEXT) | instid1(VALU_DEP_1)
	v_cmp_ge_i32_e64 s3, v64, v55
	s_or_b32 s10, s3, s10
	s_waitcnt vmcnt(0) lgkmcnt(0)
	v_mul_f32_e32 v54, v24, v54
	flat_store_b32 v[67:68], v54
	flat_load_b32 v54, v[69:70]
	s_waitcnt vmcnt(0) lgkmcnt(0)
	v_mul_f32_e32 v54, v24, v54
	flat_store_b32 v[69:70], v54
	s_and_not1_b32 exec_lo, exec_lo, s10
	s_cbranch_execnz .LBB23_36
.LBB23_37:                              ;   in Loop: Header=BB23_6 Depth=1
	s_or_b32 exec_lo, exec_lo, s5
.LBB23_38:                              ;   in Loop: Header=BB23_6 Depth=1
	s_delay_alu instid0(SALU_CYCLE_1)
	s_or_b32 exec_lo, exec_lo, s4
	s_waitcnt lgkmcnt(0)
	s_waitcnt_vscnt null, 0x0
	s_barrier
	buffer_gl0_inv
	ds_load_2addr_b32 v[54:55], v25 offset1:5
	ds_load_b32 v65, v25 offset:28
	s_waitcnt lgkmcnt(1)
	v_cmp_lt_i32_e32 vcc_lo, v55, v54
	v_mov_b32_e32 v64, v55
	s_waitcnt lgkmcnt(0)
	v_cmp_lt_i32_e64 s3, v65, v14
	s_cbranch_vccnz .LBB23_123
; %bb.39:                               ;   in Loop: Header=BB23_6 Depth=1
	v_dual_mov_b32 v69, v51 :: v_dual_mov_b32 v68, v50
	v_dual_mov_b32 v67, v53 :: v_dual_mov_b32 v66, v52
	v_mov_b32_e32 v55, v119
	s_and_saveexec_b32 s10, s3
	s_cbranch_execz .LBB23_127
; %bb.40:                               ;   in Loop: Header=BB23_6 Depth=1
	v_mov_b32_e32 v67, v53
	v_dual_mov_b32 v69, v51 :: v_dual_mov_b32 v86, v65
	v_dual_mov_b32 v55, v119 :: v_dual_mov_b32 v66, v52
	;; [unrolled: 1-line block ×3, first 2 shown]
	v_mov_b32_e32 v70, v54
	s_mov_b32 s11, 0
	s_branch .LBB23_43
.LBB23_41:                              ;   in Loop: Header=BB23_43 Depth=2
	s_or_b32 exec_lo, exec_lo, s12
	s_waitcnt lgkmcnt(0)
	s_waitcnt_vscnt null, 0x0
	s_barrier
	buffer_gl0_inv
	ds_load_b32 v71, v25
.LBB23_42:                              ;   in Loop: Header=BB23_43 Depth=2
	ds_load_2addr_b32 v[85:86], v25 offset0:5 offset1:7
	s_waitcnt lgkmcnt(1)
	v_mov_b32_e32 v70, v71
	s_waitcnt lgkmcnt(0)
	v_cmp_gt_i32_e32 vcc_lo, v71, v85
	v_cmp_ge_i32_e64 s4, v86, v14
	s_delay_alu instid0(VALU_DEP_1) | instskip(NEXT) | instid1(SALU_CYCLE_1)
	s_or_b32 s4, vcc_lo, s4
	s_and_b32 s4, exec_lo, s4
	s_delay_alu instid0(SALU_CYCLE_1) | instskip(NEXT) | instid1(SALU_CYCLE_1)
	s_or_b32 s11, s4, s11
	s_and_not1_b32 exec_lo, exec_lo, s11
	s_cbranch_execz .LBB23_126
.LBB23_43:                              ;   Parent Loop BB23_6 Depth=1
                                        ; =>  This Loop Header: Depth=2
                                        ;       Child Loop BB23_49 Depth 3
                                        ;       Child Loop BB23_69 Depth 3
	;; [unrolled: 1-line block ×3, first 2 shown]
                                        ;         Child Loop BB23_117 Depth 4
	s_and_saveexec_b32 s12, s0
	s_cbranch_execz .LBB23_112
; %bb.44:                               ;   in Loop: Header=BB23_43 Depth=2
	v_cmp_lt_i32_e32 vcc_lo, v70, v85
	s_mov_b32 s4, 0
	s_cbranch_vccnz .LBB23_46
; %bb.45:                               ;   in Loop: Header=BB23_43 Depth=2
	v_ashrrev_i32_e32 v71, 31, v70
	s_mov_b32 s5, -1
	s_delay_alu instid0(VALU_DEP_1)
	v_dual_mov_b32 v81, v71 :: v_dual_mov_b32 v80, v70
	v_mov_b32_e32 v82, v70
	s_cbranch_execz .LBB23_47
	s_branch .LBB23_52
.LBB23_46:                              ;   in Loop: Header=BB23_43 Depth=2
	s_mov_b32 s5, 0
                                        ; implicit-def: $vgpr80_vgpr81
	v_mov_b32_e32 v82, v70
.LBB23_47:                              ;   in Loop: Header=BB23_43 Depth=2
	v_ashrrev_i32_e32 v71, 31, v70
	v_mov_b32_e32 v24, v70
	s_mov_b32 s13, 0
                                        ; implicit-def: $sgpr5
                                        ; implicit-def: $sgpr15
                                        ; implicit-def: $sgpr14
	s_delay_alu instid0(VALU_DEP_2) | instskip(NEXT) | instid1(VALU_DEP_1)
	v_lshlrev_b64 v[66:67], 2, v[70:71]
	v_add_co_u32 v68, vcc_lo, v20, v66
	s_delay_alu instid0(VALU_DEP_2)
	v_add_co_ci_u32_e32 v69, vcc_lo, v4, v67, vcc_lo
	v_add_co_u32 v80, vcc_lo, v5, v66
	v_add_co_ci_u32_e32 v81, vcc_lo, v6, v67, vcc_lo
	s_set_inst_prefetch_distance 0x1
	s_branch .LBB23_49
	.p2align	6
.LBB23_48:                              ;   in Loop: Header=BB23_49 Depth=3
	s_or_b32 exec_lo, exec_lo, s16
	s_xor_b32 s4, s14, -1
	s_and_b32 s16, exec_lo, s15
	s_delay_alu instid0(SALU_CYCLE_1) | instskip(SKIP_2) | instid1(SALU_CYCLE_1)
	s_or_b32 s13, s16, s13
	s_and_not1_b32 s5, s5, exec_lo
	s_and_b32 s4, s4, exec_lo
	s_or_b32 s5, s5, s4
	s_and_not1_b32 exec_lo, exec_lo, s13
	s_cbranch_execz .LBB23_51
.LBB23_49:                              ;   Parent Loop BB23_6 Depth=1
                                        ;     Parent Loop BB23_43 Depth=2
                                        ; =>    This Inner Loop Header: Depth=3
	s_delay_alu instid0(VALU_DEP_1)
	v_dual_mov_b32 v66, v80 :: v_dual_mov_b32 v67, v81
	s_or_b32 s14, s14, exec_lo
	s_or_b32 s15, s15, exec_lo
	flat_load_b64 v[80:81], v[68:69]
	flat_load_b32 v55, v[66:67]
	s_waitcnt vmcnt(0) lgkmcnt(0)
	v_dual_mul_f32 v80, v80, v81 :: v_dual_mul_f32 v81, v55, v55
	v_mov_b32_e32 v55, v24
                                        ; implicit-def: $vgpr24
	s_delay_alu instid0(VALU_DEP_2) | instskip(NEXT) | instid1(VALU_DEP_1)
	v_mul_f32_e64 v80, v103, |v80|
	v_cmp_nle_f32_e64 s4, |v81|, v80
                                        ; implicit-def: $vgpr80_vgpr81
	s_delay_alu instid0(VALU_DEP_1)
	s_and_saveexec_b32 s16, s4
	s_cbranch_execz .LBB23_48
; %bb.50:                               ;   in Loop: Header=BB23_49 Depth=3
	v_add_nc_u32_e32 v24, 1, v55
	v_add_co_u32 v68, vcc_lo, v68, 4
	v_add_co_ci_u32_e32 v69, vcc_lo, 0, v69, vcc_lo
	s_delay_alu instid0(VALU_DEP_3) | instskip(SKIP_1) | instid1(VALU_DEP_1)
	v_cmp_ge_i32_e32 vcc_lo, v24, v85
	v_add_co_u32 v80, s4, v66, 4
	v_add_co_ci_u32_e64 v81, s4, 0, v67, s4
	s_and_not1_b32 s4, s15, exec_lo
	s_and_b32 s15, vcc_lo, exec_lo
	s_and_not1_b32 s14, s14, exec_lo
	s_or_b32 s15, s4, s15
	s_branch .LBB23_48
.LBB23_51:                              ;   in Loop: Header=BB23_43 Depth=2
	s_set_inst_prefetch_distance 0x2
	s_or_b32 exec_lo, exec_lo, s13
	v_dual_mov_b32 v82, v85 :: v_dual_mov_b32 v81, v71
	v_dual_mov_b32 v68, v70 :: v_dual_mov_b32 v69, v71
	v_mov_b32_e32 v80, v70
	s_mov_b32 s4, -1
.LBB23_52:                              ;   in Loop: Header=BB23_43 Depth=2
	s_and_saveexec_b32 s13, s5
	s_cbranch_execnz .LBB23_81
; %bb.53:                               ;   in Loop: Header=BB23_43 Depth=2
	s_or_b32 exec_lo, exec_lo, s13
	s_and_saveexec_b32 s5, s4
	s_cbranch_execz .LBB23_55
.LBB23_54:                              ;   in Loop: Header=BB23_43 Depth=2
	v_dual_mov_b32 v81, v69 :: v_dual_mov_b32 v80, v68
	v_mov_b32_e32 v82, v55
	ds_store_2addr_b32 v25, v55, v70 offset0:1 offset1:4
	flat_store_b32 v[66:67], v25
.LBB23_55:                              ;   in Loop: Header=BB23_43 Depth=2
	s_or_b32 exec_lo, exec_lo, s5
	v_lshlrev_b64 v[84:85], 2, v[80:81]
	s_mov_b32 s4, exec_lo
	s_delay_alu instid0(VALU_DEP_1) | instskip(NEXT) | instid1(VALU_DEP_2)
	v_add_co_u32 v80, vcc_lo, v20, v84
	v_add_co_ci_u32_e32 v81, vcc_lo, v4, v85, vcc_lo
	flat_load_b32 v87, v[80:81]
	s_waitcnt vmcnt(0) lgkmcnt(0)
	ds_store_b32 v25, v87 offset:8
	v_cmpx_ne_u32_e64 v82, v70
	s_xor_b32 s13, exec_lo, s4
	s_cbranch_execz .LBB23_109
; %bb.56:                               ;   in Loop: Header=BB23_43 Depth=2
	v_add_nc_u32_e32 v24, 1, v70
	s_mov_b32 s4, exec_lo
	s_delay_alu instid0(VALU_DEP_1)
	v_cmpx_ne_u32_e64 v82, v24
	s_xor_b32 s5, exec_lo, s4
	s_cbranch_execz .LBB23_85
; %bb.57:                               ;   in Loop: Header=BB23_43 Depth=2
	v_add_co_u32 v84, vcc_lo, v5, v84
	v_add_co_ci_u32_e32 v85, vcc_lo, v6, v85, vcc_lo
	v_ashrrev_i32_e32 v83, 31, v82
	v_add_nc_u32_e32 v86, 1, v86
	flat_load_b32 v24, v[80:81] offset:4
	flat_load_b32 v71, v[84:85]
	s_mov_b32 s14, exec_lo
	v_lshlrev_b64 v[98:99], 2, v[82:83]
	s_delay_alu instid0(VALU_DEP_1) | instskip(NEXT) | instid1(VALU_DEP_2)
	v_add_co_u32 v96, vcc_lo, v20, v98
	v_add_co_ci_u32_e32 v97, vcc_lo, v4, v99, vcc_lo
	flat_load_b32 v83, v[96:97]
	ds_store_2addr_b32 v25, v25, v86 offset0:2 offset1:7
	s_waitcnt vmcnt(2) lgkmcnt(3)
	v_sub_f32_e32 v24, v24, v87
	s_waitcnt vmcnt(1) lgkmcnt(2)
	v_add_f32_e32 v128, v71, v71
	s_delay_alu instid0(VALU_DEP_1) | instskip(SKIP_1) | instid1(VALU_DEP_2)
	v_div_scale_f32 v129, null, v128, v128, v24
	v_div_scale_f32 v132, vcc_lo, v24, v128, v24
	v_rcp_f32_e32 v130, v129
	s_waitcnt vmcnt(0) lgkmcnt(1)
	v_sub_f32_e32 v83, v83, v87
	s_waitcnt_depctr 0xfff
	v_fma_f32 v131, -v129, v130, 1.0
	s_delay_alu instid0(VALU_DEP_1) | instskip(NEXT) | instid1(VALU_DEP_1)
	v_fmac_f32_e32 v130, v131, v130
	v_mul_f32_e32 v131, v132, v130
	s_delay_alu instid0(VALU_DEP_1) | instskip(NEXT) | instid1(VALU_DEP_1)
	v_fma_f32 v133, -v129, v131, v132
	v_fmac_f32_e32 v131, v133, v130
	s_delay_alu instid0(VALU_DEP_1) | instskip(NEXT) | instid1(VALU_DEP_1)
	v_fma_f32 v129, -v129, v131, v132
	v_div_fmas_f32 v129, v129, v130, v131
	s_delay_alu instid0(VALU_DEP_1) | instskip(NEXT) | instid1(VALU_DEP_1)
	v_div_fixup_f32 v24, v129, v128, v24
	v_fma_f32 v128, v24, v24, 1.0
	s_delay_alu instid0(VALU_DEP_1) | instskip(SKIP_1) | instid1(VALU_DEP_2)
	v_mul_f32_e32 v129, 0x4f800000, v128
	v_cmp_gt_f32_e32 vcc_lo, 0xf800000, v128
	v_cndmask_b32_e32 v128, v128, v129, vcc_lo
	s_delay_alu instid0(VALU_DEP_1) | instskip(SKIP_3) | instid1(VALU_DEP_2)
	v_sqrt_f32_e32 v129, v128
	s_waitcnt_depctr 0xfff
	v_add_nc_u32_e32 v130, -1, v129
	v_add_nc_u32_e32 v131, 1, v129
	v_fma_f32 v132, -v130, v129, v128
	s_delay_alu instid0(VALU_DEP_2) | instskip(NEXT) | instid1(VALU_DEP_2)
	v_fma_f32 v133, -v131, v129, v128
	v_cmp_ge_f32_e64 s4, 0, v132
	s_delay_alu instid0(VALU_DEP_1) | instskip(NEXT) | instid1(VALU_DEP_3)
	v_cndmask_b32_e64 v129, v129, v130, s4
	v_cmp_lt_f32_e64 s4, 0, v133
	s_delay_alu instid0(VALU_DEP_1) | instskip(NEXT) | instid1(VALU_DEP_1)
	v_cndmask_b32_e64 v129, v129, v131, s4
	v_mul_f32_e32 v130, 0x37800000, v129
	s_delay_alu instid0(VALU_DEP_1) | instskip(SKIP_1) | instid1(VALU_DEP_2)
	v_cndmask_b32_e32 v129, v129, v130, vcc_lo
	v_cmp_class_f32_e64 vcc_lo, v128, 0x260
	v_cndmask_b32_e32 v128, v129, v128, vcc_lo
	v_cmp_nle_f32_e32 vcc_lo, 0, v24
	s_delay_alu instid0(VALU_DEP_2) | instskip(NEXT) | instid1(VALU_DEP_1)
	v_cndmask_b32_e64 v128, |v128|, -|v128|, vcc_lo
	v_add_f32_e32 v24, v24, v128
	s_delay_alu instid0(VALU_DEP_1) | instskip(NEXT) | instid1(VALU_DEP_1)
	v_div_scale_f32 v128, null, v24, v24, v71
	v_rcp_f32_e32 v129, v128
	s_waitcnt_depctr 0xfff
	v_fma_f32 v130, -v128, v129, 1.0
	s_delay_alu instid0(VALU_DEP_1) | instskip(SKIP_1) | instid1(VALU_DEP_1)
	v_fmac_f32_e32 v129, v130, v129
	v_div_scale_f32 v131, vcc_lo, v71, v24, v71
	v_mul_f32_e32 v130, v131, v129
	s_delay_alu instid0(VALU_DEP_1) | instskip(NEXT) | instid1(VALU_DEP_1)
	v_fma_f32 v132, -v128, v130, v131
	v_fmac_f32_e32 v130, v132, v129
	s_delay_alu instid0(VALU_DEP_1) | instskip(NEXT) | instid1(VALU_DEP_1)
	v_fma_f32 v128, -v128, v130, v131
	v_div_fmas_f32 v128, v128, v129, v130
	s_delay_alu instid0(VALU_DEP_1) | instskip(NEXT) | instid1(VALU_DEP_1)
	v_div_fixup_f32 v24, v128, v24, v71
	v_dual_mov_b32 v71, 0 :: v_dual_add_f32 v24, v83, v24
	v_cmpx_gt_i32_e64 v82, v70
	s_cbranch_execz .LBB23_84
; %bb.58:                               ;   in Loop: Header=BB23_43 Depth=2
	v_add_co_u32 v86, vcc_lo, v11, v98
	v_add_co_ci_u32_e32 v87, vcc_lo, v100, v99, vcc_lo
	v_dual_mov_b32 v71, 1.0 :: v_dual_mov_b32 v128, 0
	s_mov_b32 s15, exec_lo
	flat_load_b32 v83, v[86:87]
	s_waitcnt vmcnt(0) lgkmcnt(0)
	v_cmpx_neq_f32_e32 0, v83
	s_cbranch_execz .LBB23_66
; %bb.59:                               ;   in Loop: Header=BB23_43 Depth=2
	v_dual_mov_b32 v128, 1.0 :: v_dual_mov_b32 v71, 0
	s_mov_b32 s16, exec_lo
	v_cmpx_neq_f32_e32 0, v24
	s_cbranch_execz .LBB23_65
; %bb.60:                               ;   in Loop: Header=BB23_43 Depth=2
	s_mov_b32 s17, exec_lo
                                        ; implicit-def: $vgpr128
                                        ; implicit-def: $vgpr71
	v_cmpx_ngt_f32_e64 |v83|, |v24|
	s_xor_b32 s17, exec_lo, s17
	s_cbranch_execz .LBB23_62
; %bb.61:                               ;   in Loop: Header=BB23_43 Depth=2
	v_div_scale_f32 v71, null, v24, v24, -v83
	v_div_scale_f32 v128, vcc_lo, -v83, v24, -v83
	s_delay_alu instid0(VALU_DEP_2) | instskip(SKIP_2) | instid1(VALU_DEP_1)
	v_rcp_f32_e32 v86, v71
	s_waitcnt_depctr 0xfff
	v_fma_f32 v87, -v71, v86, 1.0
	v_fmac_f32_e32 v86, v87, v86
	s_delay_alu instid0(VALU_DEP_1) | instskip(NEXT) | instid1(VALU_DEP_1)
	v_mul_f32_e32 v87, v128, v86
	v_fma_f32 v129, -v71, v87, v128
	s_delay_alu instid0(VALU_DEP_1) | instskip(NEXT) | instid1(VALU_DEP_1)
	v_fmac_f32_e32 v87, v129, v86
	v_fma_f32 v71, -v71, v87, v128
	s_delay_alu instid0(VALU_DEP_1) | instskip(NEXT) | instid1(VALU_DEP_1)
	v_div_fmas_f32 v71, v71, v86, v87
	v_div_fixup_f32 v24, v71, v24, -v83
	s_delay_alu instid0(VALU_DEP_1) | instskip(NEXT) | instid1(VALU_DEP_1)
	v_fma_f32 v71, v24, v24, 1.0
	v_mul_f32_e32 v86, 0x4f800000, v71
	v_cmp_gt_f32_e32 vcc_lo, 0xf800000, v71
	s_delay_alu instid0(VALU_DEP_2) | instskip(NEXT) | instid1(VALU_DEP_1)
	v_cndmask_b32_e32 v71, v71, v86, vcc_lo
	v_sqrt_f32_e32 v86, v71
	s_waitcnt_depctr 0xfff
	v_add_nc_u32_e32 v87, -1, v86
	v_add_nc_u32_e32 v128, 1, v86
	s_delay_alu instid0(VALU_DEP_2) | instskip(NEXT) | instid1(VALU_DEP_2)
	v_fma_f32 v129, -v87, v86, v71
	v_fma_f32 v130, -v128, v86, v71
	s_delay_alu instid0(VALU_DEP_2) | instskip(NEXT) | instid1(VALU_DEP_1)
	v_cmp_ge_f32_e64 s4, 0, v129
	v_cndmask_b32_e64 v86, v86, v87, s4
	s_delay_alu instid0(VALU_DEP_3) | instskip(NEXT) | instid1(VALU_DEP_1)
	v_cmp_lt_f32_e64 s4, 0, v130
	v_cndmask_b32_e64 v86, v86, v128, s4
	s_delay_alu instid0(VALU_DEP_1) | instskip(NEXT) | instid1(VALU_DEP_1)
	v_mul_f32_e32 v87, 0x37800000, v86
	v_cndmask_b32_e32 v86, v86, v87, vcc_lo
	v_cmp_class_f32_e64 vcc_lo, v71, 0x260
	s_delay_alu instid0(VALU_DEP_2) | instskip(NEXT) | instid1(VALU_DEP_1)
	v_cndmask_b32_e32 v71, v86, v71, vcc_lo
	v_div_scale_f32 v86, null, v71, v71, 1.0
	s_delay_alu instid0(VALU_DEP_1) | instskip(SKIP_2) | instid1(VALU_DEP_1)
	v_rcp_f32_e32 v87, v86
	s_waitcnt_depctr 0xfff
	v_fma_f32 v128, -v86, v87, 1.0
	v_fmac_f32_e32 v87, v128, v87
	v_div_scale_f32 v128, vcc_lo, 1.0, v71, 1.0
	s_delay_alu instid0(VALU_DEP_1) | instskip(NEXT) | instid1(VALU_DEP_1)
	v_mul_f32_e32 v129, v128, v87
	v_fma_f32 v130, -v86, v129, v128
	s_delay_alu instid0(VALU_DEP_1) | instskip(NEXT) | instid1(VALU_DEP_1)
	v_fmac_f32_e32 v129, v130, v87
	v_fma_f32 v86, -v86, v129, v128
	s_delay_alu instid0(VALU_DEP_1) | instskip(NEXT) | instid1(VALU_DEP_1)
	v_div_fmas_f32 v86, v86, v87, v129
	v_div_fixup_f32 v71, v86, v71, 1.0
	s_delay_alu instid0(VALU_DEP_1)
	v_mul_f32_e32 v128, v24, v71
                                        ; implicit-def: $vgpr24
.LBB23_62:                              ;   in Loop: Header=BB23_43 Depth=2
	s_and_not1_saveexec_b32 s17, s17
	s_cbranch_execz .LBB23_64
; %bb.63:                               ;   in Loop: Header=BB23_43 Depth=2
	v_div_scale_f32 v71, null, v83, v83, -v24
	v_div_scale_f32 v128, vcc_lo, -v24, v83, -v24
	s_delay_alu instid0(VALU_DEP_2) | instskip(SKIP_2) | instid1(VALU_DEP_1)
	v_rcp_f32_e32 v86, v71
	s_waitcnt_depctr 0xfff
	v_fma_f32 v87, -v71, v86, 1.0
	v_fmac_f32_e32 v86, v87, v86
	s_delay_alu instid0(VALU_DEP_1) | instskip(NEXT) | instid1(VALU_DEP_1)
	v_mul_f32_e32 v87, v128, v86
	v_fma_f32 v129, -v71, v87, v128
	s_delay_alu instid0(VALU_DEP_1) | instskip(NEXT) | instid1(VALU_DEP_1)
	v_fmac_f32_e32 v87, v129, v86
	v_fma_f32 v71, -v71, v87, v128
	s_delay_alu instid0(VALU_DEP_1) | instskip(NEXT) | instid1(VALU_DEP_1)
	v_div_fmas_f32 v71, v71, v86, v87
	v_div_fixup_f32 v24, v71, v83, -v24
	s_delay_alu instid0(VALU_DEP_1) | instskip(NEXT) | instid1(VALU_DEP_1)
	v_fma_f32 v71, v24, v24, 1.0
	v_mul_f32_e32 v86, 0x4f800000, v71
	v_cmp_gt_f32_e32 vcc_lo, 0xf800000, v71
	s_delay_alu instid0(VALU_DEP_2) | instskip(NEXT) | instid1(VALU_DEP_1)
	v_cndmask_b32_e32 v71, v71, v86, vcc_lo
	v_sqrt_f32_e32 v86, v71
	s_waitcnt_depctr 0xfff
	v_add_nc_u32_e32 v87, -1, v86
	v_add_nc_u32_e32 v128, 1, v86
	s_delay_alu instid0(VALU_DEP_2) | instskip(NEXT) | instid1(VALU_DEP_2)
	v_fma_f32 v129, -v87, v86, v71
	v_fma_f32 v130, -v128, v86, v71
	s_delay_alu instid0(VALU_DEP_2) | instskip(NEXT) | instid1(VALU_DEP_1)
	v_cmp_ge_f32_e64 s4, 0, v129
	v_cndmask_b32_e64 v86, v86, v87, s4
	s_delay_alu instid0(VALU_DEP_3) | instskip(NEXT) | instid1(VALU_DEP_1)
	v_cmp_lt_f32_e64 s4, 0, v130
	v_cndmask_b32_e64 v86, v86, v128, s4
	s_delay_alu instid0(VALU_DEP_1) | instskip(NEXT) | instid1(VALU_DEP_1)
	v_mul_f32_e32 v87, 0x37800000, v86
	v_cndmask_b32_e32 v86, v86, v87, vcc_lo
	v_cmp_class_f32_e64 vcc_lo, v71, 0x260
	s_delay_alu instid0(VALU_DEP_2) | instskip(NEXT) | instid1(VALU_DEP_1)
	v_cndmask_b32_e32 v71, v86, v71, vcc_lo
	v_div_scale_f32 v86, null, v71, v71, 1.0
	s_delay_alu instid0(VALU_DEP_1) | instskip(SKIP_2) | instid1(VALU_DEP_1)
	v_rcp_f32_e32 v87, v86
	s_waitcnt_depctr 0xfff
	v_fma_f32 v128, -v86, v87, 1.0
	v_fmac_f32_e32 v87, v128, v87
	v_div_scale_f32 v128, vcc_lo, 1.0, v71, 1.0
	s_delay_alu instid0(VALU_DEP_1) | instskip(NEXT) | instid1(VALU_DEP_1)
	v_mul_f32_e32 v129, v128, v87
	v_fma_f32 v130, -v86, v129, v128
	s_delay_alu instid0(VALU_DEP_1) | instskip(NEXT) | instid1(VALU_DEP_1)
	v_fmac_f32_e32 v129, v130, v87
	v_fma_f32 v86, -v86, v129, v128
	s_delay_alu instid0(VALU_DEP_1) | instskip(NEXT) | instid1(VALU_DEP_1)
	v_div_fmas_f32 v86, v86, v87, v129
	v_div_fixup_f32 v128, v86, v71, 1.0
	s_delay_alu instid0(VALU_DEP_1)
	v_mul_f32_e32 v71, v24, v128
.LBB23_64:                              ;   in Loop: Header=BB23_43 Depth=2
	s_or_b32 exec_lo, exec_lo, s17
.LBB23_65:                              ;   in Loop: Header=BB23_43 Depth=2
	s_delay_alu instid0(SALU_CYCLE_1)
	s_or_b32 exec_lo, exec_lo, s16
.LBB23_66:                              ;   in Loop: Header=BB23_43 Depth=2
	s_delay_alu instid0(SALU_CYCLE_1)
	s_or_b32 exec_lo, exec_lo, s15
	v_add_co_u32 v86, vcc_lo, -4, v96
	v_add_co_ci_u32_e32 v87, vcc_lo, -1, v97, vcc_lo
	v_add_co_u32 v98, vcc_lo, v101, v98
	v_add_co_ci_u32_e32 v99, vcc_lo, v102, v99, vcc_lo
	flat_load_b64 v[86:87], v[86:87]
	s_mov_b32 s15, exec_lo
	s_waitcnt vmcnt(0) lgkmcnt(0)
	v_sub_f32_e32 v24, v86, v87
	v_dual_add_f32 v129, v71, v71 :: v_dual_add_nc_u32 v86, -1, v82
	s_delay_alu instid0(VALU_DEP_2) | instskip(NEXT) | instid1(VALU_DEP_1)
	v_mul_f32_e32 v24, v128, v24
	v_fma_f32 v24, v83, v129, -v24
	v_add_co_u32 v129, vcc_lo, v98, v28
	v_add_co_ci_u32_e32 v130, vcc_lo, v99, v29, vcc_lo
	s_delay_alu instid0(VALU_DEP_3)
	v_mul_f32_e64 v131, v24, -v128
	v_fma_f32 v87, v24, -v128, v87
	v_fma_f32 v24, v71, v24, -v83
	ds_store_b32 v25, v131 offset:8
	flat_store_b32 v[96:97], v87
	s_clause 0x1
	flat_store_b32 v[98:99], v71
	flat_store_b32 v[129:130], v128
	v_cmpx_gt_i32_e64 v86, v70
	s_cbranch_execz .LBB23_83
; %bb.67:                               ;   in Loop: Header=BB23_43 Depth=2
	v_ashrrev_i32_e32 v87, 31, v86
	v_xor_b32_e32 v128, 0x80000000, v128
	s_mov_b32 s17, -1
	s_mov_b32 s16, 0
	s_delay_alu instid0(VALU_DEP_2) | instskip(NEXT) | instid1(VALU_DEP_1)
	v_lshlrev_b64 v[98:99], 2, v[86:87]
	v_add_co_u32 v86, vcc_lo, v101, v98
	s_delay_alu instid0(VALU_DEP_2)
	v_add_co_ci_u32_e32 v87, vcc_lo, v102, v99, vcc_lo
	v_add_co_u32 v96, vcc_lo, v1, v98
	v_add_co_ci_u32_e32 v97, vcc_lo, v112, v99, vcc_lo
	v_add_co_u32 v98, vcc_lo, v11, v98
	v_add_co_ci_u32_e32 v99, vcc_lo, v100, v99, vcc_lo
	s_branch .LBB23_69
.LBB23_68:                              ;   in Loop: Header=BB23_69 Depth=3
	flat_load_b64 v[131:132], v[96:97]
	ds_load_b32 v24, v25 offset:8
	s_add_i32 s17, s17, -1
	v_mul_f32_e32 v71, v71, v83
	v_add_nc_u32_e32 v133, s17, v82
	s_waitcnt vmcnt(0) lgkmcnt(0)
	v_dual_add_f32 v83, v130, v130 :: v_dual_sub_f32 v24, v132, v24
	s_delay_alu instid0(VALU_DEP_1) | instskip(NEXT) | instid1(VALU_DEP_1)
	v_sub_f32_e32 v128, v131, v24
	v_mul_f32_e32 v131, v129, v128
	v_xor_b32_e32 v128, 0x80000000, v129
	s_delay_alu instid0(VALU_DEP_2) | instskip(SKIP_2) | instid1(VALU_DEP_3)
	v_fma_f32 v83, v71, v83, -v131
	v_add_co_u32 v131, vcc_lo, v86, v28
	v_add_co_ci_u32_e32 v132, vcc_lo, v87, v29, vcc_lo
	v_mul_f32_e64 v134, v83, -v129
	v_fma_f32 v135, v83, -v129, v24
	v_add_co_u32 v98, vcc_lo, v98, -4
	v_add_co_ci_u32_e32 v99, vcc_lo, -1, v99, vcc_lo
	ds_store_b32 v25, v134 offset:8
	flat_store_b32 v[96:97], v135 offset:4
	flat_store_b32 v[86:87], v130
	v_add_co_u32 v86, s4, v86, -4
	s_delay_alu instid0(VALU_DEP_1)
	v_add_co_ci_u32_e64 v87, s4, -1, v87, s4
	v_cmp_le_i32_e32 vcc_lo, v133, v70
	v_add_co_u32 v96, s4, v96, -4
	v_fma_f32 v24, v130, v83, -v71
	v_add_co_ci_u32_e64 v97, s4, -1, v97, s4
	v_mov_b32_e32 v71, v130
	s_or_b32 s16, vcc_lo, s16
	flat_store_b32 v[131:132], v129
	s_and_not1_b32 exec_lo, exec_lo, s16
	s_cbranch_execz .LBB23_82
.LBB23_69:                              ;   Parent Loop BB23_6 Depth=1
                                        ;     Parent Loop BB23_43 Depth=2
                                        ; =>    This Inner Loop Header: Depth=3
	flat_load_b32 v83, v[98:99]
	v_mov_b32_e32 v130, 1.0
	s_mov_b32 s18, exec_lo
	s_waitcnt vmcnt(0) lgkmcnt(0)
	v_dual_mov_b32 v129, 0 :: v_dual_mul_f32 v128, v128, v83
	s_delay_alu instid0(VALU_DEP_1)
	v_cmpx_neq_f32_e32 0, v128
	s_cbranch_execz .LBB23_79
; %bb.70:                               ;   in Loop: Header=BB23_69 Depth=3
                                        ; implicit-def: $vgpr129
                                        ; implicit-def: $vgpr130
	s_mov_b32 s4, exec_lo
	v_cmpx_neq_f32_e32 0, v24
	s_xor_b32 s19, exec_lo, s4
	s_cbranch_execz .LBB23_76
; %bb.71:                               ;   in Loop: Header=BB23_69 Depth=3
	s_mov_b32 s20, exec_lo
                                        ; implicit-def: $vgpr129
                                        ; implicit-def: $vgpr130
	v_cmpx_ngt_f32_e64 |v128|, |v24|
	s_xor_b32 s20, exec_lo, s20
	s_cbranch_execz .LBB23_73
; %bb.72:                               ;   in Loop: Header=BB23_69 Depth=3
	v_div_scale_f32 v129, null, v24, v24, -v128
	v_div_scale_f32 v132, vcc_lo, -v128, v24, -v128
	s_delay_alu instid0(VALU_DEP_2) | instskip(SKIP_2) | instid1(VALU_DEP_1)
	v_rcp_f32_e32 v130, v129
	s_waitcnt_depctr 0xfff
	v_fma_f32 v131, -v129, v130, 1.0
	v_fmac_f32_e32 v130, v131, v130
	s_delay_alu instid0(VALU_DEP_1) | instskip(NEXT) | instid1(VALU_DEP_1)
	v_mul_f32_e32 v131, v132, v130
	v_fma_f32 v133, -v129, v131, v132
	s_delay_alu instid0(VALU_DEP_1) | instskip(NEXT) | instid1(VALU_DEP_1)
	v_fmac_f32_e32 v131, v133, v130
	v_fma_f32 v129, -v129, v131, v132
	s_delay_alu instid0(VALU_DEP_1) | instskip(NEXT) | instid1(VALU_DEP_1)
	v_div_fmas_f32 v129, v129, v130, v131
	v_div_fixup_f32 v129, v129, v24, -v128
	s_delay_alu instid0(VALU_DEP_1) | instskip(NEXT) | instid1(VALU_DEP_1)
	v_fma_f32 v130, v129, v129, 1.0
	v_mul_f32_e32 v131, 0x4f800000, v130
	v_cmp_gt_f32_e32 vcc_lo, 0xf800000, v130
	s_delay_alu instid0(VALU_DEP_2) | instskip(NEXT) | instid1(VALU_DEP_1)
	v_cndmask_b32_e32 v130, v130, v131, vcc_lo
	v_sqrt_f32_e32 v131, v130
	s_waitcnt_depctr 0xfff
	v_add_nc_u32_e32 v132, -1, v131
	v_add_nc_u32_e32 v133, 1, v131
	s_delay_alu instid0(VALU_DEP_2) | instskip(NEXT) | instid1(VALU_DEP_2)
	v_fma_f32 v134, -v132, v131, v130
	v_fma_f32 v135, -v133, v131, v130
	s_delay_alu instid0(VALU_DEP_2) | instskip(NEXT) | instid1(VALU_DEP_1)
	v_cmp_ge_f32_e64 s4, 0, v134
	v_cndmask_b32_e64 v131, v131, v132, s4
	s_delay_alu instid0(VALU_DEP_3) | instskip(NEXT) | instid1(VALU_DEP_1)
	v_cmp_lt_f32_e64 s4, 0, v135
	v_cndmask_b32_e64 v131, v131, v133, s4
	s_delay_alu instid0(VALU_DEP_1) | instskip(NEXT) | instid1(VALU_DEP_1)
	v_mul_f32_e32 v132, 0x37800000, v131
	v_cndmask_b32_e32 v131, v131, v132, vcc_lo
	v_cmp_class_f32_e64 vcc_lo, v130, 0x260
	s_delay_alu instid0(VALU_DEP_2) | instskip(NEXT) | instid1(VALU_DEP_1)
	v_cndmask_b32_e32 v130, v131, v130, vcc_lo
	v_div_scale_f32 v131, null, v130, v130, 1.0
	s_delay_alu instid0(VALU_DEP_1) | instskip(SKIP_2) | instid1(VALU_DEP_1)
	v_rcp_f32_e32 v132, v131
	s_waitcnt_depctr 0xfff
	v_fma_f32 v133, -v131, v132, 1.0
	v_fmac_f32_e32 v132, v133, v132
	v_div_scale_f32 v133, vcc_lo, 1.0, v130, 1.0
	s_delay_alu instid0(VALU_DEP_1) | instskip(NEXT) | instid1(VALU_DEP_1)
	v_mul_f32_e32 v134, v133, v132
	v_fma_f32 v135, -v131, v134, v133
	s_delay_alu instid0(VALU_DEP_1) | instskip(NEXT) | instid1(VALU_DEP_1)
	v_fmac_f32_e32 v134, v135, v132
	v_fma_f32 v131, -v131, v134, v133
	s_delay_alu instid0(VALU_DEP_1) | instskip(NEXT) | instid1(VALU_DEP_1)
	v_div_fmas_f32 v131, v131, v132, v134
	v_div_fixup_f32 v130, v131, v130, 1.0
	s_delay_alu instid0(VALU_DEP_1)
	v_mul_f32_e32 v129, v129, v130
.LBB23_73:                              ;   in Loop: Header=BB23_69 Depth=3
	s_and_not1_saveexec_b32 s20, s20
	s_cbranch_execz .LBB23_75
; %bb.74:                               ;   in Loop: Header=BB23_69 Depth=3
	v_div_scale_f32 v129, null, v128, v128, -v24
	v_div_scale_f32 v132, vcc_lo, -v24, v128, -v24
	s_delay_alu instid0(VALU_DEP_2) | instskip(SKIP_2) | instid1(VALU_DEP_1)
	v_rcp_f32_e32 v130, v129
	s_waitcnt_depctr 0xfff
	v_fma_f32 v131, -v129, v130, 1.0
	v_fmac_f32_e32 v130, v131, v130
	s_delay_alu instid0(VALU_DEP_1) | instskip(NEXT) | instid1(VALU_DEP_1)
	v_mul_f32_e32 v131, v132, v130
	v_fma_f32 v133, -v129, v131, v132
	s_delay_alu instid0(VALU_DEP_1) | instskip(NEXT) | instid1(VALU_DEP_1)
	v_fmac_f32_e32 v131, v133, v130
	v_fma_f32 v129, -v129, v131, v132
	s_delay_alu instid0(VALU_DEP_1) | instskip(NEXT) | instid1(VALU_DEP_1)
	v_div_fmas_f32 v129, v129, v130, v131
	v_div_fixup_f32 v130, v129, v128, -v24
	s_delay_alu instid0(VALU_DEP_1) | instskip(NEXT) | instid1(VALU_DEP_1)
	v_fma_f32 v129, v130, v130, 1.0
	v_mul_f32_e32 v131, 0x4f800000, v129
	v_cmp_gt_f32_e32 vcc_lo, 0xf800000, v129
	s_delay_alu instid0(VALU_DEP_2) | instskip(NEXT) | instid1(VALU_DEP_1)
	v_cndmask_b32_e32 v129, v129, v131, vcc_lo
	v_sqrt_f32_e32 v131, v129
	s_waitcnt_depctr 0xfff
	v_add_nc_u32_e32 v132, -1, v131
	v_add_nc_u32_e32 v133, 1, v131
	s_delay_alu instid0(VALU_DEP_2) | instskip(NEXT) | instid1(VALU_DEP_2)
	v_fma_f32 v134, -v132, v131, v129
	v_fma_f32 v135, -v133, v131, v129
	s_delay_alu instid0(VALU_DEP_2) | instskip(NEXT) | instid1(VALU_DEP_1)
	v_cmp_ge_f32_e64 s4, 0, v134
	v_cndmask_b32_e64 v131, v131, v132, s4
	s_delay_alu instid0(VALU_DEP_3) | instskip(NEXT) | instid1(VALU_DEP_1)
	v_cmp_lt_f32_e64 s4, 0, v135
	v_cndmask_b32_e64 v131, v131, v133, s4
	s_delay_alu instid0(VALU_DEP_1) | instskip(NEXT) | instid1(VALU_DEP_1)
	v_mul_f32_e32 v132, 0x37800000, v131
	v_cndmask_b32_e32 v131, v131, v132, vcc_lo
	v_cmp_class_f32_e64 vcc_lo, v129, 0x260
	s_delay_alu instid0(VALU_DEP_2) | instskip(NEXT) | instid1(VALU_DEP_1)
	v_cndmask_b32_e32 v129, v131, v129, vcc_lo
	v_div_scale_f32 v131, null, v129, v129, 1.0
	s_delay_alu instid0(VALU_DEP_1) | instskip(SKIP_2) | instid1(VALU_DEP_1)
	v_rcp_f32_e32 v132, v131
	s_waitcnt_depctr 0xfff
	v_fma_f32 v133, -v131, v132, 1.0
	v_fmac_f32_e32 v132, v133, v132
	v_div_scale_f32 v133, vcc_lo, 1.0, v129, 1.0
	s_delay_alu instid0(VALU_DEP_1) | instskip(NEXT) | instid1(VALU_DEP_1)
	v_mul_f32_e32 v134, v133, v132
	v_fma_f32 v135, -v131, v134, v133
	s_delay_alu instid0(VALU_DEP_1) | instskip(NEXT) | instid1(VALU_DEP_1)
	v_fmac_f32_e32 v134, v135, v132
	v_fma_f32 v131, -v131, v134, v133
	s_delay_alu instid0(VALU_DEP_1) | instskip(NEXT) | instid1(VALU_DEP_1)
	v_div_fmas_f32 v131, v131, v132, v134
	v_div_fixup_f32 v129, v131, v129, 1.0
	s_delay_alu instid0(VALU_DEP_1)
	v_mul_f32_e32 v130, v130, v129
.LBB23_75:                              ;   in Loop: Header=BB23_69 Depth=3
	s_or_b32 exec_lo, exec_lo, s20
	s_delay_alu instid0(VALU_DEP_1) | instskip(NEXT) | instid1(VALU_DEP_1)
	v_mul_f32_e32 v128, v128, v129
	v_fma_f32 v24, v24, v130, -v128
                                        ; implicit-def: $vgpr128
.LBB23_76:                              ;   in Loop: Header=BB23_69 Depth=3
	s_and_not1_saveexec_b32 s4, s19
; %bb.77:                               ;   in Loop: Header=BB23_69 Depth=3
	v_xor_b32_e32 v24, 0x80000000, v128
	v_dual_mov_b32 v129, 1.0 :: v_dual_mov_b32 v130, 0
; %bb.78:                               ;   in Loop: Header=BB23_69 Depth=3
	s_or_b32 exec_lo, exec_lo, s4
.LBB23_79:                              ;   in Loop: Header=BB23_69 Depth=3
	s_delay_alu instid0(SALU_CYCLE_1)
	s_or_b32 exec_lo, exec_lo, s18
	s_cmp_eq_u32 s17, 0
	s_cbranch_scc1 .LBB23_68
; %bb.80:                               ;   in Loop: Header=BB23_69 Depth=3
	flat_store_b32 v[98:99], v24 offset:4
	s_branch .LBB23_68
.LBB23_81:                              ;   in Loop: Header=BB23_43 Depth=2
	s_and_not1_b32 s4, s4, exec_lo
	ds_store_2addr_b32 v25, v82, v70 offset0:1 offset1:4
	s_or_b32 exec_lo, exec_lo, s13
	s_and_saveexec_b32 s5, s4
	s_cbranch_execnz .LBB23_54
	s_branch .LBB23_55
.LBB23_82:                              ;   in Loop: Header=BB23_43 Depth=2
	s_or_b32 exec_lo, exec_lo, s16
.LBB23_83:                              ;   in Loop: Header=BB23_43 Depth=2
	s_delay_alu instid0(SALU_CYCLE_1)
	s_or_b32 exec_lo, exec_lo, s15
	ds_load_b32 v71, v25 offset:8
.LBB23_84:                              ;   in Loop: Header=BB23_43 Depth=2
	s_or_b32 exec_lo, exec_lo, s14
	flat_load_b32 v70, v[80:81]
                                        ; implicit-def: $vgpr87
	s_waitcnt vmcnt(0) lgkmcnt(0)
	v_sub_f32_e32 v70, v70, v71
	flat_store_b32 v[80:81], v70
	flat_store_b32 v[84:85], v24
                                        ; implicit-def: $vgpr84_vgpr85
                                        ; implicit-def: $vgpr80_vgpr81
                                        ; implicit-def: $vgpr70
.LBB23_85:                              ;   in Loop: Header=BB23_43 Depth=2
	s_and_not1_saveexec_b32 s14, s5
	s_cbranch_execz .LBB23_118
; %bb.86:                               ;   in Loop: Header=BB23_43 Depth=2
	v_add_co_u32 v82, vcc_lo, v5, v84
	v_add_co_ci_u32_e32 v83, vcc_lo, v6, v85, vcc_lo
	s_mov_b32 s5, exec_lo
                                        ; implicit-def: $vgpr96
	flat_load_b32 v97, v[82:83]
	flat_load_b32 v86, v[80:81] offset:4
	s_waitcnt vmcnt(0) lgkmcnt(0)
	v_dual_add_f32 v24, v97, v97 :: v_dual_sub_f32 v71, v87, v86
	s_delay_alu instid0(VALU_DEP_1) | instskip(NEXT) | instid1(VALU_DEP_2)
	v_and_b32_e32 v98, 0x7fffffff, v24
	v_cmpx_ngt_f32_e64 |v71|, |v24|
	s_xor_b32 s5, exec_lo, s5
	s_cbranch_execz .LBB23_92
; %bb.87:                               ;   in Loop: Header=BB23_43 Depth=2
	v_cmp_nlt_f32_e64 s4, |v71|, |v24|
                                        ; implicit-def: $vgpr96
	s_delay_alu instid0(VALU_DEP_1) | instskip(NEXT) | instid1(SALU_CYCLE_1)
	s_and_saveexec_b32 s15, s4
	s_xor_b32 s4, exec_lo, s15
; %bb.88:                               ;   in Loop: Header=BB23_43 Depth=2
	v_cvt_f64_f32_e32 v[98:99], v98
	s_delay_alu instid0(VALU_DEP_1) | instskip(NEXT) | instid1(VALU_DEP_1)
	v_mul_f64 v[98:99], v[98:99], s[6:7]
	v_cvt_f32_f64_e32 v96, v[98:99]
                                        ; implicit-def: $vgpr98
; %bb.89:                               ;   in Loop: Header=BB23_43 Depth=2
	s_and_not1_saveexec_b32 s15, s4
	s_cbranch_execz .LBB23_91
; %bb.90:                               ;   in Loop: Header=BB23_43 Depth=2
	v_and_b32_e32 v96, 0x7fffffff, v71
	s_delay_alu instid0(VALU_DEP_1) | instskip(SKIP_1) | instid1(VALU_DEP_2)
	v_div_scale_f32 v99, null, v98, v98, v96
	v_div_scale_f32 v96, vcc_lo, v96, v98, v96
	v_rcp_f32_e32 v128, v99
	s_waitcnt_depctr 0xfff
	v_fma_f32 v129, -v99, v128, 1.0
	s_delay_alu instid0(VALU_DEP_1) | instskip(NEXT) | instid1(VALU_DEP_1)
	v_fmac_f32_e32 v128, v129, v128
	v_mul_f32_e32 v98, v96, v128
	s_delay_alu instid0(VALU_DEP_1) | instskip(NEXT) | instid1(VALU_DEP_1)
	v_fma_f32 v129, -v99, v98, v96
	v_fmac_f32_e32 v98, v129, v128
	s_delay_alu instid0(VALU_DEP_1) | instskip(NEXT) | instid1(VALU_DEP_1)
	v_fma_f32 v96, -v99, v98, v96
	v_div_fmas_f32 v96, v96, v128, v98
	s_delay_alu instid0(VALU_DEP_1) | instskip(NEXT) | instid1(VALU_DEP_1)
	v_div_fixup_f32 v96, v96, |v24|, |v71|
	v_fma_f32 v96, v96, v96, 1.0
	s_delay_alu instid0(VALU_DEP_1) | instskip(SKIP_1) | instid1(VALU_DEP_2)
	v_mul_f32_e32 v98, 0x4f800000, v96
	v_cmp_gt_f32_e32 vcc_lo, 0xf800000, v96
	v_cndmask_b32_e32 v96, v96, v98, vcc_lo
	s_delay_alu instid0(VALU_DEP_1) | instskip(SKIP_3) | instid1(VALU_DEP_2)
	v_sqrt_f32_e32 v98, v96
	s_waitcnt_depctr 0xfff
	v_add_nc_u32_e32 v99, -1, v98
	v_add_nc_u32_e32 v128, 1, v98
	v_fma_f32 v129, -v99, v98, v96
	s_delay_alu instid0(VALU_DEP_2) | instskip(NEXT) | instid1(VALU_DEP_2)
	v_fma_f32 v130, -v128, v98, v96
	v_cmp_ge_f32_e64 s4, 0, v129
	s_delay_alu instid0(VALU_DEP_1) | instskip(NEXT) | instid1(VALU_DEP_3)
	v_cndmask_b32_e64 v98, v98, v99, s4
	v_cmp_lt_f32_e64 s4, 0, v130
	s_delay_alu instid0(VALU_DEP_1) | instskip(NEXT) | instid1(VALU_DEP_1)
	v_cndmask_b32_e64 v98, v98, v128, s4
	v_mul_f32_e32 v99, 0x37800000, v98
	s_delay_alu instid0(VALU_DEP_1) | instskip(SKIP_1) | instid1(VALU_DEP_2)
	v_cndmask_b32_e32 v98, v98, v99, vcc_lo
	v_cmp_class_f32_e64 vcc_lo, v96, 0x260
	v_cndmask_b32_e32 v96, v98, v96, vcc_lo
	s_delay_alu instid0(VALU_DEP_1)
	v_mul_f32_e64 v96, |v24|, v96
.LBB23_91:                              ;   in Loop: Header=BB23_43 Depth=2
	s_or_b32 exec_lo, exec_lo, s15
                                        ; implicit-def: $vgpr98
.LBB23_92:                              ;   in Loop: Header=BB23_43 Depth=2
	s_and_not1_saveexec_b32 s5, s5
	s_cbranch_execz .LBB23_94
; %bb.93:                               ;   in Loop: Header=BB23_43 Depth=2
	v_and_b32_e32 v96, 0x7fffffff, v71
	s_delay_alu instid0(VALU_DEP_1) | instskip(SKIP_1) | instid1(VALU_DEP_2)
	v_div_scale_f32 v99, null, v96, v96, v98
	v_div_scale_f32 v96, vcc_lo, v98, v96, v98
	v_rcp_f32_e32 v128, v99
	s_waitcnt_depctr 0xfff
	v_fma_f32 v129, -v99, v128, 1.0
	s_delay_alu instid0(VALU_DEP_1) | instskip(NEXT) | instid1(VALU_DEP_1)
	v_fmac_f32_e32 v128, v129, v128
	v_mul_f32_e32 v98, v96, v128
	s_delay_alu instid0(VALU_DEP_1) | instskip(NEXT) | instid1(VALU_DEP_1)
	v_fma_f32 v129, -v99, v98, v96
	v_fmac_f32_e32 v98, v129, v128
	s_delay_alu instid0(VALU_DEP_1) | instskip(NEXT) | instid1(VALU_DEP_1)
	v_fma_f32 v96, -v99, v98, v96
	v_div_fmas_f32 v96, v96, v128, v98
	s_delay_alu instid0(VALU_DEP_1) | instskip(NEXT) | instid1(VALU_DEP_1)
	v_div_fixup_f32 v96, v96, |v71|, |v24|
	v_fma_f32 v96, v96, v96, 1.0
	s_delay_alu instid0(VALU_DEP_1) | instskip(SKIP_1) | instid1(VALU_DEP_2)
	v_mul_f32_e32 v98, 0x4f800000, v96
	v_cmp_gt_f32_e32 vcc_lo, 0xf800000, v96
	v_cndmask_b32_e32 v96, v96, v98, vcc_lo
	s_delay_alu instid0(VALU_DEP_1) | instskip(SKIP_3) | instid1(VALU_DEP_2)
	v_sqrt_f32_e32 v98, v96
	s_waitcnt_depctr 0xfff
	v_add_nc_u32_e32 v99, -1, v98
	v_add_nc_u32_e32 v128, 1, v98
	v_fma_f32 v129, -v99, v98, v96
	s_delay_alu instid0(VALU_DEP_2) | instskip(NEXT) | instid1(VALU_DEP_2)
	v_fma_f32 v130, -v128, v98, v96
	v_cmp_ge_f32_e64 s4, 0, v129
	s_delay_alu instid0(VALU_DEP_1) | instskip(NEXT) | instid1(VALU_DEP_3)
	v_cndmask_b32_e64 v98, v98, v99, s4
	v_cmp_lt_f32_e64 s4, 0, v130
	s_delay_alu instid0(VALU_DEP_1) | instskip(NEXT) | instid1(VALU_DEP_1)
	v_cndmask_b32_e64 v98, v98, v128, s4
	v_mul_f32_e32 v99, 0x37800000, v98
	s_delay_alu instid0(VALU_DEP_1) | instskip(SKIP_1) | instid1(VALU_DEP_2)
	v_cndmask_b32_e32 v98, v98, v99, vcc_lo
	v_cmp_class_f32_e64 vcc_lo, v96, 0x260
	v_cndmask_b32_e32 v96, v98, v96, vcc_lo
	s_delay_alu instid0(VALU_DEP_1)
	v_mul_f32_e64 v96, |v71|, v96
.LBB23_94:                              ;   in Loop: Header=BB23_43 Depth=2
	s_or_b32 exec_lo, exec_lo, s5
	v_cmp_gt_f32_e64 vcc_lo, |v87|, |v86|
	v_add_f32_e32 v128, v87, v86
	s_mov_b32 s4, exec_lo
                                        ; implicit-def: $vgpr98
	v_cndmask_b32_e32 v129, v86, v87, vcc_lo
	v_cndmask_b32_e32 v99, v87, v86, vcc_lo
                                        ; implicit-def: $vgpr87
	s_delay_alu instid0(VALU_DEP_3)
	v_cmpx_ngt_f32_e32 0, v128
	s_xor_b32 s4, exec_lo, s4
	s_cbranch_execz .LBB23_100
; %bb.95:                               ;   in Loop: Header=BB23_43 Depth=2
	s_mov_b32 s5, exec_lo
                                        ; implicit-def: $sgpr15
                                        ; implicit-def: $vgpr87
	v_cmpx_nlt_f32_e32 0, v128
	s_xor_b32 s5, exec_lo, s5
; %bb.96:                               ;   in Loop: Header=BB23_43 Depth=2
	v_mul_f32_e32 v86, 0.5, v96
	v_mul_f32_e32 v87, -0.5, v96
	s_mov_b32 s15, 1
                                        ; implicit-def: $vgpr128
                                        ; implicit-def: $vgpr129
                                        ; implicit-def: $vgpr99
                                        ; implicit-def: $vgpr97
; %bb.97:                               ;   in Loop: Header=BB23_43 Depth=2
	s_or_saveexec_b32 s5, s5
	v_mov_b32_e32 v98, s15
	s_xor_b32 exec_lo, exec_lo, s5
	s_cbranch_execz .LBB23_99
; %bb.98:                               ;   in Loop: Header=BB23_43 Depth=2
	v_add_f32_e32 v86, v128, v96
	v_cvt_f64_f32_e32 v[128:129], v129
	v_cvt_f64_f32_e32 v[98:99], v99
	s_delay_alu instid0(VALU_DEP_3) | instskip(NEXT) | instid1(VALU_DEP_1)
	v_mul_f32_e32 v86, 0.5, v86
	v_cvt_f64_f32_e32 v[130:131], v86
	s_delay_alu instid0(VALU_DEP_1) | instskip(NEXT) | instid1(VALU_DEP_1)
	v_div_scale_f64 v[132:133], null, v[130:131], v[130:131], v[128:129]
	v_rcp_f64_e32 v[134:135], v[132:133]
	s_waitcnt_depctr 0xfff
	v_fma_f64 v[144:145], -v[132:133], v[134:135], 1.0
	s_delay_alu instid0(VALU_DEP_1) | instskip(NEXT) | instid1(VALU_DEP_1)
	v_fma_f64 v[134:135], v[134:135], v[144:145], v[134:135]
	v_fma_f64 v[144:145], -v[132:133], v[134:135], 1.0
	s_delay_alu instid0(VALU_DEP_1) | instskip(SKIP_1) | instid1(VALU_DEP_1)
	v_fma_f64 v[134:135], v[134:135], v[144:145], v[134:135]
	v_div_scale_f64 v[144:145], vcc_lo, v[128:129], v[130:131], v[128:129]
	v_mul_f64 v[146:147], v[144:145], v[134:135]
	s_delay_alu instid0(VALU_DEP_1) | instskip(NEXT) | instid1(VALU_DEP_1)
	v_fma_f64 v[132:133], -v[132:133], v[146:147], v[144:145]
	v_div_fmas_f64 v[132:133], v[132:133], v[134:135], v[146:147]
	s_delay_alu instid0(VALU_DEP_1) | instskip(SKIP_1) | instid1(VALU_DEP_1)
	v_div_fixup_f64 v[128:129], v[132:133], v[130:131], v[128:129]
	v_cvt_f64_f32_e32 v[132:133], v97
	v_div_scale_f64 v[134:135], null, v[130:131], v[130:131], v[132:133]
	s_delay_alu instid0(VALU_DEP_1) | instskip(SKIP_2) | instid1(VALU_DEP_1)
	v_rcp_f64_e32 v[144:145], v[134:135]
	s_waitcnt_depctr 0xfff
	v_fma_f64 v[146:147], -v[134:135], v[144:145], 1.0
	v_fma_f64 v[144:145], v[144:145], v[146:147], v[144:145]
	s_delay_alu instid0(VALU_DEP_1) | instskip(NEXT) | instid1(VALU_DEP_1)
	v_fma_f64 v[146:147], -v[134:135], v[144:145], 1.0
	v_fma_f64 v[144:145], v[144:145], v[146:147], v[144:145]
	v_div_scale_f64 v[146:147], vcc_lo, v[132:133], v[130:131], v[132:133]
	s_delay_alu instid0(VALU_DEP_1) | instskip(NEXT) | instid1(VALU_DEP_1)
	v_mul_f64 v[148:149], v[146:147], v[144:145]
	v_fma_f64 v[134:135], -v[134:135], v[148:149], v[146:147]
	s_delay_alu instid0(VALU_DEP_1) | instskip(NEXT) | instid1(VALU_DEP_1)
	v_div_fmas_f64 v[134:135], v[134:135], v[144:145], v[148:149]
	v_div_fixup_f64 v[130:131], v[134:135], v[130:131], v[132:133]
	s_delay_alu instid0(VALU_DEP_1) | instskip(NEXT) | instid1(VALU_DEP_1)
	v_mul_f64 v[130:131], v[130:131], v[132:133]
	v_fma_f64 v[97:98], v[128:129], v[98:99], -v[130:131]
	s_delay_alu instid0(VALU_DEP_1)
	v_cvt_f32_f64_e32 v87, v[97:98]
	v_mov_b32_e32 v98, 1
.LBB23_99:                              ;   in Loop: Header=BB23_43 Depth=2
	s_or_b32 exec_lo, exec_lo, s5
                                        ; implicit-def: $vgpr128
                                        ; implicit-def: $vgpr129
                                        ; implicit-def: $vgpr99
                                        ; implicit-def: $vgpr97
.LBB23_100:                             ;   in Loop: Header=BB23_43 Depth=2
	s_and_not1_saveexec_b32 s4, s4
	s_cbranch_execz .LBB23_102
; %bb.101:                              ;   in Loop: Header=BB23_43 Depth=2
	v_sub_f32_e32 v86, v128, v96
	v_cvt_f64_f32_e32 v[128:129], v129
	v_cvt_f64_f32_e32 v[98:99], v99
	s_delay_alu instid0(VALU_DEP_3) | instskip(NEXT) | instid1(VALU_DEP_1)
	v_mul_f32_e32 v86, 0.5, v86
	v_cvt_f64_f32_e32 v[130:131], v86
	s_delay_alu instid0(VALU_DEP_1) | instskip(NEXT) | instid1(VALU_DEP_1)
	v_div_scale_f64 v[132:133], null, v[130:131], v[130:131], v[128:129]
	v_rcp_f64_e32 v[134:135], v[132:133]
	s_waitcnt_depctr 0xfff
	v_fma_f64 v[144:145], -v[132:133], v[134:135], 1.0
	s_delay_alu instid0(VALU_DEP_1) | instskip(NEXT) | instid1(VALU_DEP_1)
	v_fma_f64 v[134:135], v[134:135], v[144:145], v[134:135]
	v_fma_f64 v[144:145], -v[132:133], v[134:135], 1.0
	s_delay_alu instid0(VALU_DEP_1) | instskip(SKIP_1) | instid1(VALU_DEP_1)
	v_fma_f64 v[134:135], v[134:135], v[144:145], v[134:135]
	v_div_scale_f64 v[144:145], vcc_lo, v[128:129], v[130:131], v[128:129]
	v_mul_f64 v[146:147], v[144:145], v[134:135]
	s_delay_alu instid0(VALU_DEP_1) | instskip(NEXT) | instid1(VALU_DEP_1)
	v_fma_f64 v[132:133], -v[132:133], v[146:147], v[144:145]
	v_div_fmas_f64 v[132:133], v[132:133], v[134:135], v[146:147]
	s_delay_alu instid0(VALU_DEP_1) | instskip(SKIP_1) | instid1(VALU_DEP_1)
	v_div_fixup_f64 v[128:129], v[132:133], v[130:131], v[128:129]
	v_cvt_f64_f32_e32 v[132:133], v97
	v_div_scale_f64 v[134:135], null, v[130:131], v[130:131], v[132:133]
	s_delay_alu instid0(VALU_DEP_1) | instskip(SKIP_2) | instid1(VALU_DEP_1)
	v_rcp_f64_e32 v[144:145], v[134:135]
	s_waitcnt_depctr 0xfff
	v_fma_f64 v[146:147], -v[134:135], v[144:145], 1.0
	v_fma_f64 v[144:145], v[144:145], v[146:147], v[144:145]
	s_delay_alu instid0(VALU_DEP_1) | instskip(NEXT) | instid1(VALU_DEP_1)
	v_fma_f64 v[146:147], -v[134:135], v[144:145], 1.0
	v_fma_f64 v[144:145], v[144:145], v[146:147], v[144:145]
	v_div_scale_f64 v[146:147], vcc_lo, v[132:133], v[130:131], v[132:133]
	s_delay_alu instid0(VALU_DEP_1) | instskip(NEXT) | instid1(VALU_DEP_1)
	v_mul_f64 v[148:149], v[146:147], v[144:145]
	v_fma_f64 v[134:135], -v[134:135], v[148:149], v[146:147]
	s_delay_alu instid0(VALU_DEP_1) | instskip(NEXT) | instid1(VALU_DEP_1)
	v_div_fmas_f64 v[134:135], v[134:135], v[144:145], v[148:149]
	v_div_fixup_f64 v[130:131], v[134:135], v[130:131], v[132:133]
	s_delay_alu instid0(VALU_DEP_1) | instskip(NEXT) | instid1(VALU_DEP_1)
	v_mul_f64 v[130:131], v[130:131], v[132:133]
	v_fma_f64 v[97:98], v[128:129], v[98:99], -v[130:131]
	s_delay_alu instid0(VALU_DEP_1)
	v_cvt_f32_f64_e32 v87, v[97:98]
	v_mov_b32_e32 v98, -1
.LBB23_102:                             ;   in Loop: Header=BB23_43 Depth=2
	s_or_b32 exec_lo, exec_lo, s4
	v_cmp_nle_f32_e64 s4, 0, v71
	s_mov_b32 s15, exec_lo
                                        ; implicit-def: $vgpr97
	s_delay_alu instid0(VALU_DEP_1) | instskip(NEXT) | instid1(VALU_DEP_1)
	v_cndmask_b32_e64 v96, v96, -v96, s4
	v_add_f32_e32 v71, v71, v96
                                        ; implicit-def: $vgpr96
	s_delay_alu instid0(VALU_DEP_1)
	v_cmpx_ngt_f32_e64 |v71|, |v24|
	s_xor_b32 s15, exec_lo, s15
	s_cbranch_execz .LBB23_106
; %bb.103:                              ;   in Loop: Header=BB23_43 Depth=2
	v_dual_mov_b32 v96, 1.0 :: v_dual_mov_b32 v97, 0
	s_mov_b32 s16, exec_lo
	v_cmpx_neq_f32_e32 0, v24
	s_cbranch_execz .LBB23_105
; %bb.104:                              ;   in Loop: Header=BB23_43 Depth=2
	v_div_scale_f32 v96, null, v24, v24, -v71
	v_div_scale_f32 v128, vcc_lo, -v71, v24, -v71
	s_delay_alu instid0(VALU_DEP_2) | instskip(SKIP_2) | instid1(VALU_DEP_1)
	v_rcp_f32_e32 v97, v96
	s_waitcnt_depctr 0xfff
	v_fma_f32 v99, -v96, v97, 1.0
	v_fmac_f32_e32 v97, v99, v97
	s_delay_alu instid0(VALU_DEP_1) | instskip(NEXT) | instid1(VALU_DEP_1)
	v_mul_f32_e32 v99, v128, v97
	v_fma_f32 v129, -v96, v99, v128
	s_delay_alu instid0(VALU_DEP_1) | instskip(NEXT) | instid1(VALU_DEP_1)
	v_fmac_f32_e32 v99, v129, v97
	v_fma_f32 v96, -v96, v99, v128
	s_delay_alu instid0(VALU_DEP_1) | instskip(NEXT) | instid1(VALU_DEP_1)
	v_div_fmas_f32 v96, v96, v97, v99
	v_div_fixup_f32 v24, v96, v24, -v71
	s_delay_alu instid0(VALU_DEP_1) | instskip(NEXT) | instid1(VALU_DEP_1)
	v_fma_f32 v71, v24, v24, 1.0
	v_mul_f32_e32 v96, 0x4f800000, v71
	v_cmp_gt_f32_e32 vcc_lo, 0xf800000, v71
	s_delay_alu instid0(VALU_DEP_2) | instskip(NEXT) | instid1(VALU_DEP_1)
	v_cndmask_b32_e32 v71, v71, v96, vcc_lo
	v_sqrt_f32_e32 v96, v71
	s_waitcnt_depctr 0xfff
	v_add_nc_u32_e32 v97, -1, v96
	v_add_nc_u32_e32 v99, 1, v96
	s_delay_alu instid0(VALU_DEP_2) | instskip(NEXT) | instid1(VALU_DEP_2)
	v_fma_f32 v128, -v97, v96, v71
	v_fma_f32 v129, -v99, v96, v71
	s_delay_alu instid0(VALU_DEP_2) | instskip(NEXT) | instid1(VALU_DEP_1)
	v_cmp_ge_f32_e64 s5, 0, v128
	v_cndmask_b32_e64 v96, v96, v97, s5
	s_delay_alu instid0(VALU_DEP_3) | instskip(NEXT) | instid1(VALU_DEP_1)
	v_cmp_lt_f32_e64 s5, 0, v129
	v_cndmask_b32_e64 v96, v96, v99, s5
	s_delay_alu instid0(VALU_DEP_1) | instskip(NEXT) | instid1(VALU_DEP_1)
	v_mul_f32_e32 v97, 0x37800000, v96
	v_cndmask_b32_e32 v96, v96, v97, vcc_lo
	v_cmp_class_f32_e64 vcc_lo, v71, 0x260
	s_delay_alu instid0(VALU_DEP_2) | instskip(NEXT) | instid1(VALU_DEP_1)
	v_cndmask_b32_e32 v71, v96, v71, vcc_lo
	v_div_scale_f32 v96, null, v71, v71, 1.0
	s_delay_alu instid0(VALU_DEP_1) | instskip(SKIP_2) | instid1(VALU_DEP_1)
	v_rcp_f32_e32 v97, v96
	s_waitcnt_depctr 0xfff
	v_fma_f32 v99, -v96, v97, 1.0
	v_fmac_f32_e32 v97, v99, v97
	v_div_scale_f32 v99, vcc_lo, 1.0, v71, 1.0
	s_delay_alu instid0(VALU_DEP_1) | instskip(NEXT) | instid1(VALU_DEP_1)
	v_mul_f32_e32 v128, v99, v97
	v_fma_f32 v129, -v96, v128, v99
	s_delay_alu instid0(VALU_DEP_1) | instskip(NEXT) | instid1(VALU_DEP_1)
	v_fmac_f32_e32 v128, v129, v97
	v_fma_f32 v96, -v96, v128, v99
	s_delay_alu instid0(VALU_DEP_1) | instskip(NEXT) | instid1(VALU_DEP_1)
	v_div_fmas_f32 v96, v96, v97, v128
	v_div_fixup_f32 v96, v96, v71, 1.0
	s_delay_alu instid0(VALU_DEP_1)
	v_mul_f32_e32 v97, v24, v96
.LBB23_105:                             ;   in Loop: Header=BB23_43 Depth=2
	s_or_b32 exec_lo, exec_lo, s16
                                        ; implicit-def: $vgpr71
                                        ; implicit-def: $vgpr24
.LBB23_106:                             ;   in Loop: Header=BB23_43 Depth=2
	s_and_not1_saveexec_b32 s15, s15
	s_cbranch_execz .LBB23_108
; %bb.107:                              ;   in Loop: Header=BB23_43 Depth=2
	v_div_scale_f32 v96, null, v71, v71, -v24
	v_div_scale_f32 v128, vcc_lo, -v24, v71, -v24
	s_delay_alu instid0(VALU_DEP_2) | instskip(SKIP_2) | instid1(VALU_DEP_1)
	v_rcp_f32_e32 v97, v96
	s_waitcnt_depctr 0xfff
	v_fma_f32 v99, -v96, v97, 1.0
	v_fmac_f32_e32 v97, v99, v97
	s_delay_alu instid0(VALU_DEP_1) | instskip(NEXT) | instid1(VALU_DEP_1)
	v_mul_f32_e32 v99, v128, v97
	v_fma_f32 v129, -v96, v99, v128
	s_delay_alu instid0(VALU_DEP_1) | instskip(NEXT) | instid1(VALU_DEP_1)
	v_fmac_f32_e32 v99, v129, v97
	v_fma_f32 v96, -v96, v99, v128
	s_delay_alu instid0(VALU_DEP_1) | instskip(NEXT) | instid1(VALU_DEP_1)
	v_div_fmas_f32 v96, v96, v97, v99
	v_div_fixup_f32 v24, v96, v71, -v24
	s_delay_alu instid0(VALU_DEP_1) | instskip(NEXT) | instid1(VALU_DEP_1)
	v_fma_f32 v71, v24, v24, 1.0
	v_mul_f32_e32 v96, 0x4f800000, v71
	v_cmp_gt_f32_e32 vcc_lo, 0xf800000, v71
	s_delay_alu instid0(VALU_DEP_2) | instskip(NEXT) | instid1(VALU_DEP_1)
	v_cndmask_b32_e32 v71, v71, v96, vcc_lo
	v_sqrt_f32_e32 v96, v71
	s_waitcnt_depctr 0xfff
	v_add_nc_u32_e32 v97, -1, v96
	v_add_nc_u32_e32 v99, 1, v96
	s_delay_alu instid0(VALU_DEP_2) | instskip(NEXT) | instid1(VALU_DEP_2)
	v_fma_f32 v128, -v97, v96, v71
	v_fma_f32 v129, -v99, v96, v71
	s_delay_alu instid0(VALU_DEP_2) | instskip(NEXT) | instid1(VALU_DEP_1)
	v_cmp_ge_f32_e64 s5, 0, v128
	v_cndmask_b32_e64 v96, v96, v97, s5
	s_delay_alu instid0(VALU_DEP_3) | instskip(NEXT) | instid1(VALU_DEP_1)
	v_cmp_lt_f32_e64 s5, 0, v129
	v_cndmask_b32_e64 v96, v96, v99, s5
	s_delay_alu instid0(VALU_DEP_1) | instskip(NEXT) | instid1(VALU_DEP_1)
	v_mul_f32_e32 v97, 0x37800000, v96
	v_cndmask_b32_e32 v96, v96, v97, vcc_lo
	v_cmp_class_f32_e64 vcc_lo, v71, 0x260
	s_delay_alu instid0(VALU_DEP_2) | instskip(NEXT) | instid1(VALU_DEP_1)
	v_cndmask_b32_e32 v71, v96, v71, vcc_lo
	v_div_scale_f32 v96, null, v71, v71, 1.0
	s_delay_alu instid0(VALU_DEP_1) | instskip(SKIP_2) | instid1(VALU_DEP_1)
	v_rcp_f32_e32 v97, v96
	s_waitcnt_depctr 0xfff
	v_fma_f32 v99, -v96, v97, 1.0
	v_fmac_f32_e32 v97, v99, v97
	v_div_scale_f32 v99, vcc_lo, 1.0, v71, 1.0
	s_delay_alu instid0(VALU_DEP_1) | instskip(NEXT) | instid1(VALU_DEP_1)
	v_mul_f32_e32 v128, v99, v97
	v_fma_f32 v129, -v96, v128, v99
	s_delay_alu instid0(VALU_DEP_1) | instskip(NEXT) | instid1(VALU_DEP_1)
	v_fmac_f32_e32 v128, v129, v97
	v_fma_f32 v96, -v96, v128, v99
	s_delay_alu instid0(VALU_DEP_1) | instskip(NEXT) | instid1(VALU_DEP_1)
	v_div_fmas_f32 v96, v96, v97, v128
	v_div_fixup_f32 v97, v96, v71, 1.0
	s_delay_alu instid0(VALU_DEP_1)
	v_mul_f32_e32 v96, v24, v97
.LBB23_108:                             ;   in Loop: Header=BB23_43 Depth=2
	s_or_b32 exec_lo, exec_lo, s15
	v_cndmask_b32_e64 v24, 1, -1, s4
	v_add_co_u32 v84, s4, v12, v84
	s_delay_alu instid0(VALU_DEP_1) | instskip(NEXT) | instid1(VALU_DEP_3)
	v_add_co_ci_u32_e64 v85, s4, v13, v85, s4
	v_cmp_eq_u32_e32 vcc_lo, v98, v24
	v_add_nc_u32_e32 v70, 2, v70
	v_cndmask_b32_e32 v24, v97, v96, vcc_lo
	v_cndmask_b32_e64 v71, v96, -v97, vcc_lo
	v_add_co_u32 v96, vcc_lo, v84, v28
	v_add_co_ci_u32_e32 v97, vcc_lo, v85, v29, vcc_lo
	s_clause 0x1
	flat_store_b32 v[84:85], v71
	flat_store_b32 v[96:97], v24
	flat_store_b64 v[80:81], v[86:87]
	flat_store_b32 v[82:83], v25
	ds_store_b32 v25, v70
	s_or_b32 exec_lo, exec_lo, s14
                                        ; implicit-def: $vgpr80_vgpr81
                                        ; implicit-def: $vgpr87
                                        ; implicit-def: $vgpr70
.LBB23_109:                             ;   in Loop: Header=BB23_43 Depth=2
	s_and_not1_saveexec_b32 s4, s13
	s_cbranch_execz .LBB23_111
.LBB23_110:                             ;   in Loop: Header=BB23_43 Depth=2
	v_add_nc_u32_e32 v24, 1, v70
	flat_store_b32 v[80:81], v87
	ds_store_b32 v25, v24
.LBB23_111:                             ;   in Loop: Header=BB23_43 Depth=2
	s_or_b32 exec_lo, exec_lo, s4
.LBB23_112:                             ;   in Loop: Header=BB23_43 Depth=2
	s_delay_alu instid0(SALU_CYCLE_1)
	s_or_b32 exec_lo, exec_lo, s12
	s_waitcnt lgkmcnt(0)
	s_waitcnt_vscnt null, 0x0
	s_barrier
	buffer_gl0_inv
	ds_load_b64 v[70:71], v25
	s_waitcnt lgkmcnt(0)
	v_cmp_eq_u32_e32 vcc_lo, v71, v70
	s_cbranch_vccnz .LBB23_42
; %bb.113:                              ;   in Loop: Header=BB23_43 Depth=2
	s_and_saveexec_b32 s12, s2
	s_cbranch_execz .LBB23_41
; %bb.114:                              ;   in Loop: Header=BB23_43 Depth=2
	ds_load_b32 v70, v25 offset:16
	s_mov_b32 s13, 0
	s_waitcnt lgkmcnt(0)
	v_mul_lo_u32 v80, v70, v9
	v_sub_nc_u32_e32 v87, v71, v70
	v_ashrrev_i32_e32 v71, 31, v70
	s_delay_alu instid0(VALU_DEP_2) | instskip(NEXT) | instid1(VALU_DEP_2)
	v_add_nc_u32_e32 v24, -1, v87
	v_lshlrev_b64 v[70:71], 2, v[70:71]
	v_ashrrev_i32_e32 v81, 31, v80
	v_mad_i64_i32 v[82:83], null, v87, v9, 0
	s_delay_alu instid0(VALU_DEP_4) | instskip(SKIP_1) | instid1(VALU_DEP_4)
	v_lshlrev_b64 v[96:97], 2, v[24:25]
	v_cmp_lt_i32_e64 s4, 0, v87
	v_lshlrev_b64 v[80:81], 2, v[80:81]
	s_delay_alu instid0(VALU_DEP_4) | instskip(NEXT) | instid1(VALU_DEP_4)
	v_lshlrev_b64 v[82:83], 2, v[82:83]
	v_add_co_u32 v70, vcc_lo, v70, v96
	s_delay_alu instid0(VALU_DEP_3) | instskip(SKIP_1) | instid1(VALU_DEP_2)
	v_mad_u64_u32 v[84:85], null, v30, v24, v[80:81]
	v_add_co_ci_u32_e32 v71, vcc_lo, v71, v97, vcc_lo
	v_mad_u64_u32 v[96:97], null, v31, v24, v[85:86]
	v_add_co_u32 v24, vcc_lo, v7, v80
	v_add_co_ci_u32_e32 v98, vcc_lo, v8, v81, vcc_lo
	v_add_co_u32 v70, vcc_lo, v12, v70
	s_delay_alu instid0(VALU_DEP_4)
	v_mov_b32_e32 v81, v96
	v_add_co_ci_u32_e32 v71, vcc_lo, v13, v71, vcc_lo
	v_add_co_u32 v99, vcc_lo, v24, v82
	v_add_co_ci_u32_e32 v128, vcc_lo, v98, v83, vcc_lo
	v_add_co_u32 v80, vcc_lo, v113, v84
	v_add_co_ci_u32_e32 v81, vcc_lo, v114, v81, vcc_lo
	v_mov_b32_e32 v82, v0
	s_branch .LBB23_116
.LBB23_115:                             ;   in Loop: Header=BB23_116 Depth=3
	v_add_nc_u32_e32 v82, v82, v23
	v_add_co_u32 v80, s5, v80, v26
	s_delay_alu instid0(VALU_DEP_1) | instskip(NEXT) | instid1(VALU_DEP_3)
	v_add_co_ci_u32_e64 v81, s5, v81, v27, s5
	v_cmp_ge_i32_e32 vcc_lo, v82, v2
	s_waitcnt vmcnt(0) lgkmcnt(0)
	flat_store_b32 v[83:84], v129
	s_or_b32 s13, vcc_lo, s13
	s_delay_alu instid0(SALU_CYCLE_1)
	s_and_not1_b32 exec_lo, exec_lo, s13
	s_cbranch_execz .LBB23_41
.LBB23_116:                             ;   Parent Loop BB23_6 Depth=1
                                        ;     Parent Loop BB23_43 Depth=2
                                        ; =>    This Loop Header: Depth=3
                                        ;         Child Loop BB23_117 Depth 4
	s_delay_alu instid0(VALU_DEP_1) | instskip(NEXT) | instid1(VALU_DEP_3)
	v_ashrrev_i32_e32 v83, 31, v82
	v_dual_mov_b32 v97, v81 :: v_dual_mov_b32 v96, v80
	v_mov_b32_e32 v130, v87
	s_delay_alu instid0(VALU_DEP_3) | instskip(NEXT) | instid1(VALU_DEP_1)
	v_lshlrev_b64 v[83:84], 2, v[82:83]
	v_add_co_u32 v85, vcc_lo, v99, v83
	s_delay_alu instid0(VALU_DEP_2)
	v_add_co_ci_u32_e32 v86, vcc_lo, v128, v84, vcc_lo
	v_add_co_u32 v83, vcc_lo, v24, v83
	v_add_co_ci_u32_e32 v84, vcc_lo, v98, v84, vcc_lo
	flat_load_b32 v129, v[85:86]
	v_dual_mov_b32 v86, v71 :: v_dual_mov_b32 v85, v70
	s_and_not1_b32 vcc_lo, exec_lo, s4
	s_cbranch_vccnz .LBB23_115
	.p2align	6
.LBB23_117:                             ;   Parent Loop BB23_6 Depth=1
                                        ;     Parent Loop BB23_43 Depth=2
                                        ;       Parent Loop BB23_116 Depth=3
                                        ; =>      This Inner Loop Header: Depth=4
	s_delay_alu instid0(VALU_DEP_1) | instskip(NEXT) | instid1(VALU_DEP_2)
	v_add_co_u32 v131, vcc_lo, v85, v116
	v_add_co_ci_u32_e32 v132, vcc_lo, v86, v117, vcc_lo
	s_waitcnt vmcnt(0) lgkmcnt(0)
	v_dual_mov_b32 v146, v129 :: v_dual_add_nc_u32 v145, -1, v130
	flat_load_b32 v134, v[96:97]
	s_clause 0x1
	flat_load_b32 v135, v[85:86]
	flat_load_b32 v144, v[131:132]
	v_mad_u64_u32 v[131:132], null, v130, v9, 0
	v_add_co_u32 v96, vcc_lo, v96, v3
	v_add_co_ci_u32_e32 v97, vcc_lo, v97, v115, vcc_lo
	v_add_co_u32 v85, vcc_lo, v85, -4
	s_delay_alu instid0(VALU_DEP_4) | instskip(SKIP_2) | instid1(VALU_DEP_3)
	v_mov_b32_e32 v129, v132
	v_add_co_ci_u32_e32 v86, vcc_lo, -1, v86, vcc_lo
	v_cmp_eq_u32_e32 vcc_lo, 0, v145
	v_mad_u64_u32 v[132:133], null, v130, v10, v[129:130]
	v_mov_b32_e32 v130, v145
	s_and_b32 vcc_lo, exec_lo, vcc_lo
	s_delay_alu instid0(VALU_DEP_2) | instskip(NEXT) | instid1(VALU_DEP_1)
	v_lshlrev_b64 v[131:132], 2, v[131:132]
	v_add_co_u32 v131, s5, v83, v131
	s_delay_alu instid0(VALU_DEP_1) | instskip(SKIP_4) | instid1(VALU_DEP_2)
	v_add_co_ci_u32_e64 v132, s5, v84, v132, s5
	s_waitcnt vmcnt(1) lgkmcnt(1)
	v_mul_f32_e32 v129, v135, v134
	s_waitcnt vmcnt(0) lgkmcnt(0)
	v_mul_f32_e32 v133, v144, v134
	v_fmac_f32_e32 v129, v146, v144
	s_delay_alu instid0(VALU_DEP_2)
	v_fma_f32 v133, v146, v135, -v133
	flat_store_b32 v[131:132], v133
	s_cbranch_vccz .LBB23_117
	s_branch .LBB23_115
.LBB23_118:                             ;   in Loop: Header=BB23_43 Depth=2
	s_or_b32 exec_lo, exec_lo, s14
                                        ; implicit-def: $vgpr80_vgpr81
                                        ; implicit-def: $vgpr87
                                        ; implicit-def: $vgpr70
	s_and_not1_saveexec_b32 s4, s13
	s_cbranch_execnz .LBB23_110
	s_branch .LBB23_111
.LBB23_119:                             ;   in Loop: Header=BB23_6 Depth=1
	v_lshlrev_b64 v[34:35], 2, v[54:55]
	v_dual_mov_b32 v65, v55 :: v_dual_mov_b32 v64, v54
	s_mov_b32 s13, 0
                                        ; implicit-def: $sgpr12
                                        ; implicit-def: $sgpr15
                                        ; implicit-def: $sgpr14
	s_delay_alu instid0(VALU_DEP_2) | instskip(NEXT) | instid1(VALU_DEP_3)
	v_add_co_u32 v48, vcc_lo, v20, v34
	v_add_co_ci_u32_e32 v49, vcc_lo, v4, v35, vcc_lo
	v_add_co_u32 v66, vcc_lo, v5, v34
	v_add_co_ci_u32_e32 v67, vcc_lo, v6, v35, vcc_lo
	flat_load_b32 v24, v[48:49]
	s_branch .LBB23_121
.LBB23_120:                             ;   in Loop: Header=BB23_121 Depth=2
	s_or_b32 exec_lo, exec_lo, s4
	s_xor_b32 s3, s14, -1
	s_and_b32 s4, exec_lo, s15
	s_delay_alu instid0(SALU_CYCLE_1) | instskip(SKIP_2) | instid1(SALU_CYCLE_1)
	s_or_b32 s13, s4, s13
	s_and_not1_b32 s4, s12, exec_lo
	s_and_b32 s3, s3, exec_lo
	s_or_b32 s12, s4, s3
	s_and_not1_b32 exec_lo, exec_lo, s13
	s_cbranch_execz .LBB23_124
.LBB23_121:                             ;   Parent Loop BB23_6 Depth=1
                                        ; =>  This Inner Loop Header: Depth=2
	s_waitcnt vmcnt(0) lgkmcnt(0)
	v_mul_f32_e64 v34, 0x4f800000, |v24|
	v_cmp_gt_f32_e64 vcc_lo, 0xf800000, |v24|
	s_or_b32 s14, s14, exec_lo
	s_or_b32 s15, s15, exec_lo
	s_delay_alu instid0(VALU_DEP_1)
	v_cndmask_b32_e64 v36, |v24|, v34, vcc_lo
	flat_load_b32 v24, v[48:49] offset:4
	v_dual_mov_b32 v34, v66 :: v_dual_mov_b32 v35, v67
	flat_load_b32 v66, v[66:67]
	v_sqrt_f32_e32 v67, v36
	s_waitcnt_depctr 0xfff
	v_add_nc_u32_e32 v69, -1, v67
	v_add_nc_u32_e32 v71, 1, v67
	s_delay_alu instid0(VALU_DEP_2) | instskip(NEXT) | instid1(VALU_DEP_2)
	v_fma_f32 v80, -v69, v67, v36
	v_fma_f32 v83, -v71, v67, v36
	s_delay_alu instid0(VALU_DEP_2) | instskip(NEXT) | instid1(VALU_DEP_1)
	v_cmp_ge_f32_e64 s4, 0, v80
	v_cndmask_b32_e64 v67, v67, v69, s4
	s_waitcnt vmcnt(1) lgkmcnt(1)
	v_mul_f32_e64 v37, 0x4f800000, |v24|
	v_cmp_gt_f32_e64 s3, 0xf800000, |v24|
	s_delay_alu instid0(VALU_DEP_1) | instskip(NEXT) | instid1(VALU_DEP_1)
	v_cndmask_b32_e64 v37, |v24|, v37, s3
	v_sqrt_f32_e32 v68, v37
	s_waitcnt_depctr 0xfff
	v_add_nc_u32_e32 v70, -1, v68
	v_add_nc_u32_e32 v81, 1, v68
	s_delay_alu instid0(VALU_DEP_2) | instskip(NEXT) | instid1(VALU_DEP_2)
	v_fma_f32 v82, -v70, v68, v37
	v_fma_f32 v69, -v81, v68, v37
	s_delay_alu instid0(VALU_DEP_2) | instskip(NEXT) | instid1(VALU_DEP_1)
	v_cmp_ge_f32_e64 s4, 0, v82
	v_cndmask_b32_e64 v68, v68, v70, s4
	v_cmp_lt_f32_e64 s4, 0, v83
	s_delay_alu instid0(VALU_DEP_1) | instskip(SKIP_1) | instid1(VALU_DEP_2)
	v_cndmask_b32_e64 v67, v67, v71, s4
	v_cmp_lt_f32_e64 s4, 0, v69
	v_mul_f32_e32 v69, 0x37800000, v67
	s_delay_alu instid0(VALU_DEP_2) | instskip(NEXT) | instid1(VALU_DEP_1)
	v_cndmask_b32_e64 v68, v68, v81, s4
	v_dual_cndmask_b32 v67, v67, v69 :: v_dual_mul_f32 v70, 0x37800000, v68
	v_cmp_class_f32_e64 vcc_lo, v36, 0x260
	s_delay_alu instid0(VALU_DEP_2) | instskip(NEXT) | instid1(VALU_DEP_3)
	v_cndmask_b32_e64 v68, v68, v70, s3
	v_cndmask_b32_e32 v36, v67, v36, vcc_lo
	v_cmp_class_f32_e64 vcc_lo, v37, 0x260
	s_delay_alu instid0(VALU_DEP_3) | instskip(NEXT) | instid1(VALU_DEP_1)
	v_cndmask_b32_e32 v37, v68, v37, vcc_lo
	v_mul_f32_e32 v36, v36, v37
	s_delay_alu instid0(VALU_DEP_1) | instskip(SKIP_2) | instid1(VALU_DEP_2)
	v_mul_f32_e32 v67, v36, v15
	v_dual_mov_b32 v36, v64 :: v_dual_mov_b32 v37, v65
                                        ; implicit-def: $vgpr64_vgpr65
	s_waitcnt vmcnt(0) lgkmcnt(0)
	v_cmp_nle_f32_e64 s3, |v66|, v67
                                        ; implicit-def: $vgpr66_vgpr67
	s_delay_alu instid0(VALU_DEP_1)
	s_and_saveexec_b32 s4, s3
	s_cbranch_execz .LBB23_120
; %bb.122:                              ;   in Loop: Header=BB23_121 Depth=2
	v_add_co_u32 v64, vcc_lo, v36, 1
	v_add_co_u32 v48, s3, v48, 4
	v_add_co_ci_u32_e32 v65, vcc_lo, 0, v37, vcc_lo
	s_delay_alu instid0(VALU_DEP_3) | instskip(SKIP_2) | instid1(VALU_DEP_1)
	v_cmp_ge_i32_e32 vcc_lo, v64, v18
	v_add_co_ci_u32_e64 v49, s3, 0, v49, s3
	v_add_co_u32 v66, s3, v34, 4
	v_add_co_ci_u32_e64 v67, s3, 0, v35, s3
	s_and_not1_b32 s3, s15, exec_lo
	s_and_b32 s15, vcc_lo, exec_lo
	s_and_not1_b32 s14, s14, exec_lo
	s_or_b32 s15, s3, s15
	s_branch .LBB23_120
.LBB23_123:                             ;   in Loop: Header=BB23_6 Depth=1
                                        ; implicit-def: $vgpr68_vgpr69
                                        ; implicit-def: $vgpr66_vgpr67
                                        ; implicit-def: $vgpr55
	s_branch .LBB23_128
.LBB23_124:                             ;   in Loop: Header=BB23_6 Depth=1
	s_or_b32 exec_lo, exec_lo, s13
	v_dual_mov_b32 v24, v18 :: v_dual_mov_b32 v65, v19
	v_dual_mov_b32 v64, v18 :: v_dual_mov_b32 v67, v55
	v_dual_mov_b32 v48, v54 :: v_dual_mov_b32 v49, v55
	v_mov_b32_e32 v66, v54
	s_and_not1_b32 s4, s10, exec_lo
	s_and_b32 s10, s12, exec_lo
	s_mov_b32 s3, exec_lo
	s_or_b32 s10, s4, s10
	s_or_b32 exec_lo, exec_lo, s11
	s_and_saveexec_b32 s4, s10
	s_cbranch_execz .LBB23_13
.LBB23_125:                             ;   in Loop: Header=BB23_6 Depth=1
	s_and_not1_b32 s3, s3, exec_lo
	ds_store_b32 v25, v24 offset:4
	s_or_b32 exec_lo, exec_lo, s4
	s_and_saveexec_b32 s4, s3
	s_cbranch_execnz .LBB23_14
	s_branch .LBB23_15
.LBB23_126:                             ;   in Loop: Header=BB23_6 Depth=1
	s_or_b32 exec_lo, exec_lo, s11
.LBB23_127:                             ;   in Loop: Header=BB23_6 Depth=1
	s_delay_alu instid0(SALU_CYCLE_1)
	s_or_b32 exec_lo, exec_lo, s10
	s_cbranch_execnz .LBB23_210
.LBB23_128:                             ;   in Loop: Header=BB23_6 Depth=1
	s_delay_alu instid0(VALU_DEP_1)
	s_and_saveexec_b32 s5, s3
	s_cbranch_execz .LBB23_209
; %bb.129:                              ;   in Loop: Header=BB23_6 Depth=1
	s_mov_b32 s10, 0
	s_branch .LBB23_132
.LBB23_130:                             ;   in Loop: Header=BB23_132 Depth=2
	s_or_b32 exec_lo, exec_lo, s11
	s_waitcnt lgkmcnt(0)
	s_waitcnt_vscnt null, 0x0
	s_barrier
	buffer_gl0_inv
	ds_load_b32 v54, v25
.LBB23_131:                             ;   in Loop: Header=BB23_132 Depth=2
	ds_load_2addr_b32 v[64:65], v25 offset0:5 offset1:7
	s_waitcnt lgkmcnt(0)
	v_cmp_lt_i32_e32 vcc_lo, v54, v64
	v_cmp_ge_i32_e64 s3, v65, v14
	s_delay_alu instid0(VALU_DEP_1) | instskip(NEXT) | instid1(SALU_CYCLE_1)
	s_or_b32 s3, vcc_lo, s3
	s_and_b32 s3, exec_lo, s3
	s_delay_alu instid0(SALU_CYCLE_1) | instskip(NEXT) | instid1(SALU_CYCLE_1)
	s_or_b32 s10, s3, s10
	s_and_not1_b32 exec_lo, exec_lo, s10
	s_cbranch_execz .LBB23_208
.LBB23_132:                             ;   Parent Loop BB23_6 Depth=1
                                        ; =>  This Loop Header: Depth=2
                                        ;       Child Loop BB23_138 Depth 3
                                        ;       Child Loop BB23_158 Depth 3
	;; [unrolled: 1-line block ×3, first 2 shown]
                                        ;         Child Loop BB23_206 Depth 4
	s_and_saveexec_b32 s11, s0
	s_cbranch_execz .LBB23_201
; %bb.133:                              ;   in Loop: Header=BB23_132 Depth=2
	v_cmp_gt_i32_e32 vcc_lo, v54, v64
	s_mov_b32 s3, 0
	s_cbranch_vccnz .LBB23_135
; %bb.134:                              ;   in Loop: Header=BB23_132 Depth=2
	v_ashrrev_i32_e32 v55, 31, v54
	s_mov_b32 s4, -1
	s_delay_alu instid0(VALU_DEP_1)
	v_dual_mov_b32 v67, v55 :: v_dual_mov_b32 v66, v54
	v_mov_b32_e32 v68, v54
	s_cbranch_execz .LBB23_136
	s_branch .LBB23_141
.LBB23_135:                             ;   in Loop: Header=BB23_132 Depth=2
	s_mov_b32 s4, 0
                                        ; implicit-def: $vgpr66_vgpr67
	v_mov_b32_e32 v68, v54
.LBB23_136:                             ;   in Loop: Header=BB23_132 Depth=2
	v_ashrrev_i32_e32 v55, 31, v54
	v_mov_b32_e32 v24, v54
	s_mov_b32 s12, 0
                                        ; implicit-def: $sgpr4
                                        ; implicit-def: $sgpr14
                                        ; implicit-def: $sgpr13
	s_delay_alu instid0(VALU_DEP_2) | instskip(NEXT) | instid1(VALU_DEP_1)
	v_lshlrev_b64 v[32:33], 2, v[54:55]
	v_add_co_u32 v38, vcc_lo, v1, v32
	s_delay_alu instid0(VALU_DEP_2)
	v_add_co_ci_u32_e32 v39, vcc_lo, v112, v33, vcc_lo
	v_add_co_u32 v66, vcc_lo, v11, v32
	v_add_co_ci_u32_e32 v67, vcc_lo, v100, v33, vcc_lo
	s_set_inst_prefetch_distance 0x1
	s_branch .LBB23_138
	.p2align	6
.LBB23_137:                             ;   in Loop: Header=BB23_138 Depth=3
	s_or_b32 exec_lo, exec_lo, s15
	s_xor_b32 s3, s13, -1
	s_and_b32 s15, exec_lo, s14
	s_delay_alu instid0(SALU_CYCLE_1) | instskip(SKIP_2) | instid1(SALU_CYCLE_1)
	s_or_b32 s12, s15, s12
	s_and_not1_b32 s4, s4, exec_lo
	s_and_b32 s3, s3, exec_lo
	s_or_b32 s4, s4, s3
	s_and_not1_b32 exec_lo, exec_lo, s12
	s_cbranch_execz .LBB23_140
.LBB23_138:                             ;   Parent Loop BB23_6 Depth=1
                                        ;     Parent Loop BB23_132 Depth=2
                                        ; =>    This Inner Loop Header: Depth=3
	s_delay_alu instid0(VALU_DEP_1)
	v_dual_mov_b32 v32, v66 :: v_dual_mov_b32 v33, v67
	v_mov_b32_e32 v118, v24
	s_or_b32 s13, s13, exec_lo
	flat_load_b64 v[66:67], v[38:39]
	flat_load_b32 v68, v[32:33]
	s_or_b32 s14, s14, exec_lo
                                        ; implicit-def: $vgpr24
	s_waitcnt vmcnt(0) lgkmcnt(0)
	v_dual_mul_f32 v66, v67, v66 :: v_dual_mul_f32 v67, v68, v68
	s_delay_alu instid0(VALU_DEP_1) | instskip(NEXT) | instid1(VALU_DEP_1)
	v_mul_f32_e64 v66, v103, |v66|
	v_cmp_nle_f32_e64 s3, |v67|, v66
                                        ; implicit-def: $vgpr66_vgpr67
	s_delay_alu instid0(VALU_DEP_1)
	s_and_saveexec_b32 s15, s3
	s_cbranch_execz .LBB23_137
; %bb.139:                              ;   in Loop: Header=BB23_138 Depth=3
	v_add_nc_u32_e32 v24, -1, v118
	v_add_co_u32 v38, vcc_lo, v38, -4
	v_add_co_ci_u32_e32 v39, vcc_lo, -1, v39, vcc_lo
	s_delay_alu instid0(VALU_DEP_3) | instskip(SKIP_1) | instid1(VALU_DEP_1)
	v_cmp_le_i32_e32 vcc_lo, v24, v64
	v_add_co_u32 v66, s3, v32, -4
	v_add_co_ci_u32_e64 v67, s3, -1, v33, s3
	s_and_not1_b32 s3, s14, exec_lo
	s_and_b32 s14, vcc_lo, exec_lo
	s_and_not1_b32 s13, s13, exec_lo
	s_or_b32 s14, s3, s14
	s_branch .LBB23_137
.LBB23_140:                             ;   in Loop: Header=BB23_132 Depth=2
	s_set_inst_prefetch_distance 0x2
	s_or_b32 exec_lo, exec_lo, s12
	v_dual_mov_b32 v68, v64 :: v_dual_mov_b32 v67, v55
	v_dual_mov_b32 v38, v54 :: v_dual_mov_b32 v39, v55
	v_mov_b32_e32 v66, v54
	s_mov_b32 s3, -1
.LBB23_141:                             ;   in Loop: Header=BB23_132 Depth=2
	s_and_saveexec_b32 s12, s4
	s_cbranch_execnz .LBB23_170
; %bb.142:                              ;   in Loop: Header=BB23_132 Depth=2
	s_or_b32 exec_lo, exec_lo, s12
	s_and_saveexec_b32 s4, s3
	s_cbranch_execz .LBB23_144
.LBB23_143:                             ;   in Loop: Header=BB23_132 Depth=2
	v_dual_mov_b32 v67, v39 :: v_dual_mov_b32 v66, v38
	v_mov_b32_e32 v68, v118
	ds_store_2addr_b32 v25, v118, v54 offset0:1 offset1:4
	flat_store_b32 v[32:33], v25
.LBB23_144:                             ;   in Loop: Header=BB23_132 Depth=2
	s_or_b32 exec_lo, exec_lo, s4
	v_lshlrev_b64 v[70:71], 2, v[66:67]
	s_mov_b32 s3, exec_lo
	s_delay_alu instid0(VALU_DEP_1) | instskip(NEXT) | instid1(VALU_DEP_2)
	v_add_co_u32 v66, vcc_lo, v20, v70
	v_add_co_ci_u32_e32 v67, vcc_lo, v4, v71, vcc_lo
	flat_load_b32 v84, v[66:67]
	s_waitcnt vmcnt(0) lgkmcnt(0)
	ds_store_b32 v25, v84 offset:8
	v_cmpx_ne_u32_e64 v68, v54
	s_xor_b32 s12, exec_lo, s3
	s_cbranch_execz .LBB23_198
; %bb.145:                              ;   in Loop: Header=BB23_132 Depth=2
	v_add_nc_u32_e32 v24, -1, v54
	s_mov_b32 s3, exec_lo
	s_delay_alu instid0(VALU_DEP_1)
	v_cmpx_ne_u32_e64 v68, v24
	s_xor_b32 s4, exec_lo, s3
	s_cbranch_execz .LBB23_174
; %bb.146:                              ;   in Loop: Header=BB23_132 Depth=2
	v_add_co_u32 v80, vcc_lo, -4, v66
	v_add_co_ci_u32_e32 v81, vcc_lo, -1, v67, vcc_lo
	v_add_co_u32 v70, vcc_lo, v11, v70
	v_add_co_ci_u32_e32 v71, vcc_lo, v100, v71, vcc_lo
	v_ashrrev_i32_e32 v69, 31, v68
	flat_load_b32 v24, v[80:81]
	flat_load_b32 v55, v[70:71]
	v_add_nc_u32_e32 v65, 1, v65
	s_mov_b32 s13, exec_lo
	v_lshlrev_b64 v[82:83], 2, v[68:69]
	s_delay_alu instid0(VALU_DEP_1) | instskip(NEXT) | instid1(VALU_DEP_2)
	v_add_co_u32 v80, vcc_lo, v20, v82
	v_add_co_ci_u32_e32 v81, vcc_lo, v4, v83, vcc_lo
	flat_load_b32 v64, v[80:81]
	ds_store_2addr_b32 v25, v25, v65 offset0:2 offset1:7
	s_waitcnt vmcnt(1) lgkmcnt(2)
	v_dual_sub_f32 v24, v24, v84 :: v_dual_add_f32 v69, v55, v55
	s_delay_alu instid0(VALU_DEP_1) | instskip(SKIP_1) | instid1(VALU_DEP_2)
	v_div_scale_f32 v85, null, v69, v69, v24
	v_div_scale_f32 v96, vcc_lo, v24, v69, v24
	v_rcp_f32_e32 v86, v85
	s_waitcnt vmcnt(0) lgkmcnt(1)
	v_sub_f32_e32 v64, v64, v84
	s_waitcnt_depctr 0xfff
	v_fma_f32 v87, -v85, v86, 1.0
	s_delay_alu instid0(VALU_DEP_1) | instskip(NEXT) | instid1(VALU_DEP_1)
	v_fmac_f32_e32 v86, v87, v86
	v_mul_f32_e32 v87, v96, v86
	s_delay_alu instid0(VALU_DEP_1) | instskip(NEXT) | instid1(VALU_DEP_1)
	v_fma_f32 v97, -v85, v87, v96
	v_fmac_f32_e32 v87, v97, v86
	s_delay_alu instid0(VALU_DEP_1) | instskip(NEXT) | instid1(VALU_DEP_1)
	v_fma_f32 v85, -v85, v87, v96
	v_div_fmas_f32 v85, v85, v86, v87
	s_delay_alu instid0(VALU_DEP_1) | instskip(NEXT) | instid1(VALU_DEP_1)
	v_div_fixup_f32 v24, v85, v69, v24
	v_fma_f32 v69, v24, v24, 1.0
	s_delay_alu instid0(VALU_DEP_1) | instskip(SKIP_1) | instid1(VALU_DEP_2)
	v_mul_f32_e32 v85, 0x4f800000, v69
	v_cmp_gt_f32_e32 vcc_lo, 0xf800000, v69
	v_cndmask_b32_e32 v69, v69, v85, vcc_lo
	s_delay_alu instid0(VALU_DEP_1) | instskip(SKIP_3) | instid1(VALU_DEP_2)
	v_sqrt_f32_e32 v85, v69
	s_waitcnt_depctr 0xfff
	v_add_nc_u32_e32 v86, -1, v85
	v_add_nc_u32_e32 v87, 1, v85
	v_fma_f32 v96, -v86, v85, v69
	s_delay_alu instid0(VALU_DEP_2) | instskip(NEXT) | instid1(VALU_DEP_2)
	v_fma_f32 v97, -v87, v85, v69
	v_cmp_ge_f32_e64 s3, 0, v96
	s_delay_alu instid0(VALU_DEP_1) | instskip(NEXT) | instid1(VALU_DEP_3)
	v_cndmask_b32_e64 v85, v85, v86, s3
	v_cmp_lt_f32_e64 s3, 0, v97
	s_delay_alu instid0(VALU_DEP_1) | instskip(NEXT) | instid1(VALU_DEP_1)
	v_cndmask_b32_e64 v85, v85, v87, s3
	v_mul_f32_e32 v86, 0x37800000, v85
	s_delay_alu instid0(VALU_DEP_1) | instskip(SKIP_1) | instid1(VALU_DEP_2)
	v_cndmask_b32_e32 v85, v85, v86, vcc_lo
	v_cmp_class_f32_e64 vcc_lo, v69, 0x260
	v_cndmask_b32_e32 v69, v85, v69, vcc_lo
	v_cmp_nle_f32_e32 vcc_lo, 0, v24
	s_delay_alu instid0(VALU_DEP_2) | instskip(NEXT) | instid1(VALU_DEP_1)
	v_cndmask_b32_e64 v69, |v69|, -|v69|, vcc_lo
	v_add_f32_e32 v24, v24, v69
	s_delay_alu instid0(VALU_DEP_1) | instskip(SKIP_1) | instid1(VALU_DEP_2)
	v_div_scale_f32 v69, null, v24, v24, v55
	v_div_scale_f32 v87, vcc_lo, v55, v24, v55
	v_rcp_f32_e32 v85, v69
	s_waitcnt_depctr 0xfff
	v_fma_f32 v86, -v69, v85, 1.0
	s_delay_alu instid0(VALU_DEP_1) | instskip(NEXT) | instid1(VALU_DEP_1)
	v_fmac_f32_e32 v85, v86, v85
	v_mul_f32_e32 v86, v87, v85
	s_delay_alu instid0(VALU_DEP_1) | instskip(NEXT) | instid1(VALU_DEP_1)
	v_fma_f32 v96, -v69, v86, v87
	v_fmac_f32_e32 v86, v96, v85
	s_delay_alu instid0(VALU_DEP_1) | instskip(NEXT) | instid1(VALU_DEP_1)
	v_fma_f32 v69, -v69, v86, v87
	v_div_fmas_f32 v69, v69, v85, v86
	s_delay_alu instid0(VALU_DEP_1) | instskip(NEXT) | instid1(VALU_DEP_1)
	v_div_fixup_f32 v24, v69, v24, v55
	v_dual_mov_b32 v55, 0 :: v_dual_add_f32 v24, v64, v24
	v_cmpx_lt_i32_e64 v68, v54
	s_cbranch_execz .LBB23_173
; %bb.147:                              ;   in Loop: Header=BB23_132 Depth=2
	v_add_co_u32 v64, vcc_lo, v5, v82
	v_add_co_ci_u32_e32 v65, vcc_lo, v6, v83, vcc_lo
	v_mov_b32_e32 v55, 1.0
	v_mov_b32_e32 v69, 0
	s_mov_b32 s14, exec_lo
	flat_load_b32 v65, v[64:65]
	s_waitcnt vmcnt(0) lgkmcnt(0)
	v_cmpx_neq_f32_e32 0, v65
	s_cbranch_execz .LBB23_155
; %bb.148:                              ;   in Loop: Header=BB23_132 Depth=2
	v_mov_b32_e32 v69, 1.0
	v_mov_b32_e32 v55, 0
	s_mov_b32 s15, exec_lo
	v_cmpx_neq_f32_e32 0, v24
	s_cbranch_execz .LBB23_154
; %bb.149:                              ;   in Loop: Header=BB23_132 Depth=2
	s_mov_b32 s16, exec_lo
                                        ; implicit-def: $vgpr69
                                        ; implicit-def: $vgpr55
	v_cmpx_ngt_f32_e64 |v65|, |v24|
	s_xor_b32 s16, exec_lo, s16
	s_cbranch_execz .LBB23_151
; %bb.150:                              ;   in Loop: Header=BB23_132 Depth=2
	v_div_scale_f32 v55, null, v24, v24, -v65
	v_div_scale_f32 v84, vcc_lo, -v65, v24, -v65
	s_delay_alu instid0(VALU_DEP_2) | instskip(SKIP_2) | instid1(VALU_DEP_1)
	v_rcp_f32_e32 v64, v55
	s_waitcnt_depctr 0xfff
	v_fma_f32 v69, -v55, v64, 1.0
	v_fmac_f32_e32 v64, v69, v64
	s_delay_alu instid0(VALU_DEP_1) | instskip(NEXT) | instid1(VALU_DEP_1)
	v_mul_f32_e32 v69, v84, v64
	v_fma_f32 v85, -v55, v69, v84
	s_delay_alu instid0(VALU_DEP_1) | instskip(NEXT) | instid1(VALU_DEP_1)
	v_fmac_f32_e32 v69, v85, v64
	v_fma_f32 v55, -v55, v69, v84
	s_delay_alu instid0(VALU_DEP_1) | instskip(NEXT) | instid1(VALU_DEP_1)
	v_div_fmas_f32 v55, v55, v64, v69
	v_div_fixup_f32 v24, v55, v24, -v65
	s_delay_alu instid0(VALU_DEP_1) | instskip(NEXT) | instid1(VALU_DEP_1)
	v_fma_f32 v55, v24, v24, 1.0
	v_mul_f32_e32 v64, 0x4f800000, v55
	v_cmp_gt_f32_e32 vcc_lo, 0xf800000, v55
	s_delay_alu instid0(VALU_DEP_2) | instskip(NEXT) | instid1(VALU_DEP_1)
	v_cndmask_b32_e32 v55, v55, v64, vcc_lo
	v_sqrt_f32_e32 v64, v55
	s_waitcnt_depctr 0xfff
	v_add_nc_u32_e32 v69, -1, v64
	v_add_nc_u32_e32 v84, 1, v64
	s_delay_alu instid0(VALU_DEP_2) | instskip(NEXT) | instid1(VALU_DEP_2)
	v_fma_f32 v85, -v69, v64, v55
	v_fma_f32 v86, -v84, v64, v55
	s_delay_alu instid0(VALU_DEP_2) | instskip(NEXT) | instid1(VALU_DEP_1)
	v_cmp_ge_f32_e64 s3, 0, v85
	v_cndmask_b32_e64 v64, v64, v69, s3
	s_delay_alu instid0(VALU_DEP_3) | instskip(NEXT) | instid1(VALU_DEP_1)
	v_cmp_lt_f32_e64 s3, 0, v86
	v_cndmask_b32_e64 v64, v64, v84, s3
	s_delay_alu instid0(VALU_DEP_1) | instskip(NEXT) | instid1(VALU_DEP_1)
	v_mul_f32_e32 v69, 0x37800000, v64
	v_cndmask_b32_e32 v64, v64, v69, vcc_lo
	v_cmp_class_f32_e64 vcc_lo, v55, 0x260
	s_delay_alu instid0(VALU_DEP_2) | instskip(NEXT) | instid1(VALU_DEP_1)
	v_cndmask_b32_e32 v55, v64, v55, vcc_lo
	v_div_scale_f32 v64, null, v55, v55, 1.0
	s_delay_alu instid0(VALU_DEP_1) | instskip(SKIP_2) | instid1(VALU_DEP_1)
	v_rcp_f32_e32 v69, v64
	s_waitcnt_depctr 0xfff
	v_fma_f32 v84, -v64, v69, 1.0
	v_fmac_f32_e32 v69, v84, v69
	v_div_scale_f32 v84, vcc_lo, 1.0, v55, 1.0
	s_delay_alu instid0(VALU_DEP_1) | instskip(NEXT) | instid1(VALU_DEP_1)
	v_mul_f32_e32 v85, v84, v69
	v_fma_f32 v86, -v64, v85, v84
	s_delay_alu instid0(VALU_DEP_1) | instskip(NEXT) | instid1(VALU_DEP_1)
	v_fmac_f32_e32 v85, v86, v69
	v_fma_f32 v64, -v64, v85, v84
	s_delay_alu instid0(VALU_DEP_1) | instskip(NEXT) | instid1(VALU_DEP_1)
	v_div_fmas_f32 v64, v64, v69, v85
	v_div_fixup_f32 v55, v64, v55, 1.0
	s_delay_alu instid0(VALU_DEP_1)
	v_mul_f32_e32 v69, v24, v55
                                        ; implicit-def: $vgpr24
.LBB23_151:                             ;   in Loop: Header=BB23_132 Depth=2
	s_and_not1_saveexec_b32 s16, s16
	s_cbranch_execz .LBB23_153
; %bb.152:                              ;   in Loop: Header=BB23_132 Depth=2
	v_div_scale_f32 v55, null, v65, v65, -v24
	v_div_scale_f32 v84, vcc_lo, -v24, v65, -v24
	s_delay_alu instid0(VALU_DEP_2) | instskip(SKIP_2) | instid1(VALU_DEP_1)
	v_rcp_f32_e32 v64, v55
	s_waitcnt_depctr 0xfff
	v_fma_f32 v69, -v55, v64, 1.0
	v_fmac_f32_e32 v64, v69, v64
	s_delay_alu instid0(VALU_DEP_1) | instskip(NEXT) | instid1(VALU_DEP_1)
	v_mul_f32_e32 v69, v84, v64
	v_fma_f32 v85, -v55, v69, v84
	s_delay_alu instid0(VALU_DEP_1) | instskip(NEXT) | instid1(VALU_DEP_1)
	v_fmac_f32_e32 v69, v85, v64
	v_fma_f32 v55, -v55, v69, v84
	s_delay_alu instid0(VALU_DEP_1) | instskip(NEXT) | instid1(VALU_DEP_1)
	v_div_fmas_f32 v55, v55, v64, v69
	v_div_fixup_f32 v24, v55, v65, -v24
	s_delay_alu instid0(VALU_DEP_1) | instskip(NEXT) | instid1(VALU_DEP_1)
	v_fma_f32 v55, v24, v24, 1.0
	v_mul_f32_e32 v64, 0x4f800000, v55
	v_cmp_gt_f32_e32 vcc_lo, 0xf800000, v55
	s_delay_alu instid0(VALU_DEP_2) | instskip(NEXT) | instid1(VALU_DEP_1)
	v_cndmask_b32_e32 v55, v55, v64, vcc_lo
	v_sqrt_f32_e32 v64, v55
	s_waitcnt_depctr 0xfff
	v_add_nc_u32_e32 v69, -1, v64
	v_add_nc_u32_e32 v84, 1, v64
	s_delay_alu instid0(VALU_DEP_2) | instskip(NEXT) | instid1(VALU_DEP_2)
	v_fma_f32 v85, -v69, v64, v55
	v_fma_f32 v86, -v84, v64, v55
	s_delay_alu instid0(VALU_DEP_2) | instskip(NEXT) | instid1(VALU_DEP_1)
	v_cmp_ge_f32_e64 s3, 0, v85
	v_cndmask_b32_e64 v64, v64, v69, s3
	s_delay_alu instid0(VALU_DEP_3) | instskip(NEXT) | instid1(VALU_DEP_1)
	v_cmp_lt_f32_e64 s3, 0, v86
	v_cndmask_b32_e64 v64, v64, v84, s3
	s_delay_alu instid0(VALU_DEP_1) | instskip(NEXT) | instid1(VALU_DEP_1)
	v_mul_f32_e32 v69, 0x37800000, v64
	v_cndmask_b32_e32 v64, v64, v69, vcc_lo
	v_cmp_class_f32_e64 vcc_lo, v55, 0x260
	s_delay_alu instid0(VALU_DEP_2) | instskip(NEXT) | instid1(VALU_DEP_1)
	v_cndmask_b32_e32 v55, v64, v55, vcc_lo
	v_div_scale_f32 v64, null, v55, v55, 1.0
	s_delay_alu instid0(VALU_DEP_1) | instskip(SKIP_2) | instid1(VALU_DEP_1)
	v_rcp_f32_e32 v69, v64
	s_waitcnt_depctr 0xfff
	v_fma_f32 v84, -v64, v69, 1.0
	v_fmac_f32_e32 v69, v84, v69
	v_div_scale_f32 v84, vcc_lo, 1.0, v55, 1.0
	s_delay_alu instid0(VALU_DEP_1) | instskip(NEXT) | instid1(VALU_DEP_1)
	v_mul_f32_e32 v85, v84, v69
	v_fma_f32 v86, -v64, v85, v84
	s_delay_alu instid0(VALU_DEP_1) | instskip(NEXT) | instid1(VALU_DEP_1)
	v_fmac_f32_e32 v85, v86, v69
	v_fma_f32 v64, -v64, v85, v84
	s_delay_alu instid0(VALU_DEP_1) | instskip(NEXT) | instid1(VALU_DEP_1)
	v_div_fmas_f32 v64, v64, v69, v85
	v_div_fixup_f32 v69, v64, v55, 1.0
	s_delay_alu instid0(VALU_DEP_1)
	v_mul_f32_e32 v55, v24, v69
.LBB23_153:                             ;   in Loop: Header=BB23_132 Depth=2
	s_or_b32 exec_lo, exec_lo, s16
.LBB23_154:                             ;   in Loop: Header=BB23_132 Depth=2
	s_delay_alu instid0(SALU_CYCLE_1)
	s_or_b32 exec_lo, exec_lo, s15
.LBB23_155:                             ;   in Loop: Header=BB23_132 Depth=2
	s_delay_alu instid0(SALU_CYCLE_1)
	s_or_b32 exec_lo, exec_lo, s14
	flat_load_b64 v[85:86], v[80:81]
	v_add_co_u32 v82, vcc_lo, v12, v82
	v_add_co_ci_u32_e32 v83, vcc_lo, v13, v83, vcc_lo
	v_xor_b32_e32 v84, 0x80000000, v69
	v_add_nc_u32_e32 v64, 1, v68
	s_mov_b32 s14, exec_lo
	s_waitcnt vmcnt(0) lgkmcnt(0)
	v_sub_f32_e32 v24, v86, v85
	v_add_f32_e32 v86, v55, v55
	s_delay_alu instid0(VALU_DEP_2) | instskip(NEXT) | instid1(VALU_DEP_1)
	v_mul_f32_e32 v24, v69, v24
	v_fma_f32 v24, v65, v86, -v24
	s_delay_alu instid0(VALU_DEP_1)
	v_mul_f32_e64 v87, v24, -v69
	v_fma_f32 v69, v24, -v69, v85
	v_add_co_u32 v85, vcc_lo, v82, v28
	v_fma_f32 v24, v55, v24, -v65
	v_add_co_ci_u32_e32 v86, vcc_lo, v83, v29, vcc_lo
	ds_store_b32 v25, v87 offset:8
	flat_store_b32 v[80:81], v69
	s_clause 0x1
	flat_store_b32 v[82:83], v55
	flat_store_b32 v[85:86], v84
	v_cmpx_lt_i32_e64 v64, v54
	s_cbranch_execz .LBB23_172
; %bb.156:                              ;   in Loop: Header=BB23_132 Depth=2
	v_ashrrev_i32_e32 v65, 31, v64
	s_mov_b32 s16, 1
	s_mov_b32 s15, 0
	s_delay_alu instid0(VALU_DEP_1) | instskip(NEXT) | instid1(VALU_DEP_1)
	v_lshlrev_b64 v[80:81], 2, v[64:65]
	v_add_co_u32 v64, vcc_lo, v12, v80
	s_delay_alu instid0(VALU_DEP_2)
	v_add_co_ci_u32_e32 v65, vcc_lo, v13, v81, vcc_lo
	v_add_co_u32 v82, vcc_lo, v20, v80
	v_add_co_ci_u32_e32 v83, vcc_lo, v4, v81, vcc_lo
	v_add_co_u32 v80, vcc_lo, v11, v80
	v_add_co_ci_u32_e32 v81, vcc_lo, v100, v81, vcc_lo
	s_branch .LBB23_158
.LBB23_157:                             ;   in Loop: Header=BB23_158 Depth=3
	flat_load_b64 v[96:97], v[82:83]
	ds_load_b32 v24, v25 offset:8
	v_add_co_u32 v80, vcc_lo, v80, 4
	v_add_co_ci_u32_e32 v81, vcc_lo, 0, v81, vcc_lo
	s_add_i32 s16, s16, 1
	v_mul_f32_e32 v55, v55, v69
	v_dual_add_f32 v69, v85, v85 :: v_dual_add_nc_u32 v98, s16, v68
	s_waitcnt vmcnt(0) lgkmcnt(0)
	v_sub_f32_e32 v24, v96, v24
	v_add_co_u32 v96, vcc_lo, v82, 4
	s_delay_alu instid0(VALU_DEP_2) | instskip(SKIP_1) | instid1(VALU_DEP_2)
	v_sub_f32_e32 v84, v97, v24
	v_add_co_ci_u32_e32 v97, vcc_lo, 0, v83, vcc_lo
	v_mul_f32_e32 v87, v86, v84
	v_xor_b32_e32 v84, 0x80000000, v86
	s_delay_alu instid0(VALU_DEP_2) | instskip(NEXT) | instid1(VALU_DEP_1)
	v_fma_f32 v69, v55, v69, -v87
	v_mul_f32_e64 v99, v69, -v86
	v_fma_f32 v128, v69, -v86, v24
	v_add_co_u32 v86, vcc_lo, v64, v28
	v_add_co_ci_u32_e32 v87, vcc_lo, v65, v29, vcc_lo
	v_cmp_ge_i32_e32 vcc_lo, v98, v54
	ds_store_b32 v25, v99 offset:8
	flat_store_b32 v[82:83], v128
	flat_store_b32 v[64:65], v85
	v_mov_b32_e32 v82, v96
	v_add_co_u32 v64, s3, v64, 4
	v_fma_f32 v24, v85, v69, -v55
	v_add_co_ci_u32_e64 v65, s3, 0, v65, s3
	v_mov_b32_e32 v83, v97
	v_mov_b32_e32 v55, v85
	s_or_b32 s15, vcc_lo, s15
	flat_store_b32 v[86:87], v84
	s_and_not1_b32 exec_lo, exec_lo, s15
	s_cbranch_execz .LBB23_171
.LBB23_158:                             ;   Parent Loop BB23_6 Depth=1
                                        ;     Parent Loop BB23_132 Depth=2
                                        ; =>    This Inner Loop Header: Depth=3
	flat_load_b32 v69, v[80:81] offset:4
	v_mov_b32_e32 v86, 0
	s_mov_b32 s17, exec_lo
	s_waitcnt vmcnt(0) lgkmcnt(0)
	v_dual_mov_b32 v85, 1.0 :: v_dual_mul_f32 v84, v84, v69
	s_delay_alu instid0(VALU_DEP_1)
	v_cmpx_neq_f32_e32 0, v84
	s_cbranch_execz .LBB23_168
; %bb.159:                              ;   in Loop: Header=BB23_158 Depth=3
                                        ; implicit-def: $vgpr86
                                        ; implicit-def: $vgpr85
	s_mov_b32 s3, exec_lo
	v_cmpx_neq_f32_e32 0, v24
	s_xor_b32 s18, exec_lo, s3
	s_cbranch_execz .LBB23_165
; %bb.160:                              ;   in Loop: Header=BB23_158 Depth=3
	s_mov_b32 s19, exec_lo
                                        ; implicit-def: $vgpr86
                                        ; implicit-def: $vgpr85
	v_cmpx_ngt_f32_e64 |v84|, |v24|
	s_xor_b32 s19, exec_lo, s19
	s_cbranch_execz .LBB23_162
; %bb.161:                              ;   in Loop: Header=BB23_158 Depth=3
	v_div_scale_f32 v85, null, v24, v24, -v84
	v_div_scale_f32 v96, vcc_lo, -v84, v24, -v84
	s_delay_alu instid0(VALU_DEP_2) | instskip(SKIP_2) | instid1(VALU_DEP_1)
	v_rcp_f32_e32 v86, v85
	s_waitcnt_depctr 0xfff
	v_fma_f32 v87, -v85, v86, 1.0
	v_fmac_f32_e32 v86, v87, v86
	s_delay_alu instid0(VALU_DEP_1) | instskip(NEXT) | instid1(VALU_DEP_1)
	v_mul_f32_e32 v87, v96, v86
	v_fma_f32 v97, -v85, v87, v96
	s_delay_alu instid0(VALU_DEP_1) | instskip(NEXT) | instid1(VALU_DEP_1)
	v_fmac_f32_e32 v87, v97, v86
	v_fma_f32 v85, -v85, v87, v96
	s_delay_alu instid0(VALU_DEP_1) | instskip(NEXT) | instid1(VALU_DEP_1)
	v_div_fmas_f32 v85, v85, v86, v87
	v_div_fixup_f32 v86, v85, v24, -v84
	s_delay_alu instid0(VALU_DEP_1) | instskip(NEXT) | instid1(VALU_DEP_1)
	v_fma_f32 v85, v86, v86, 1.0
	v_mul_f32_e32 v87, 0x4f800000, v85
	v_cmp_gt_f32_e32 vcc_lo, 0xf800000, v85
	s_delay_alu instid0(VALU_DEP_2) | instskip(NEXT) | instid1(VALU_DEP_1)
	v_cndmask_b32_e32 v85, v85, v87, vcc_lo
	v_sqrt_f32_e32 v87, v85
	s_waitcnt_depctr 0xfff
	v_add_nc_u32_e32 v96, -1, v87
	v_add_nc_u32_e32 v97, 1, v87
	s_delay_alu instid0(VALU_DEP_2) | instskip(NEXT) | instid1(VALU_DEP_2)
	v_fma_f32 v98, -v96, v87, v85
	v_fma_f32 v99, -v97, v87, v85
	s_delay_alu instid0(VALU_DEP_2) | instskip(NEXT) | instid1(VALU_DEP_1)
	v_cmp_ge_f32_e64 s3, 0, v98
	v_cndmask_b32_e64 v87, v87, v96, s3
	s_delay_alu instid0(VALU_DEP_3) | instskip(NEXT) | instid1(VALU_DEP_1)
	v_cmp_lt_f32_e64 s3, 0, v99
	v_cndmask_b32_e64 v87, v87, v97, s3
	s_delay_alu instid0(VALU_DEP_1) | instskip(NEXT) | instid1(VALU_DEP_1)
	v_mul_f32_e32 v96, 0x37800000, v87
	v_cndmask_b32_e32 v87, v87, v96, vcc_lo
	v_cmp_class_f32_e64 vcc_lo, v85, 0x260
	s_delay_alu instid0(VALU_DEP_2) | instskip(NEXT) | instid1(VALU_DEP_1)
	v_cndmask_b32_e32 v85, v87, v85, vcc_lo
	v_div_scale_f32 v87, null, v85, v85, 1.0
	s_delay_alu instid0(VALU_DEP_1) | instskip(SKIP_2) | instid1(VALU_DEP_1)
	v_rcp_f32_e32 v96, v87
	s_waitcnt_depctr 0xfff
	v_fma_f32 v97, -v87, v96, 1.0
	v_fmac_f32_e32 v96, v97, v96
	v_div_scale_f32 v97, vcc_lo, 1.0, v85, 1.0
	s_delay_alu instid0(VALU_DEP_1) | instskip(NEXT) | instid1(VALU_DEP_1)
	v_mul_f32_e32 v98, v97, v96
	v_fma_f32 v99, -v87, v98, v97
	s_delay_alu instid0(VALU_DEP_1) | instskip(NEXT) | instid1(VALU_DEP_1)
	v_fmac_f32_e32 v98, v99, v96
	v_fma_f32 v87, -v87, v98, v97
	s_delay_alu instid0(VALU_DEP_1) | instskip(NEXT) | instid1(VALU_DEP_1)
	v_div_fmas_f32 v87, v87, v96, v98
	v_div_fixup_f32 v85, v87, v85, 1.0
	s_delay_alu instid0(VALU_DEP_1)
	v_mul_f32_e32 v86, v86, v85
.LBB23_162:                             ;   in Loop: Header=BB23_158 Depth=3
	s_and_not1_saveexec_b32 s19, s19
	s_cbranch_execz .LBB23_164
; %bb.163:                              ;   in Loop: Header=BB23_158 Depth=3
	v_div_scale_f32 v85, null, v84, v84, -v24
	v_div_scale_f32 v96, vcc_lo, -v24, v84, -v24
	s_delay_alu instid0(VALU_DEP_2) | instskip(SKIP_2) | instid1(VALU_DEP_1)
	v_rcp_f32_e32 v86, v85
	s_waitcnt_depctr 0xfff
	v_fma_f32 v87, -v85, v86, 1.0
	v_fmac_f32_e32 v86, v87, v86
	s_delay_alu instid0(VALU_DEP_1) | instskip(NEXT) | instid1(VALU_DEP_1)
	v_mul_f32_e32 v87, v96, v86
	v_fma_f32 v97, -v85, v87, v96
	s_delay_alu instid0(VALU_DEP_1) | instskip(NEXT) | instid1(VALU_DEP_1)
	v_fmac_f32_e32 v87, v97, v86
	v_fma_f32 v85, -v85, v87, v96
	s_delay_alu instid0(VALU_DEP_1) | instskip(NEXT) | instid1(VALU_DEP_1)
	v_div_fmas_f32 v85, v85, v86, v87
	v_div_fixup_f32 v85, v85, v84, -v24
	s_delay_alu instid0(VALU_DEP_1) | instskip(NEXT) | instid1(VALU_DEP_1)
	v_fma_f32 v86, v85, v85, 1.0
	v_mul_f32_e32 v87, 0x4f800000, v86
	v_cmp_gt_f32_e32 vcc_lo, 0xf800000, v86
	s_delay_alu instid0(VALU_DEP_2) | instskip(NEXT) | instid1(VALU_DEP_1)
	v_cndmask_b32_e32 v86, v86, v87, vcc_lo
	v_sqrt_f32_e32 v87, v86
	s_waitcnt_depctr 0xfff
	v_add_nc_u32_e32 v96, -1, v87
	v_add_nc_u32_e32 v97, 1, v87
	s_delay_alu instid0(VALU_DEP_2) | instskip(NEXT) | instid1(VALU_DEP_2)
	v_fma_f32 v98, -v96, v87, v86
	v_fma_f32 v99, -v97, v87, v86
	s_delay_alu instid0(VALU_DEP_2) | instskip(NEXT) | instid1(VALU_DEP_1)
	v_cmp_ge_f32_e64 s3, 0, v98
	v_cndmask_b32_e64 v87, v87, v96, s3
	s_delay_alu instid0(VALU_DEP_3) | instskip(NEXT) | instid1(VALU_DEP_1)
	v_cmp_lt_f32_e64 s3, 0, v99
	v_cndmask_b32_e64 v87, v87, v97, s3
	s_delay_alu instid0(VALU_DEP_1) | instskip(NEXT) | instid1(VALU_DEP_1)
	v_mul_f32_e32 v96, 0x37800000, v87
	v_cndmask_b32_e32 v87, v87, v96, vcc_lo
	v_cmp_class_f32_e64 vcc_lo, v86, 0x260
	s_delay_alu instid0(VALU_DEP_2) | instskip(NEXT) | instid1(VALU_DEP_1)
	v_cndmask_b32_e32 v86, v87, v86, vcc_lo
	v_div_scale_f32 v87, null, v86, v86, 1.0
	s_delay_alu instid0(VALU_DEP_1) | instskip(SKIP_2) | instid1(VALU_DEP_1)
	v_rcp_f32_e32 v96, v87
	s_waitcnt_depctr 0xfff
	v_fma_f32 v97, -v87, v96, 1.0
	v_fmac_f32_e32 v96, v97, v96
	v_div_scale_f32 v97, vcc_lo, 1.0, v86, 1.0
	s_delay_alu instid0(VALU_DEP_1) | instskip(NEXT) | instid1(VALU_DEP_1)
	v_mul_f32_e32 v98, v97, v96
	v_fma_f32 v99, -v87, v98, v97
	s_delay_alu instid0(VALU_DEP_1) | instskip(NEXT) | instid1(VALU_DEP_1)
	v_fmac_f32_e32 v98, v99, v96
	v_fma_f32 v87, -v87, v98, v97
	s_delay_alu instid0(VALU_DEP_1) | instskip(NEXT) | instid1(VALU_DEP_1)
	v_div_fmas_f32 v87, v87, v96, v98
	v_div_fixup_f32 v86, v87, v86, 1.0
	s_delay_alu instid0(VALU_DEP_1)
	v_mul_f32_e32 v85, v85, v86
.LBB23_164:                             ;   in Loop: Header=BB23_158 Depth=3
	s_or_b32 exec_lo, exec_lo, s19
	s_delay_alu instid0(VALU_DEP_1) | instskip(NEXT) | instid1(VALU_DEP_1)
	v_mul_f32_e32 v84, v84, v86
	v_fma_f32 v24, v24, v85, -v84
                                        ; implicit-def: $vgpr84
.LBB23_165:                             ;   in Loop: Header=BB23_158 Depth=3
	s_and_not1_saveexec_b32 s3, s18
; %bb.166:                              ;   in Loop: Header=BB23_158 Depth=3
	v_xor_b32_e32 v24, 0x80000000, v84
	v_dual_mov_b32 v86, 1.0 :: v_dual_mov_b32 v85, 0
; %bb.167:                              ;   in Loop: Header=BB23_158 Depth=3
	s_or_b32 exec_lo, exec_lo, s3
.LBB23_168:                             ;   in Loop: Header=BB23_158 Depth=3
	s_delay_alu instid0(SALU_CYCLE_1)
	s_or_b32 exec_lo, exec_lo, s17
	s_cmp_eq_u32 s16, 0
	s_cbranch_scc1 .LBB23_157
; %bb.169:                              ;   in Loop: Header=BB23_158 Depth=3
	flat_store_b32 v[80:81], v24
	s_branch .LBB23_157
.LBB23_170:                             ;   in Loop: Header=BB23_132 Depth=2
	s_and_not1_b32 s3, s3, exec_lo
	ds_store_2addr_b32 v25, v68, v54 offset0:1 offset1:4
	s_or_b32 exec_lo, exec_lo, s12
	s_and_saveexec_b32 s4, s3
	s_cbranch_execnz .LBB23_143
	s_branch .LBB23_144
.LBB23_171:                             ;   in Loop: Header=BB23_132 Depth=2
	s_or_b32 exec_lo, exec_lo, s15
.LBB23_172:                             ;   in Loop: Header=BB23_132 Depth=2
	s_delay_alu instid0(SALU_CYCLE_1)
	s_or_b32 exec_lo, exec_lo, s14
	ds_load_b32 v55, v25 offset:8
.LBB23_173:                             ;   in Loop: Header=BB23_132 Depth=2
	s_or_b32 exec_lo, exec_lo, s13
	flat_load_b32 v54, v[66:67]
                                        ; implicit-def: $vgpr84
                                        ; implicit-def: $vgpr68
	s_waitcnt vmcnt(0) lgkmcnt(0)
	v_sub_f32_e32 v54, v54, v55
	flat_store_b32 v[66:67], v54
	flat_store_b32 v[70:71], v24
                                        ; implicit-def: $vgpr66
                                        ; implicit-def: $vgpr70_vgpr71
                                        ; implicit-def: $vgpr54
.LBB23_174:                             ;   in Loop: Header=BB23_132 Depth=2
	s_and_not1_saveexec_b32 s13, s4
	s_cbranch_execz .LBB23_207
; %bb.175:                              ;   in Loop: Header=BB23_132 Depth=2
	v_ashrrev_i32_e32 v69, 31, v68
	s_mov_b32 s4, exec_lo
                                        ; implicit-def: $vgpr80
	s_delay_alu instid0(VALU_DEP_1) | instskip(NEXT) | instid1(VALU_DEP_1)
	v_lshlrev_b64 v[64:65], 2, v[68:69]
	v_add_co_u32 v68, vcc_lo, v5, v64
	s_delay_alu instid0(VALU_DEP_2)
	v_add_co_ci_u32_e32 v69, vcc_lo, v6, v65, vcc_lo
	v_add_co_u32 v82, vcc_lo, v20, v64
	v_add_co_ci_u32_e32 v83, vcc_lo, v4, v65, vcc_lo
	flat_load_b32 v81, v[68:69]
	flat_load_b32 v68, v[82:83]
	s_waitcnt vmcnt(0) lgkmcnt(0)
	v_dual_add_f32 v24, v81, v81 :: v_dual_sub_f32 v55, v68, v84
	s_delay_alu instid0(VALU_DEP_1) | instskip(NEXT) | instid1(VALU_DEP_2)
	v_and_b32_e32 v69, 0x7fffffff, v24
	v_cmpx_ngt_f32_e64 |v55|, |v24|
	s_xor_b32 s4, exec_lo, s4
	s_cbranch_execz .LBB23_181
; %bb.176:                              ;   in Loop: Header=BB23_132 Depth=2
	v_cmp_nlt_f32_e64 s3, |v55|, |v24|
                                        ; implicit-def: $vgpr80
	s_delay_alu instid0(VALU_DEP_1) | instskip(NEXT) | instid1(SALU_CYCLE_1)
	s_and_saveexec_b32 s14, s3
	s_xor_b32 s3, exec_lo, s14
; %bb.177:                              ;   in Loop: Header=BB23_132 Depth=2
	v_cvt_f64_f32_e32 v[82:83], v69
                                        ; implicit-def: $vgpr69
	s_delay_alu instid0(VALU_DEP_1) | instskip(NEXT) | instid1(VALU_DEP_1)
	v_mul_f64 v[82:83], v[82:83], s[6:7]
	v_cvt_f32_f64_e32 v80, v[82:83]
; %bb.178:                              ;   in Loop: Header=BB23_132 Depth=2
	s_and_not1_saveexec_b32 s14, s3
	s_cbranch_execz .LBB23_180
; %bb.179:                              ;   in Loop: Header=BB23_132 Depth=2
	v_and_b32_e32 v80, 0x7fffffff, v55
	s_delay_alu instid0(VALU_DEP_1) | instskip(SKIP_1) | instid1(VALU_DEP_2)
	v_div_scale_f32 v82, null, v69, v69, v80
	v_div_scale_f32 v69, vcc_lo, v80, v69, v80
	v_rcp_f32_e32 v83, v82
	s_waitcnt_depctr 0xfff
	v_fma_f32 v85, -v82, v83, 1.0
	s_delay_alu instid0(VALU_DEP_1) | instskip(NEXT) | instid1(VALU_DEP_1)
	v_fmac_f32_e32 v83, v85, v83
	v_mul_f32_e32 v80, v69, v83
	s_delay_alu instid0(VALU_DEP_1) | instskip(NEXT) | instid1(VALU_DEP_1)
	v_fma_f32 v85, -v82, v80, v69
	v_fmac_f32_e32 v80, v85, v83
	s_delay_alu instid0(VALU_DEP_1) | instskip(NEXT) | instid1(VALU_DEP_1)
	v_fma_f32 v69, -v82, v80, v69
	v_div_fmas_f32 v69, v69, v83, v80
	s_delay_alu instid0(VALU_DEP_1) | instskip(NEXT) | instid1(VALU_DEP_1)
	v_div_fixup_f32 v69, v69, |v24|, |v55|
	v_fma_f32 v69, v69, v69, 1.0
	s_delay_alu instid0(VALU_DEP_1) | instskip(SKIP_1) | instid1(VALU_DEP_2)
	v_mul_f32_e32 v80, 0x4f800000, v69
	v_cmp_gt_f32_e32 vcc_lo, 0xf800000, v69
	v_cndmask_b32_e32 v69, v69, v80, vcc_lo
	s_delay_alu instid0(VALU_DEP_1) | instskip(SKIP_3) | instid1(VALU_DEP_2)
	v_sqrt_f32_e32 v80, v69
	s_waitcnt_depctr 0xfff
	v_add_nc_u32_e32 v82, -1, v80
	v_add_nc_u32_e32 v83, 1, v80
	v_fma_f32 v85, -v82, v80, v69
	s_delay_alu instid0(VALU_DEP_2) | instskip(NEXT) | instid1(VALU_DEP_2)
	v_fma_f32 v86, -v83, v80, v69
	v_cmp_ge_f32_e64 s3, 0, v85
	s_delay_alu instid0(VALU_DEP_1) | instskip(NEXT) | instid1(VALU_DEP_3)
	v_cndmask_b32_e64 v80, v80, v82, s3
	v_cmp_lt_f32_e64 s3, 0, v86
	s_delay_alu instid0(VALU_DEP_1) | instskip(NEXT) | instid1(VALU_DEP_1)
	v_cndmask_b32_e64 v80, v80, v83, s3
	v_mul_f32_e32 v82, 0x37800000, v80
	s_delay_alu instid0(VALU_DEP_1) | instskip(SKIP_1) | instid1(VALU_DEP_2)
	v_cndmask_b32_e32 v80, v80, v82, vcc_lo
	v_cmp_class_f32_e64 vcc_lo, v69, 0x260
	v_cndmask_b32_e32 v69, v80, v69, vcc_lo
	s_delay_alu instid0(VALU_DEP_1)
	v_mul_f32_e64 v80, |v24|, v69
.LBB23_180:                             ;   in Loop: Header=BB23_132 Depth=2
	s_or_b32 exec_lo, exec_lo, s14
                                        ; implicit-def: $vgpr69
.LBB23_181:                             ;   in Loop: Header=BB23_132 Depth=2
	s_and_not1_saveexec_b32 s4, s4
	s_cbranch_execz .LBB23_183
; %bb.182:                              ;   in Loop: Header=BB23_132 Depth=2
	v_and_b32_e32 v80, 0x7fffffff, v55
	s_delay_alu instid0(VALU_DEP_1) | instskip(SKIP_1) | instid1(VALU_DEP_2)
	v_div_scale_f32 v82, null, v80, v80, v69
	v_div_scale_f32 v69, vcc_lo, v69, v80, v69
	v_rcp_f32_e32 v83, v82
	s_waitcnt_depctr 0xfff
	v_fma_f32 v85, -v82, v83, 1.0
	s_delay_alu instid0(VALU_DEP_1) | instskip(NEXT) | instid1(VALU_DEP_1)
	v_fmac_f32_e32 v83, v85, v83
	v_mul_f32_e32 v80, v69, v83
	s_delay_alu instid0(VALU_DEP_1) | instskip(NEXT) | instid1(VALU_DEP_1)
	v_fma_f32 v85, -v82, v80, v69
	v_fmac_f32_e32 v80, v85, v83
	s_delay_alu instid0(VALU_DEP_1) | instskip(NEXT) | instid1(VALU_DEP_1)
	v_fma_f32 v69, -v82, v80, v69
	v_div_fmas_f32 v69, v69, v83, v80
	s_delay_alu instid0(VALU_DEP_1) | instskip(NEXT) | instid1(VALU_DEP_1)
	v_div_fixup_f32 v69, v69, |v55|, |v24|
	v_fma_f32 v69, v69, v69, 1.0
	s_delay_alu instid0(VALU_DEP_1) | instskip(SKIP_1) | instid1(VALU_DEP_2)
	v_mul_f32_e32 v80, 0x4f800000, v69
	v_cmp_gt_f32_e32 vcc_lo, 0xf800000, v69
	v_cndmask_b32_e32 v69, v69, v80, vcc_lo
	s_delay_alu instid0(VALU_DEP_1) | instskip(SKIP_3) | instid1(VALU_DEP_2)
	v_sqrt_f32_e32 v80, v69
	s_waitcnt_depctr 0xfff
	v_add_nc_u32_e32 v82, -1, v80
	v_add_nc_u32_e32 v83, 1, v80
	v_fma_f32 v85, -v82, v80, v69
	s_delay_alu instid0(VALU_DEP_2) | instskip(NEXT) | instid1(VALU_DEP_2)
	v_fma_f32 v86, -v83, v80, v69
	v_cmp_ge_f32_e64 s3, 0, v85
	s_delay_alu instid0(VALU_DEP_1) | instskip(NEXT) | instid1(VALU_DEP_3)
	v_cndmask_b32_e64 v80, v80, v82, s3
	v_cmp_lt_f32_e64 s3, 0, v86
	s_delay_alu instid0(VALU_DEP_1) | instskip(NEXT) | instid1(VALU_DEP_1)
	v_cndmask_b32_e64 v80, v80, v83, s3
	v_mul_f32_e32 v82, 0x37800000, v80
	s_delay_alu instid0(VALU_DEP_1) | instskip(SKIP_1) | instid1(VALU_DEP_2)
	v_cndmask_b32_e32 v80, v80, v82, vcc_lo
	v_cmp_class_f32_e64 vcc_lo, v69, 0x260
	v_cndmask_b32_e32 v69, v80, v69, vcc_lo
	s_delay_alu instid0(VALU_DEP_1)
	v_mul_f32_e64 v80, |v55|, v69
.LBB23_183:                             ;   in Loop: Header=BB23_132 Depth=2
	s_or_b32 exec_lo, exec_lo, s4
	v_cmp_gt_f32_e64 vcc_lo, |v68|, |v84|
	v_add_f32_e32 v85, v68, v84
                                        ; implicit-def: $vgpr82
                                        ; implicit-def: $vgpr69
	s_mov_b32 s3, exec_lo
	v_cndmask_b32_e32 v83, v68, v84, vcc_lo
	v_cndmask_b32_e32 v84, v84, v68, vcc_lo
	s_delay_alu instid0(VALU_DEP_3)
	v_cmpx_ngt_f32_e32 0, v85
	s_xor_b32 s4, exec_lo, s3
	s_cbranch_execz .LBB23_189
; %bb.184:                              ;   in Loop: Header=BB23_132 Depth=2
	s_mov_b32 s14, exec_lo
                                        ; implicit-def: $sgpr3
                                        ; implicit-def: $vgpr69
	v_cmpx_nlt_f32_e32 0, v85
	s_xor_b32 s14, exec_lo, s14
; %bb.185:                              ;   in Loop: Header=BB23_132 Depth=2
	v_mul_f32_e32 v68, 0.5, v80
	v_mul_f32_e32 v69, -0.5, v80
	s_mov_b32 s3, 1
                                        ; implicit-def: $vgpr85
                                        ; implicit-def: $vgpr84
                                        ; implicit-def: $vgpr83
                                        ; implicit-def: $vgpr81
; %bb.186:                              ;   in Loop: Header=BB23_132 Depth=2
	s_or_saveexec_b32 s14, s14
	v_mov_b32_e32 v82, s3
	s_xor_b32 exec_lo, exec_lo, s14
	s_cbranch_execz .LBB23_188
; %bb.187:                              ;   in Loop: Header=BB23_132 Depth=2
	v_add_f32_e32 v68, v85, v80
	v_cvt_f64_f32_e32 v[84:85], v84
	v_cvt_f64_f32_e32 v[81:82], v81
	s_delay_alu instid0(VALU_DEP_3) | instskip(NEXT) | instid1(VALU_DEP_1)
	v_mul_f32_e32 v68, 0.5, v68
	v_cvt_f64_f32_e32 v[86:87], v68
	s_delay_alu instid0(VALU_DEP_1) | instskip(NEXT) | instid1(VALU_DEP_4)
	v_div_scale_f64 v[96:97], null, v[86:87], v[86:87], v[84:85]
	v_div_scale_f64 v[98:99], null, v[86:87], v[86:87], v[81:82]
	v_div_scale_f64 v[144:145], vcc_lo, v[84:85], v[86:87], v[84:85]
	s_delay_alu instid0(VALU_DEP_3) | instskip(NEXT) | instid1(VALU_DEP_2)
	v_rcp_f64_e32 v[128:129], v[96:97]
	v_rcp_f64_e32 v[130:131], v[98:99]
	s_waitcnt_depctr 0xfff
	v_fma_f64 v[132:133], -v[96:97], v[128:129], 1.0
	v_fma_f64 v[134:135], -v[98:99], v[130:131], 1.0
	s_delay_alu instid0(VALU_DEP_2) | instskip(NEXT) | instid1(VALU_DEP_2)
	v_fma_f64 v[128:129], v[128:129], v[132:133], v[128:129]
	v_fma_f64 v[130:131], v[130:131], v[134:135], v[130:131]
	s_delay_alu instid0(VALU_DEP_2) | instskip(NEXT) | instid1(VALU_DEP_2)
	v_fma_f64 v[132:133], -v[96:97], v[128:129], 1.0
	v_fma_f64 v[134:135], -v[98:99], v[130:131], 1.0
	s_delay_alu instid0(VALU_DEP_2) | instskip(SKIP_1) | instid1(VALU_DEP_3)
	v_fma_f64 v[128:129], v[128:129], v[132:133], v[128:129]
	v_div_scale_f64 v[132:133], s3, v[81:82], v[86:87], v[81:82]
	v_fma_f64 v[130:131], v[130:131], v[134:135], v[130:131]
	s_delay_alu instid0(VALU_DEP_3) | instskip(NEXT) | instid1(VALU_DEP_2)
	v_mul_f64 v[134:135], v[144:145], v[128:129]
	v_mul_f64 v[146:147], v[132:133], v[130:131]
	s_delay_alu instid0(VALU_DEP_2) | instskip(NEXT) | instid1(VALU_DEP_2)
	v_fma_f64 v[96:97], -v[96:97], v[134:135], v[144:145]
	v_fma_f64 v[98:99], -v[98:99], v[146:147], v[132:133]
	s_delay_alu instid0(VALU_DEP_2) | instskip(SKIP_1) | instid1(VALU_DEP_2)
	v_div_fmas_f64 v[96:97], v[96:97], v[128:129], v[134:135]
	s_mov_b32 vcc_lo, s3
	v_div_fmas_f64 v[98:99], v[98:99], v[130:131], v[146:147]
	s_delay_alu instid0(VALU_DEP_2) | instskip(NEXT) | instid1(VALU_DEP_2)
	v_div_fixup_f64 v[84:85], v[96:97], v[86:87], v[84:85]
	v_div_fixup_f64 v[98:99], v[98:99], v[86:87], v[81:82]
	v_cvt_f64_f32_e32 v[86:87], v83
	s_delay_alu instid0(VALU_DEP_2) | instskip(NEXT) | instid1(VALU_DEP_1)
	v_mul_f64 v[81:82], v[98:99], v[81:82]
	v_fma_f64 v[81:82], v[84:85], v[86:87], -v[81:82]
	s_delay_alu instid0(VALU_DEP_1)
	v_cvt_f32_f64_e32 v69, v[81:82]
	v_mov_b32_e32 v82, 1
.LBB23_188:                             ;   in Loop: Header=BB23_132 Depth=2
	s_or_b32 exec_lo, exec_lo, s14
                                        ; implicit-def: $vgpr85
                                        ; implicit-def: $vgpr84
                                        ; implicit-def: $vgpr83
                                        ; implicit-def: $vgpr81
.LBB23_189:                             ;   in Loop: Header=BB23_132 Depth=2
	s_and_not1_saveexec_b32 s4, s4
	s_cbranch_execz .LBB23_191
; %bb.190:                              ;   in Loop: Header=BB23_132 Depth=2
	v_sub_f32_e32 v68, v85, v80
	v_cvt_f64_f32_e32 v[84:85], v84
	v_cvt_f64_f32_e32 v[81:82], v81
	s_delay_alu instid0(VALU_DEP_3) | instskip(NEXT) | instid1(VALU_DEP_1)
	v_mul_f32_e32 v68, 0.5, v68
	v_cvt_f64_f32_e32 v[86:87], v68
	s_delay_alu instid0(VALU_DEP_1) | instskip(NEXT) | instid1(VALU_DEP_4)
	v_div_scale_f64 v[96:97], null, v[86:87], v[86:87], v[84:85]
	v_div_scale_f64 v[98:99], null, v[86:87], v[86:87], v[81:82]
	v_div_scale_f64 v[144:145], vcc_lo, v[84:85], v[86:87], v[84:85]
	s_delay_alu instid0(VALU_DEP_3) | instskip(NEXT) | instid1(VALU_DEP_2)
	v_rcp_f64_e32 v[128:129], v[96:97]
	v_rcp_f64_e32 v[130:131], v[98:99]
	s_waitcnt_depctr 0xfff
	v_fma_f64 v[132:133], -v[96:97], v[128:129], 1.0
	v_fma_f64 v[134:135], -v[98:99], v[130:131], 1.0
	s_delay_alu instid0(VALU_DEP_2) | instskip(NEXT) | instid1(VALU_DEP_2)
	v_fma_f64 v[128:129], v[128:129], v[132:133], v[128:129]
	v_fma_f64 v[130:131], v[130:131], v[134:135], v[130:131]
	s_delay_alu instid0(VALU_DEP_2) | instskip(NEXT) | instid1(VALU_DEP_2)
	v_fma_f64 v[132:133], -v[96:97], v[128:129], 1.0
	v_fma_f64 v[134:135], -v[98:99], v[130:131], 1.0
	s_delay_alu instid0(VALU_DEP_2) | instskip(SKIP_1) | instid1(VALU_DEP_3)
	v_fma_f64 v[128:129], v[128:129], v[132:133], v[128:129]
	v_div_scale_f64 v[132:133], s3, v[81:82], v[86:87], v[81:82]
	v_fma_f64 v[130:131], v[130:131], v[134:135], v[130:131]
	s_delay_alu instid0(VALU_DEP_3) | instskip(NEXT) | instid1(VALU_DEP_2)
	v_mul_f64 v[134:135], v[144:145], v[128:129]
	v_mul_f64 v[146:147], v[132:133], v[130:131]
	s_delay_alu instid0(VALU_DEP_2) | instskip(NEXT) | instid1(VALU_DEP_2)
	v_fma_f64 v[96:97], -v[96:97], v[134:135], v[144:145]
	v_fma_f64 v[98:99], -v[98:99], v[146:147], v[132:133]
	s_delay_alu instid0(VALU_DEP_2) | instskip(SKIP_1) | instid1(VALU_DEP_2)
	v_div_fmas_f64 v[96:97], v[96:97], v[128:129], v[134:135]
	s_mov_b32 vcc_lo, s3
	v_div_fmas_f64 v[98:99], v[98:99], v[130:131], v[146:147]
	s_delay_alu instid0(VALU_DEP_2) | instskip(NEXT) | instid1(VALU_DEP_2)
	v_div_fixup_f64 v[84:85], v[96:97], v[86:87], v[84:85]
	v_div_fixup_f64 v[98:99], v[98:99], v[86:87], v[81:82]
	v_cvt_f64_f32_e32 v[86:87], v83
	s_delay_alu instid0(VALU_DEP_2) | instskip(NEXT) | instid1(VALU_DEP_1)
	v_mul_f64 v[81:82], v[98:99], v[81:82]
	v_fma_f64 v[81:82], v[84:85], v[86:87], -v[81:82]
	s_delay_alu instid0(VALU_DEP_1)
	v_cvt_f32_f64_e32 v69, v[81:82]
	v_mov_b32_e32 v82, -1
.LBB23_191:                             ;   in Loop: Header=BB23_132 Depth=2
	s_or_b32 exec_lo, exec_lo, s4
	v_cmp_nle_f32_e64 s3, 0, v55
	s_mov_b32 s14, exec_lo
                                        ; implicit-def: $vgpr81
	s_delay_alu instid0(VALU_DEP_1) | instskip(NEXT) | instid1(VALU_DEP_1)
	v_cndmask_b32_e64 v80, v80, -v80, s3
	v_add_f32_e32 v55, v55, v80
                                        ; implicit-def: $vgpr80
	s_delay_alu instid0(VALU_DEP_1)
	v_cmpx_ngt_f32_e64 |v55|, |v24|
	s_xor_b32 s14, exec_lo, s14
	s_cbranch_execz .LBB23_195
; %bb.192:                              ;   in Loop: Header=BB23_132 Depth=2
	v_dual_mov_b32 v80, 0 :: v_dual_mov_b32 v81, 1.0
	s_mov_b32 s15, exec_lo
	v_cmpx_neq_f32_e32 0, v24
	s_cbranch_execz .LBB23_194
; %bb.193:                              ;   in Loop: Header=BB23_132 Depth=2
	v_div_scale_f32 v80, null, v24, v24, -v55
	v_div_scale_f32 v84, vcc_lo, -v55, v24, -v55
	s_delay_alu instid0(VALU_DEP_2) | instskip(SKIP_2) | instid1(VALU_DEP_1)
	v_rcp_f32_e32 v81, v80
	s_waitcnt_depctr 0xfff
	v_fma_f32 v83, -v80, v81, 1.0
	v_fmac_f32_e32 v81, v83, v81
	s_delay_alu instid0(VALU_DEP_1) | instskip(NEXT) | instid1(VALU_DEP_1)
	v_mul_f32_e32 v83, v84, v81
	v_fma_f32 v85, -v80, v83, v84
	s_delay_alu instid0(VALU_DEP_1) | instskip(NEXT) | instid1(VALU_DEP_1)
	v_fmac_f32_e32 v83, v85, v81
	v_fma_f32 v80, -v80, v83, v84
	s_delay_alu instid0(VALU_DEP_1) | instskip(NEXT) | instid1(VALU_DEP_1)
	v_div_fmas_f32 v80, v80, v81, v83
	v_div_fixup_f32 v24, v80, v24, -v55
	s_delay_alu instid0(VALU_DEP_1) | instskip(NEXT) | instid1(VALU_DEP_1)
	v_fma_f32 v55, v24, v24, 1.0
	v_mul_f32_e32 v80, 0x4f800000, v55
	v_cmp_gt_f32_e32 vcc_lo, 0xf800000, v55
	s_delay_alu instid0(VALU_DEP_2) | instskip(NEXT) | instid1(VALU_DEP_1)
	v_cndmask_b32_e32 v55, v55, v80, vcc_lo
	v_sqrt_f32_e32 v80, v55
	s_waitcnt_depctr 0xfff
	v_add_nc_u32_e32 v81, -1, v80
	v_add_nc_u32_e32 v83, 1, v80
	s_delay_alu instid0(VALU_DEP_2) | instskip(NEXT) | instid1(VALU_DEP_2)
	v_fma_f32 v84, -v81, v80, v55
	v_fma_f32 v85, -v83, v80, v55
	s_delay_alu instid0(VALU_DEP_2) | instskip(NEXT) | instid1(VALU_DEP_1)
	v_cmp_ge_f32_e64 s4, 0, v84
	v_cndmask_b32_e64 v80, v80, v81, s4
	s_delay_alu instid0(VALU_DEP_3) | instskip(NEXT) | instid1(VALU_DEP_1)
	v_cmp_lt_f32_e64 s4, 0, v85
	v_cndmask_b32_e64 v80, v80, v83, s4
	s_delay_alu instid0(VALU_DEP_1) | instskip(NEXT) | instid1(VALU_DEP_1)
	v_mul_f32_e32 v81, 0x37800000, v80
	v_cndmask_b32_e32 v80, v80, v81, vcc_lo
	v_cmp_class_f32_e64 vcc_lo, v55, 0x260
	s_delay_alu instid0(VALU_DEP_2) | instskip(NEXT) | instid1(VALU_DEP_1)
	v_cndmask_b32_e32 v55, v80, v55, vcc_lo
	v_div_scale_f32 v80, null, v55, v55, 1.0
	s_delay_alu instid0(VALU_DEP_1) | instskip(SKIP_2) | instid1(VALU_DEP_1)
	v_rcp_f32_e32 v81, v80
	s_waitcnt_depctr 0xfff
	v_fma_f32 v83, -v80, v81, 1.0
	v_fmac_f32_e32 v81, v83, v81
	v_div_scale_f32 v83, vcc_lo, 1.0, v55, 1.0
	s_delay_alu instid0(VALU_DEP_1) | instskip(NEXT) | instid1(VALU_DEP_1)
	v_mul_f32_e32 v84, v83, v81
	v_fma_f32 v85, -v80, v84, v83
	s_delay_alu instid0(VALU_DEP_1) | instskip(NEXT) | instid1(VALU_DEP_1)
	v_fmac_f32_e32 v84, v85, v81
	v_fma_f32 v80, -v80, v84, v83
	s_delay_alu instid0(VALU_DEP_1) | instskip(NEXT) | instid1(VALU_DEP_1)
	v_div_fmas_f32 v80, v80, v81, v84
	v_div_fixup_f32 v81, v80, v55, 1.0
	s_delay_alu instid0(VALU_DEP_1)
	v_mul_f32_e32 v80, v24, v81
.LBB23_194:                             ;   in Loop: Header=BB23_132 Depth=2
	s_or_b32 exec_lo, exec_lo, s15
                                        ; implicit-def: $vgpr55
                                        ; implicit-def: $vgpr24
.LBB23_195:                             ;   in Loop: Header=BB23_132 Depth=2
	s_and_not1_saveexec_b32 s14, s14
	s_cbranch_execz .LBB23_197
; %bb.196:                              ;   in Loop: Header=BB23_132 Depth=2
	v_div_scale_f32 v80, null, v55, v55, -v24
	v_div_scale_f32 v84, vcc_lo, -v24, v55, -v24
	s_delay_alu instid0(VALU_DEP_2) | instskip(SKIP_2) | instid1(VALU_DEP_1)
	v_rcp_f32_e32 v81, v80
	s_waitcnt_depctr 0xfff
	v_fma_f32 v83, -v80, v81, 1.0
	v_fmac_f32_e32 v81, v83, v81
	s_delay_alu instid0(VALU_DEP_1) | instskip(NEXT) | instid1(VALU_DEP_1)
	v_mul_f32_e32 v83, v84, v81
	v_fma_f32 v85, -v80, v83, v84
	s_delay_alu instid0(VALU_DEP_1) | instskip(NEXT) | instid1(VALU_DEP_1)
	v_fmac_f32_e32 v83, v85, v81
	v_fma_f32 v80, -v80, v83, v84
	s_delay_alu instid0(VALU_DEP_1) | instskip(NEXT) | instid1(VALU_DEP_1)
	v_div_fmas_f32 v80, v80, v81, v83
	v_div_fixup_f32 v24, v80, v55, -v24
	s_delay_alu instid0(VALU_DEP_1) | instskip(NEXT) | instid1(VALU_DEP_1)
	v_fma_f32 v55, v24, v24, 1.0
	v_mul_f32_e32 v80, 0x4f800000, v55
	v_cmp_gt_f32_e32 vcc_lo, 0xf800000, v55
	s_delay_alu instid0(VALU_DEP_2) | instskip(NEXT) | instid1(VALU_DEP_1)
	v_cndmask_b32_e32 v55, v55, v80, vcc_lo
	v_sqrt_f32_e32 v80, v55
	s_waitcnt_depctr 0xfff
	v_add_nc_u32_e32 v81, -1, v80
	v_add_nc_u32_e32 v83, 1, v80
	s_delay_alu instid0(VALU_DEP_2) | instskip(NEXT) | instid1(VALU_DEP_2)
	v_fma_f32 v84, -v81, v80, v55
	v_fma_f32 v85, -v83, v80, v55
	s_delay_alu instid0(VALU_DEP_2) | instskip(NEXT) | instid1(VALU_DEP_1)
	v_cmp_ge_f32_e64 s4, 0, v84
	v_cndmask_b32_e64 v80, v80, v81, s4
	s_delay_alu instid0(VALU_DEP_3) | instskip(NEXT) | instid1(VALU_DEP_1)
	v_cmp_lt_f32_e64 s4, 0, v85
	v_cndmask_b32_e64 v80, v80, v83, s4
	s_delay_alu instid0(VALU_DEP_1) | instskip(NEXT) | instid1(VALU_DEP_1)
	v_mul_f32_e32 v81, 0x37800000, v80
	v_cndmask_b32_e32 v80, v80, v81, vcc_lo
	v_cmp_class_f32_e64 vcc_lo, v55, 0x260
	s_delay_alu instid0(VALU_DEP_2) | instskip(NEXT) | instid1(VALU_DEP_1)
	v_cndmask_b32_e32 v55, v80, v55, vcc_lo
	v_div_scale_f32 v80, null, v55, v55, 1.0
	s_delay_alu instid0(VALU_DEP_1) | instskip(SKIP_2) | instid1(VALU_DEP_1)
	v_rcp_f32_e32 v81, v80
	s_waitcnt_depctr 0xfff
	v_fma_f32 v83, -v80, v81, 1.0
	v_fmac_f32_e32 v81, v83, v81
	v_div_scale_f32 v83, vcc_lo, 1.0, v55, 1.0
	s_delay_alu instid0(VALU_DEP_1) | instskip(NEXT) | instid1(VALU_DEP_1)
	v_mul_f32_e32 v84, v83, v81
	v_fma_f32 v85, -v80, v84, v83
	s_delay_alu instid0(VALU_DEP_1) | instskip(NEXT) | instid1(VALU_DEP_1)
	v_fmac_f32_e32 v84, v85, v81
	v_fma_f32 v80, -v80, v84, v83
	s_delay_alu instid0(VALU_DEP_1) | instskip(NEXT) | instid1(VALU_DEP_1)
	v_div_fmas_f32 v80, v80, v81, v84
	v_div_fixup_f32 v80, v80, v55, 1.0
	s_delay_alu instid0(VALU_DEP_1)
	v_mul_f32_e32 v81, v24, v80
.LBB23_197:                             ;   in Loop: Header=BB23_132 Depth=2
	s_or_b32 exec_lo, exec_lo, s14
	v_cndmask_b32_e64 v24, 1, -1, s3
	v_add_co_u32 v64, s3, v12, v64
	s_delay_alu instid0(VALU_DEP_1) | instskip(NEXT) | instid1(VALU_DEP_3)
	v_add_co_ci_u32_e64 v65, s3, v13, v65, s3
	v_cmp_eq_u32_e32 vcc_lo, v82, v24
	v_add_nc_u32_e32 v54, -2, v54
	v_cndmask_b32_e64 v24, v81, -v80, vcc_lo
	v_cndmask_b32_e32 v55, v80, v81, vcc_lo
	v_add_co_u32 v80, vcc_lo, v64, v28
	v_add_co_ci_u32_e32 v81, vcc_lo, v65, v29, vcc_lo
	v_add_co_u32 v66, vcc_lo, -4, v66
	v_add_co_ci_u32_e32 v67, vcc_lo, -1, v67, vcc_lo
	v_add_co_u32 v70, vcc_lo, v11, v70
	v_add_co_ci_u32_e32 v71, vcc_lo, v100, v71, vcc_lo
	s_clause 0x1
	flat_store_b32 v[64:65], v24
	flat_store_b32 v[80:81], v55
	flat_store_b64 v[66:67], v[68:69]
	flat_store_b32 v[70:71], v25
	ds_store_b32 v25, v54
	s_or_b32 exec_lo, exec_lo, s13
                                        ; implicit-def: $vgpr66_vgpr67
                                        ; implicit-def: $vgpr84
                                        ; implicit-def: $vgpr54
.LBB23_198:                             ;   in Loop: Header=BB23_132 Depth=2
	s_and_not1_saveexec_b32 s3, s12
	s_cbranch_execz .LBB23_200
.LBB23_199:                             ;   in Loop: Header=BB23_132 Depth=2
	v_add_nc_u32_e32 v24, -1, v54
	flat_store_b32 v[66:67], v84
	ds_store_b32 v25, v24
.LBB23_200:                             ;   in Loop: Header=BB23_132 Depth=2
	s_or_b32 exec_lo, exec_lo, s3
.LBB23_201:                             ;   in Loop: Header=BB23_132 Depth=2
	s_delay_alu instid0(SALU_CYCLE_1)
	s_or_b32 exec_lo, exec_lo, s11
	s_waitcnt lgkmcnt(0)
	s_waitcnt_vscnt null, 0x0
	s_barrier
	buffer_gl0_inv
	ds_load_b64 v[54:55], v25
	s_waitcnt lgkmcnt(0)
	v_cmp_eq_u32_e32 vcc_lo, v55, v54
	v_mov_b32_e32 v54, v55
	s_cbranch_vccnz .LBB23_131
; %bb.202:                              ;   in Loop: Header=BB23_132 Depth=2
	s_and_saveexec_b32 s11, s2
	s_cbranch_execz .LBB23_130
; %bb.203:                              ;   in Loop: Header=BB23_132 Depth=2
	ds_load_b32 v24, v25 offset:16
	v_mul_lo_u32 v64, v55, v9
	v_ashrrev_i32_e32 v67, 31, v55
	v_mov_b32_e32 v66, v55
	s_mov_b32 s12, 0
	s_delay_alu instid0(VALU_DEP_3) | instskip(NEXT) | instid1(VALU_DEP_1)
	v_ashrrev_i32_e32 v65, 31, v64
	v_lshlrev_b64 v[64:65], 2, v[64:65]
	s_waitcnt lgkmcnt(0)
	v_sub_nc_u32_e32 v24, v24, v55
	v_lshlrev_b64 v[54:55], 2, v[66:67]
	s_delay_alu instid0(VALU_DEP_2) | instskip(NEXT) | instid1(VALU_DEP_2)
	v_mad_i64_i32 v[66:67], null, v24, v9, 0
	v_add_co_u32 v54, vcc_lo, v12, v54
	s_delay_alu instid0(VALU_DEP_3) | instskip(SKIP_1) | instid1(VALU_DEP_4)
	v_add_co_ci_u32_e32 v55, vcc_lo, v13, v55, vcc_lo
	v_add_co_u32 v71, vcc_lo, v7, v64
	v_lshlrev_b64 v[66:67], 2, v[66:67]
	v_add_co_ci_u32_e32 v82, vcc_lo, v8, v65, vcc_lo
	v_add_co_u32 v64, vcc_lo, v113, v64
	v_add_co_ci_u32_e32 v65, vcc_lo, v114, v65, vcc_lo
	s_delay_alu instid0(VALU_DEP_4)
	v_add_co_u32 v83, vcc_lo, v71, v66
	v_cmp_lt_i32_e64 s3, 0, v24
	v_add_co_ci_u32_e32 v84, vcc_lo, v82, v67, vcc_lo
	v_mov_b32_e32 v66, v0
	s_branch .LBB23_205
.LBB23_204:                             ;   in Loop: Header=BB23_205 Depth=3
	v_add_nc_u32_e32 v66, v66, v23
	v_add_co_u32 v67, vcc_lo, v83, v67
	v_add_co_ci_u32_e32 v68, vcc_lo, v84, v68, vcc_lo
	s_delay_alu instid0(VALU_DEP_3) | instskip(SKIP_1) | instid1(VALU_DEP_1)
	v_cmp_ge_i32_e32 vcc_lo, v66, v2
	v_add_co_u32 v64, s4, v64, v26
	v_add_co_ci_u32_e64 v65, s4, v65, v27, s4
	s_or_b32 s12, vcc_lo, s12
	s_waitcnt vmcnt(0) lgkmcnt(0)
	flat_store_b32 v[67:68], v85
	s_and_not1_b32 exec_lo, exec_lo, s12
	s_cbranch_execz .LBB23_130
.LBB23_205:                             ;   Parent Loop BB23_6 Depth=1
                                        ;     Parent Loop BB23_132 Depth=2
                                        ; =>    This Loop Header: Depth=3
                                        ;         Child Loop BB23_206 Depth 4
	s_delay_alu instid0(VALU_DEP_1) | instskip(SKIP_2) | instid1(VALU_DEP_3)
	v_ashrrev_i32_e32 v67, 31, v66
	v_dual_mov_b32 v81, v65 :: v_dual_mov_b32 v80, v64
	v_mov_b32_e32 v86, v24
	v_lshlrev_b64 v[67:68], 2, v[66:67]
	s_delay_alu instid0(VALU_DEP_1) | instskip(NEXT) | instid1(VALU_DEP_2)
	v_add_co_u32 v69, vcc_lo, v71, v67
	v_add_co_ci_u32_e32 v70, vcc_lo, v82, v68, vcc_lo
	s_and_not1_b32 vcc_lo, exec_lo, s3
	flat_load_b32 v85, v[69:70]
	v_dual_mov_b32 v70, v55 :: v_dual_mov_b32 v69, v54
	s_cbranch_vccnz .LBB23_204
	.p2align	6
.LBB23_206:                             ;   Parent Loop BB23_6 Depth=1
                                        ;     Parent Loop BB23_132 Depth=2
                                        ;       Parent Loop BB23_205 Depth=3
                                        ; =>      This Inner Loop Header: Depth=4
	s_delay_alu instid0(VALU_DEP_1) | instskip(NEXT) | instid1(VALU_DEP_2)
	v_add_co_u32 v96, vcc_lo, v69, v116
	v_add_co_ci_u32_e32 v97, vcc_lo, v70, v117, vcc_lo
	v_add_co_u32 v98, vcc_lo, v80, v30
	v_add_co_ci_u32_e32 v99, vcc_lo, v81, v31, vcc_lo
	v_add_nc_u32_e32 v86, -1, v86
	flat_load_b32 v87, v[96:97]
	flat_load_b32 v96, v[98:99]
	;; [unrolled: 1-line block ×3, first 2 shown]
	v_add_co_u32 v69, vcc_lo, v69, 4
	v_add_co_ci_u32_e32 v70, vcc_lo, 0, v70, vcc_lo
	s_waitcnt vmcnt(1) lgkmcnt(1)
	v_dual_mul_f32 v128, v87, v96 :: v_dual_mul_f32 v87, v85, v87
	s_waitcnt vmcnt(0) lgkmcnt(0)
	s_delay_alu instid0(VALU_DEP_1) | instskip(NEXT) | instid1(VALU_DEP_2)
	v_fmac_f32_e32 v128, v85, v97
	v_fma_f32 v85, v97, v96, -v87
	flat_store_b32 v[80:81], v128
	v_dual_mov_b32 v80, v98 :: v_dual_mov_b32 v81, v99
	v_cmp_eq_u32_e32 vcc_lo, 0, v86
	s_cbranch_vccz .LBB23_206
	s_branch .LBB23_204
.LBB23_207:                             ;   in Loop: Header=BB23_132 Depth=2
	s_or_b32 exec_lo, exec_lo, s13
                                        ; implicit-def: $vgpr66_vgpr67
                                        ; implicit-def: $vgpr84
                                        ; implicit-def: $vgpr54
	s_and_not1_saveexec_b32 s3, s12
	s_cbranch_execnz .LBB23_199
	s_branch .LBB23_200
.LBB23_208:                             ;   in Loop: Header=BB23_6 Depth=1
	s_or_b32 exec_lo, exec_lo, s10
.LBB23_209:                             ;   in Loop: Header=BB23_6 Depth=1
	s_delay_alu instid0(SALU_CYCLE_1)
	s_or_b32 exec_lo, exec_lo, s5
	v_mov_b32_e32 v67, v53
	v_dual_mov_b32 v69, v51 :: v_dual_mov_b32 v68, v50
	v_dual_mov_b32 v55, v119 :: v_dual_mov_b32 v66, v52
.LBB23_210:                             ;   in Loop: Header=BB23_6 Depth=1
	s_barrier
	buffer_gl0_inv
	ds_load_b32 v24, v25 offset:24
	s_mov_b32 s4, exec_lo
	s_waitcnt lgkmcnt(0)
	v_cmpx_gt_f32_e32 v24, v17
	s_cbranch_execz .LBB23_216
; %bb.211:                              ;   in Loop: Header=BB23_6 Depth=1
	v_div_scale_f32 v52, null, v24, v24, v17
	v_div_scale_f32 v54, vcc_lo, v17, v24, v17
	s_delay_alu instid0(VALU_DEP_2) | instskip(SKIP_2) | instid1(VALU_DEP_1)
	v_rcp_f32_e32 v53, v52
	s_waitcnt_depctr 0xfff
	v_fma_f32 v50, -v52, v53, 1.0
	v_fmac_f32_e32 v53, v50, v53
	ds_load_2addr_b32 v[50:51], v25 offset0:4 offset1:8
	v_mul_f32_e32 v64, v54, v53
	s_delay_alu instid0(VALU_DEP_1) | instskip(NEXT) | instid1(VALU_DEP_1)
	v_fma_f32 v65, -v52, v64, v54
	v_fmac_f32_e32 v64, v65, v53
	s_delay_alu instid0(VALU_DEP_1) | instskip(NEXT) | instid1(VALU_DEP_1)
	v_fma_f32 v52, -v52, v64, v54
	v_div_fmas_f32 v52, v52, v53, v64
	s_delay_alu instid0(VALU_DEP_1)
	v_div_fixup_f32 v24, v52, v24, v17
	s_and_saveexec_b32 s3, s0
	s_cbranch_execz .LBB23_213
; %bb.212:                              ;   in Loop: Header=BB23_6 Depth=1
	s_waitcnt lgkmcnt(0)
	v_ashrrev_i32_e32 v53, 31, v51
	v_mov_b32_e32 v52, v51
	s_delay_alu instid0(VALU_DEP_1) | instskip(NEXT) | instid1(VALU_DEP_1)
	v_lshlrev_b64 v[52:53], 2, v[52:53]
	v_add_co_u32 v52, vcc_lo, v20, v52
	s_delay_alu instid0(VALU_DEP_2)
	v_add_co_ci_u32_e32 v53, vcc_lo, v4, v53, vcc_lo
	flat_load_b32 v54, v[52:53]
	s_waitcnt vmcnt(0) lgkmcnt(0)
	v_mul_f32_e32 v54, v24, v54
	flat_store_b32 v[52:53], v54
.LBB23_213:                             ;   in Loop: Header=BB23_6 Depth=1
	s_or_b32 exec_lo, exec_lo, s3
	s_waitcnt lgkmcnt(0)
	v_add_nc_u32_e32 v52, v50, v0
	s_delay_alu instid0(VALU_DEP_1)
	v_cmp_lt_i32_e32 vcc_lo, v52, v51
	s_and_b32 exec_lo, exec_lo, vcc_lo
	s_cbranch_execz .LBB23_216
; %bb.214:                              ;   in Loop: Header=BB23_6 Depth=1
	v_ashrrev_i32_e32 v53, 31, v52
	s_mov_b32 s5, 0
	s_delay_alu instid0(VALU_DEP_1)
	v_lshlrev_b64 v[53:54], 2, v[52:53]
	.p2align	6
.LBB23_215:                             ;   Parent Loop BB23_6 Depth=1
                                        ; =>  This Inner Loop Header: Depth=2
	s_delay_alu instid0(VALU_DEP_1) | instskip(NEXT) | instid1(VALU_DEP_2)
	v_add_co_u32 v64, vcc_lo, v20, v53
	v_add_co_ci_u32_e32 v65, vcc_lo, v4, v54, vcc_lo
	v_add_co_u32 v70, vcc_lo, v5, v53
	v_add_co_ci_u32_e32 v71, vcc_lo, v6, v54, vcc_lo
	flat_load_b32 v50, v[64:65]
	v_add_nc_u32_e32 v52, v52, v23
	v_add_co_u32 v53, vcc_lo, v53, v26
	v_add_co_ci_u32_e32 v54, vcc_lo, v54, v27, vcc_lo
	s_delay_alu instid0(VALU_DEP_3) | instskip(NEXT) | instid1(VALU_DEP_1)
	v_cmp_ge_i32_e64 s3, v52, v51
	s_or_b32 s5, s3, s5
	s_waitcnt vmcnt(0) lgkmcnt(0)
	v_mul_f32_e32 v50, v24, v50
	flat_store_b32 v[64:65], v50
	flat_load_b32 v50, v[70:71]
	s_waitcnt vmcnt(0) lgkmcnt(0)
	v_mul_f32_e32 v50, v24, v50
	flat_store_b32 v[70:71], v50
	s_and_not1_b32 exec_lo, exec_lo, s5
	s_cbranch_execnz .LBB23_215
.LBB23_216:                             ;   in Loop: Header=BB23_6 Depth=1
	s_or_b32 exec_lo, exec_lo, s4
	ds_load_b32 v24, v25 offset:24
	s_mov_b32 s4, exec_lo
	s_waitcnt lgkmcnt(0)
	v_cmpx_lt_f32_e32 v24, v16
	s_cbranch_execz .LBB23_4
; %bb.217:                              ;   in Loop: Header=BB23_6 Depth=1
	v_div_scale_f32 v52, null, v24, v24, v16
	v_div_scale_f32 v54, vcc_lo, v16, v24, v16
	s_delay_alu instid0(VALU_DEP_2) | instskip(SKIP_2) | instid1(VALU_DEP_1)
	v_rcp_f32_e32 v53, v52
	s_waitcnt_depctr 0xfff
	v_fma_f32 v50, -v52, v53, 1.0
	v_fmac_f32_e32 v53, v50, v53
	ds_load_2addr_b32 v[50:51], v25 offset0:4 offset1:8
	v_mul_f32_e32 v64, v54, v53
	s_delay_alu instid0(VALU_DEP_1) | instskip(NEXT) | instid1(VALU_DEP_1)
	v_fma_f32 v65, -v52, v64, v54
	v_fmac_f32_e32 v64, v65, v53
	s_delay_alu instid0(VALU_DEP_1) | instskip(NEXT) | instid1(VALU_DEP_1)
	v_fma_f32 v52, -v52, v64, v54
	v_div_fmas_f32 v52, v52, v53, v64
	s_delay_alu instid0(VALU_DEP_1)
	v_div_fixup_f32 v24, v52, v24, v16
	s_and_saveexec_b32 s3, s0
	s_cbranch_execz .LBB23_219
; %bb.218:                              ;   in Loop: Header=BB23_6 Depth=1
	s_waitcnt lgkmcnt(0)
	v_ashrrev_i32_e32 v53, 31, v51
	v_mov_b32_e32 v52, v51
	s_delay_alu instid0(VALU_DEP_1) | instskip(NEXT) | instid1(VALU_DEP_1)
	v_lshlrev_b64 v[52:53], 2, v[52:53]
	v_add_co_u32 v52, vcc_lo, v20, v52
	s_delay_alu instid0(VALU_DEP_2)
	v_add_co_ci_u32_e32 v53, vcc_lo, v4, v53, vcc_lo
	flat_load_b32 v54, v[52:53]
	s_waitcnt vmcnt(0) lgkmcnt(0)
	v_mul_f32_e32 v54, v24, v54
	flat_store_b32 v[52:53], v54
.LBB23_219:                             ;   in Loop: Header=BB23_6 Depth=1
	s_or_b32 exec_lo, exec_lo, s3
	s_waitcnt lgkmcnt(0)
	v_add_nc_u32_e32 v52, v50, v0
	s_delay_alu instid0(VALU_DEP_1)
	v_cmp_lt_i32_e32 vcc_lo, v52, v51
	s_and_b32 exec_lo, exec_lo, vcc_lo
	s_cbranch_execz .LBB23_4
; %bb.220:                              ;   in Loop: Header=BB23_6 Depth=1
	v_ashrrev_i32_e32 v53, 31, v52
	s_mov_b32 s5, 0
	s_delay_alu instid0(VALU_DEP_1)
	v_lshlrev_b64 v[53:54], 2, v[52:53]
	.p2align	6
.LBB23_221:                             ;   Parent Loop BB23_6 Depth=1
                                        ; =>  This Inner Loop Header: Depth=2
	s_delay_alu instid0(VALU_DEP_1) | instskip(NEXT) | instid1(VALU_DEP_2)
	v_add_co_u32 v64, vcc_lo, v20, v53
	v_add_co_ci_u32_e32 v65, vcc_lo, v4, v54, vcc_lo
	v_add_co_u32 v70, vcc_lo, v5, v53
	v_add_co_ci_u32_e32 v71, vcc_lo, v6, v54, vcc_lo
	flat_load_b32 v50, v[64:65]
	v_add_nc_u32_e32 v52, v52, v23
	v_add_co_u32 v53, vcc_lo, v53, v26
	v_add_co_ci_u32_e32 v54, vcc_lo, v54, v27, vcc_lo
	s_delay_alu instid0(VALU_DEP_3) | instskip(NEXT) | instid1(VALU_DEP_1)
	v_cmp_ge_i32_e64 s3, v52, v51
	s_or_b32 s5, s3, s5
	s_waitcnt vmcnt(0) lgkmcnt(0)
	v_mul_f32_e32 v50, v24, v50
	flat_store_b32 v[64:65], v50
	flat_load_b32 v50, v[70:71]
	s_waitcnt vmcnt(0) lgkmcnt(0)
	v_mul_f32_e32 v50, v24, v50
	flat_store_b32 v[70:71], v50
	s_and_not1_b32 exec_lo, exec_lo, s5
	s_cbranch_execnz .LBB23_221
	s_branch .LBB23_4
.LBB23_222:
	s_or_b32 exec_lo, exec_lo, s8
; %bb.223:
	s_delay_alu instid0(SALU_CYCLE_1)
	s_mov_b32 s3, exec_lo
	v_cmpx_gt_i32_e64 v18, v0
	s_cbranch_execz .LBB23_228
; %bb.224:
	v_ashrrev_i32_e32 v1, 31, v0
	v_ashrrev_i32_e32 v24, 31, v23
	s_mov_b32 s4, 0
	s_delay_alu instid0(VALU_DEP_2) | instskip(NEXT) | instid1(VALU_DEP_2)
	v_lshlrev_b64 v[12:13], 2, v[0:1]
	v_lshlrev_b64 v[10:11], 2, v[23:24]
	v_mov_b32_e32 v1, 1
	s_delay_alu instid0(VALU_DEP_3) | instskip(NEXT) | instid1(VALU_DEP_4)
	v_add_co_u32 v5, vcc_lo, v5, v12
	v_add_co_ci_u32_e32 v6, vcc_lo, v6, v13, vcc_lo
	s_branch .LBB23_226
	.p2align	6
.LBB23_225:                             ;   in Loop: Header=BB23_226 Depth=1
	s_or_b32 exec_lo, exec_lo, s2
	v_add_nc_u32_e32 v0, v0, v23
	v_add_co_u32 v5, s2, v5, v10
	s_delay_alu instid0(VALU_DEP_1) | instskip(NEXT) | instid1(VALU_DEP_3)
	v_add_co_ci_u32_e64 v6, s2, v6, v11, s2
	v_cmp_ge_i32_e32 vcc_lo, v0, v18
	s_or_b32 s4, vcc_lo, s4
	s_delay_alu instid0(SALU_CYCLE_1)
	s_and_not1_b32 exec_lo, exec_lo, s4
	s_cbranch_execz .LBB23_228
.LBB23_226:                             ; =>This Inner Loop Header: Depth=1
	flat_load_b32 v3, v[5:6]
	s_mov_b32 s2, exec_lo
	s_waitcnt vmcnt(0) lgkmcnt(0)
	v_cmpx_neq_f32_e32 0, v3
	s_cbranch_execz .LBB23_225
; %bb.227:                              ;   in Loop: Header=BB23_226 Depth=1
	flat_atomic_add_u32 v[21:22], v1
	s_branch .LBB23_225
.LBB23_228:
	s_or_b32 exec_lo, exec_lo, s3
	v_cmp_lt_i32_e32 vcc_lo, 1, v2
	s_mov_b32 s4, 1
	s_and_b32 s1, vcc_lo, s1
	s_delay_alu instid0(SALU_CYCLE_1)
	s_and_saveexec_b32 s5, s1
	s_cbranch_execz .LBB23_242
; %bb.229:
	v_add_co_u32 v0, vcc_lo, v20, 4
	v_add_co_ci_u32_e32 v1, vcc_lo, 0, v4, vcc_lo
	v_mov_b32_e32 v3, 0
	s_mov_b32 s6, 0
	s_branch .LBB23_231
.LBB23_230:                             ;   in Loop: Header=BB23_231 Depth=1
	s_add_i32 s4, s4, 1
	v_add_co_u32 v0, s1, v0, 4
	v_cmp_eq_u32_e32 vcc_lo, s4, v2
	v_add_co_ci_u32_e64 v1, s1, 0, v1, s1
	s_waitcnt lgkmcnt(0)
	s_waitcnt_vscnt null, 0x0
	s_barrier
	s_or_b32 s6, vcc_lo, s6
	buffer_gl0_inv
	s_and_not1_b32 exec_lo, exec_lo, s6
	s_cbranch_execz .LBB23_242
.LBB23_231:                             ; =>This Loop Header: Depth=1
                                        ;     Child Loop BB23_234 Depth 2
                                        ;     Child Loop BB23_240 Depth 2
	s_and_saveexec_b32 s7, s0
	s_cbranch_execz .LBB23_238
; %bb.232:                              ;   in Loop: Header=BB23_231 Depth=1
	s_add_i32 s2, s4, -1
	v_dual_mov_b32 v13, v1 :: v_dual_mov_b32 v12, v0
	s_ashr_i32 s3, s2, 31
	v_dual_mov_b32 v10, s2 :: v_dual_mov_b32 v11, s2
	s_lshl_b64 s[8:9], s[2:3], 2
	s_mov_b32 s3, 0
	v_add_co_u32 v5, vcc_lo, v20, s8
	v_add_co_ci_u32_e32 v6, vcc_lo, s9, v4, vcc_lo
	s_mov_b32 s8, s4
	flat_load_b32 v14, v[5:6]
	ds_store_b64 v3, v[10:11]
	s_waitcnt vmcnt(0) lgkmcnt(1)
	ds_store_b32 v3, v14 offset:8
	s_branch .LBB23_234
	.p2align	6
.LBB23_233:                             ;   in Loop: Header=BB23_234 Depth=2
	s_or_b32 exec_lo, exec_lo, s1
	s_add_i32 s8, s8, 1
	v_add_co_u32 v12, s1, v12, 4
	v_cmp_ge_i32_e32 vcc_lo, s8, v2
	v_add_co_ci_u32_e64 v13, s1, 0, v13, s1
	s_or_b32 s3, vcc_lo, s3
	s_delay_alu instid0(SALU_CYCLE_1)
	s_and_not1_b32 exec_lo, exec_lo, s3
	s_cbranch_execz .LBB23_236
.LBB23_234:                             ;   Parent Loop BB23_231 Depth=1
                                        ; =>  This Inner Loop Header: Depth=2
	flat_load_b32 v11, v[12:13]
	s_mov_b32 s1, exec_lo
	s_waitcnt vmcnt(0) lgkmcnt(0)
	v_cmpx_lt_f32_e32 v11, v14
	s_cbranch_execz .LBB23_233
; %bb.235:                              ;   in Loop: Header=BB23_234 Depth=2
	v_dual_mov_b32 v10, s8 :: v_dual_mov_b32 v15, s8
	v_mov_b32_e32 v14, v11
	ds_store_2addr_b32 v3, v15, v11 offset0:1 offset1:2
	s_branch .LBB23_233
.LBB23_236:                             ;   in Loop: Header=BB23_231 Depth=1
	s_or_b32 exec_lo, exec_lo, s3
	v_cmp_ne_u32_e32 vcc_lo, s2, v10
	s_and_b32 exec_lo, exec_lo, vcc_lo
	s_cbranch_execz .LBB23_238
; %bb.237:                              ;   in Loop: Header=BB23_231 Depth=1
	flat_load_b32 v12, v[5:6]
	v_ashrrev_i32_e32 v11, 31, v10
	s_delay_alu instid0(VALU_DEP_1) | instskip(NEXT) | instid1(VALU_DEP_1)
	v_lshlrev_b64 v[10:11], 2, v[10:11]
	v_add_co_u32 v10, vcc_lo, v20, v10
	s_delay_alu instid0(VALU_DEP_2)
	v_add_co_ci_u32_e32 v11, vcc_lo, v4, v11, vcc_lo
	s_waitcnt vmcnt(0) lgkmcnt(0)
	flat_store_b32 v[10:11], v12
	ds_load_b32 v10, v3 offset:8
	s_waitcnt lgkmcnt(0)
	flat_store_b32 v[5:6], v10
.LBB23_238:                             ;   in Loop: Header=BB23_231 Depth=1
	s_or_b32 exec_lo, exec_lo, s7
	s_waitcnt lgkmcnt(0)
	s_waitcnt_vscnt null, 0x0
	s_barrier
	buffer_gl0_inv
	ds_load_b64 v[5:6], v3
	s_waitcnt lgkmcnt(0)
	v_cmp_eq_u32_e32 vcc_lo, v6, v5
	s_cbranch_vccnz .LBB23_230
; %bb.239:                              ;   in Loop: Header=BB23_231 Depth=1
	v_mul_lo_u32 v10, v6, v9
	v_mul_lo_u32 v5, v5, v9
	s_mov_b32 s2, 0
	s_delay_alu instid0(VALU_DEP_2) | instskip(NEXT) | instid1(VALU_DEP_2)
	v_ashrrev_i32_e32 v11, 31, v10
	v_ashrrev_i32_e32 v6, 31, v5
	s_delay_alu instid0(VALU_DEP_2) | instskip(NEXT) | instid1(VALU_DEP_2)
	v_lshlrev_b64 v[10:11], 2, v[10:11]
	v_lshlrev_b64 v[12:13], 2, v[5:6]
	s_delay_alu instid0(VALU_DEP_2) | instskip(NEXT) | instid1(VALU_DEP_3)
	v_add_co_u32 v5, vcc_lo, v7, v10
	v_add_co_ci_u32_e32 v6, vcc_lo, v8, v11, vcc_lo
	s_delay_alu instid0(VALU_DEP_3) | instskip(NEXT) | instid1(VALU_DEP_4)
	v_add_co_u32 v10, vcc_lo, v7, v12
	v_add_co_ci_u32_e32 v11, vcc_lo, v8, v13, vcc_lo
	v_mov_b32_e32 v12, v2
	.p2align	6
.LBB23_240:                             ;   Parent Loop BB23_231 Depth=1
                                        ; =>  This Inner Loop Header: Depth=2
	flat_load_b32 v13, v[5:6]
	flat_load_b32 v14, v[10:11]
	v_add_nc_u32_e32 v12, -1, v12
	s_waitcnt vmcnt(1) lgkmcnt(1)
	flat_store_b32 v[10:11], v13
	s_waitcnt vmcnt(0) lgkmcnt(1)
	flat_store_b32 v[5:6], v14
	v_add_co_u32 v5, s1, v5, 4
	s_delay_alu instid0(VALU_DEP_1) | instskip(SKIP_2) | instid1(VALU_DEP_1)
	v_add_co_ci_u32_e64 v6, s1, 0, v6, s1
	v_cmp_eq_u32_e32 vcc_lo, 0, v12
	v_add_co_u32 v10, s1, v10, 4
	v_add_co_ci_u32_e64 v11, s1, 0, v11, s1
	s_or_b32 s2, vcc_lo, s2
	s_delay_alu instid0(SALU_CYCLE_1)
	s_and_not1_b32 exec_lo, exec_lo, s2
	s_cbranch_execnz .LBB23_240
; %bb.241:                              ;   in Loop: Header=BB23_231 Depth=1
	s_or_b32 exec_lo, exec_lo, s2
	s_branch .LBB23_230
.LBB23_242:
	s_or_b32 exec_lo, exec_lo, s5
	s_waitcnt lgkmcnt(0)
	s_setpc_b64 s[30:31]
.Lfunc_end23:
	.size	_ZN9rocsolver6v331009run_steqrIffEEviiiPT0_S3_PT_iPiS3_iS2_S2_S2_b, .Lfunc_end23-_ZN9rocsolver6v331009run_steqrIffEEviiiPT0_S3_PT_iPiS3_iS2_S2_S2_b
                                        ; -- End function
	.section	.AMDGPU.csdata,"",@progbits
; Function info:
; codeLenInByte = 15992
; NumSgprs: 34
; NumVgprs: 150
; ScratchSize: 0
; MemoryBound: 0
	.section	.text._ZN9rocsolver6v33100L12steqr_kernelIffPfEEviPT0_lS4_lT1_iilPiS4_iS3_S3_S3_,"axG",@progbits,_ZN9rocsolver6v33100L12steqr_kernelIffPfEEviPT0_lS4_lT1_iilPiS4_iS3_S3_S3_,comdat
	.globl	_ZN9rocsolver6v33100L12steqr_kernelIffPfEEviPT0_lS4_lT1_iilPiS4_iS3_S3_S3_ ; -- Begin function _ZN9rocsolver6v33100L12steqr_kernelIffPfEEviPT0_lS4_lT1_iilPiS4_iS3_S3_S3_
	.p2align	8
	.type	_ZN9rocsolver6v33100L12steqr_kernelIffPfEEviPT0_lS4_lT1_iilPiS4_iS3_S3_S3_,@function
_ZN9rocsolver6v33100L12steqr_kernelIffPfEEviPT0_lS4_lT1_iilPiS4_iS3_S3_S3_: ; @_ZN9rocsolver6v33100L12steqr_kernelIffPfEEviPT0_lS4_lT1_iilPiS4_iS3_S3_S3_
; %bb.0:
	s_mov_b32 s2, s15
	s_clause 0x6
	s_load_b32 s15, s[0:1], 0x6c
	s_load_b32 s30, s[0:1], 0x0
	s_load_b256 s[16:23], s[0:1], 0x8
	s_load_b256 s[4:11], s[0:1], 0x28
	s_load_b32 s31, s[0:1], 0x60
	s_load_b64 s[12:13], s[0:1], 0x48
	s_load_b128 s[24:27], s[0:1], 0x50
	s_ashr_i32 s3, s2, 31
	v_mov_b32_e32 v18, 1
	s_mov_b32 s32, 0
	s_waitcnt lgkmcnt(0)
	s_and_b32 s15, s15, 0xffff
	s_lshl_b32 s33, s30, 1
	s_mul_i32 s19, s2, s19
	s_mul_hi_u32 s28, s2, s18
	s_mul_i32 s29, s3, s18
	s_add_i32 s19, s28, s19
	s_mul_i32 s18, s2, s18
	s_add_i32 s19, s19, s29
	s_mul_i32 s23, s2, s23
	s_lshl_b64 s[18:19], s[18:19], 2
	s_mul_hi_u32 s34, s2, s22
	s_add_u32 s18, s16, s18
	s_mul_i32 s35, s3, s22
	s_addc_u32 s19, s17, s19
	s_add_i32 s16, s34, s23
	s_mul_i32 s22, s2, s22
	s_add_i32 s23, s16, s35
	s_mul_i32 s9, s2, s9
	s_lshl_b64 s[16:17], s[22:23], 2
	s_mul_hi_u32 s29, s2, s8
	s_add_u32 s20, s20, s16
	s_mul_i32 s22, s3, s8
	s_addc_u32 s21, s21, s17
	s_add_i32 s9, s29, s9
	s_mul_i32 s8, s2, s8
	s_add_i32 s9, s9, s22
	s_mov_b32 s28, s6
	s_lshl_b64 s[8:9], s[8:9], 2
	s_ashr_i32 s29, s6, 31
	s_add_u32 s6, s4, s8
	s_addc_u32 s8, s5, s9
	s_lshl_b64 s[4:5], s[28:29], 2
	s_mul_hi_i32 s17, s33, s2
	s_mul_i32 s16, s33, s2
	s_add_u32 s6, s6, s4
	s_addc_u32 s22, s8, s5
	s_lshl_b64 s[4:5], s[16:17], 2
	v_mad_u64_u32 v[1:2], null, s14, s15, v[0:1]
	s_add_u32 s4, s12, s4
	s_addc_u32 s5, s13, s5
	s_lshl_b64 s[2:3], s[2:3], 2
	s_mul_i32 s31, s31, s15
	s_add_u32 s2, s10, s2
	s_addc_u32 s3, s11, s3
	s_delay_alu instid0(VALU_DEP_1)
	v_dual_mov_b32 v0, v1 :: v_dual_mov_b32 v1, s31
	v_dual_mov_b32 v2, s30 :: v_dual_mov_b32 v3, s18
	;; [unrolled: 1-line block ×9, first 2 shown]
	s_add_u32 s8, s0, 0x60
	s_addc_u32 s9, s1, 0
	s_getpc_b64 s[0:1]
	s_add_u32 s0, s0, _ZN9rocsolver6v331009run_steqrIffEEviiiPT0_S3_PT_iPiS3_iS2_S2_S2_b@rel32@lo+4
	s_addc_u32 s1, s1, _ZN9rocsolver6v331009run_steqrIffEEviiiPT0_S3_PT_iPiS3_iS2_S2_S2_b@rel32@hi+12
	s_delay_alu instid0(SALU_CYCLE_1)
	s_swappc_b64 s[30:31], s[0:1]
	s_endpgm
	.section	.rodata,"a",@progbits
	.p2align	6, 0x0
	.amdhsa_kernel _ZN9rocsolver6v33100L12steqr_kernelIffPfEEviPT0_lS4_lT1_iilPiS4_iS3_S3_S3_
		.amdhsa_group_segment_fixed_size 36
		.amdhsa_private_segment_fixed_size 0
		.amdhsa_kernarg_size 352
		.amdhsa_user_sgpr_count 14
		.amdhsa_user_sgpr_dispatch_ptr 0
		.amdhsa_user_sgpr_queue_ptr 0
		.amdhsa_user_sgpr_kernarg_segment_ptr 1
		.amdhsa_user_sgpr_dispatch_id 0
		.amdhsa_user_sgpr_private_segment_size 0
		.amdhsa_wavefront_size32 1
		.amdhsa_uses_dynamic_stack 0
		.amdhsa_enable_private_segment 0
		.amdhsa_system_sgpr_workgroup_id_x 1
		.amdhsa_system_sgpr_workgroup_id_y 1
		.amdhsa_system_sgpr_workgroup_id_z 0
		.amdhsa_system_sgpr_workgroup_info 0
		.amdhsa_system_vgpr_workitem_id 0
		.amdhsa_next_free_vgpr 150
		.amdhsa_next_free_sgpr 36
		.amdhsa_reserve_vcc 1
		.amdhsa_float_round_mode_32 0
		.amdhsa_float_round_mode_16_64 0
		.amdhsa_float_denorm_mode_32 3
		.amdhsa_float_denorm_mode_16_64 3
		.amdhsa_dx10_clamp 1
		.amdhsa_ieee_mode 1
		.amdhsa_fp16_overflow 0
		.amdhsa_workgroup_processor_mode 1
		.amdhsa_memory_ordered 1
		.amdhsa_forward_progress 0
		.amdhsa_shared_vgpr_count 0
		.amdhsa_exception_fp_ieee_invalid_op 0
		.amdhsa_exception_fp_denorm_src 0
		.amdhsa_exception_fp_ieee_div_zero 0
		.amdhsa_exception_fp_ieee_overflow 0
		.amdhsa_exception_fp_ieee_underflow 0
		.amdhsa_exception_fp_ieee_inexact 0
		.amdhsa_exception_int_div_zero 0
	.end_amdhsa_kernel
	.section	.text._ZN9rocsolver6v33100L12steqr_kernelIffPfEEviPT0_lS4_lT1_iilPiS4_iS3_S3_S3_,"axG",@progbits,_ZN9rocsolver6v33100L12steqr_kernelIffPfEEviPT0_lS4_lT1_iilPiS4_iS3_S3_S3_,comdat
.Lfunc_end24:
	.size	_ZN9rocsolver6v33100L12steqr_kernelIffPfEEviPT0_lS4_lT1_iilPiS4_iS3_S3_S3_, .Lfunc_end24-_ZN9rocsolver6v33100L12steqr_kernelIffPfEEviPT0_lS4_lT1_iilPiS4_iS3_S3_S3_
                                        ; -- End function
	.section	.AMDGPU.csdata,"",@progbits
; Kernel info:
; codeLenInByte = 384
; NumSgprs: 38
; NumVgprs: 150
; ScratchSize: 0
; MemoryBound: 0
; FloatMode: 240
; IeeeMode: 1
; LDSByteSize: 36 bytes/workgroup (compile time only)
; SGPRBlocks: 4
; VGPRBlocks: 18
; NumSGPRsForWavesPerEU: 38
; NumVGPRsForWavesPerEU: 150
; Occupancy: 9
; WaveLimiterHint : 0
; COMPUTE_PGM_RSRC2:SCRATCH_EN: 0
; COMPUTE_PGM_RSRC2:USER_SGPR: 14
; COMPUTE_PGM_RSRC2:TRAP_HANDLER: 0
; COMPUTE_PGM_RSRC2:TGID_X_EN: 1
; COMPUTE_PGM_RSRC2:TGID_Y_EN: 1
; COMPUTE_PGM_RSRC2:TGID_Z_EN: 0
; COMPUTE_PGM_RSRC2:TIDIG_COMP_CNT: 0
	.section	.text._ZN9rocsolver6v33100L10init_identIfPfEEviiT0_iil,"axG",@progbits,_ZN9rocsolver6v33100L10init_identIfPfEEviiT0_iil,comdat
	.globl	_ZN9rocsolver6v33100L10init_identIfPfEEviiT0_iil ; -- Begin function _ZN9rocsolver6v33100L10init_identIfPfEEviiT0_iil
	.p2align	8
	.type	_ZN9rocsolver6v33100L10init_identIfPfEEviiT0_iil,@function
_ZN9rocsolver6v33100L10init_identIfPfEEviiT0_iil: ; @_ZN9rocsolver6v33100L10init_identIfPfEEviiT0_iil
; %bb.0:
	s_clause 0x1
	s_load_b32 s4, s[0:1], 0x2c
	s_load_b64 s[2:3], s[0:1], 0x0
	v_and_b32_e32 v1, 0x3ff, v0
	v_bfe_u32 v0, v0, 10, 10
	s_waitcnt lgkmcnt(0)
	s_lshr_b32 s5, s4, 16
	s_and_b32 s4, s4, 0xffff
	s_delay_alu instid0(SALU_CYCLE_1) | instskip(SKIP_1) | instid1(VALU_DEP_2)
	v_mad_u64_u32 v[2:3], null, s13, s4, v[1:2]
	v_mad_u64_u32 v[3:4], null, s14, s5, v[0:1]
	v_cmp_gt_u32_e32 vcc_lo, s2, v2
	s_delay_alu instid0(VALU_DEP_2) | instskip(NEXT) | instid1(VALU_DEP_1)
	v_cmp_gt_u32_e64 s2, s3, v3
	s_and_b32 s2, vcc_lo, s2
	s_delay_alu instid0(SALU_CYCLE_1)
	s_and_saveexec_b32 s3, s2
	s_cbranch_execz .LBB25_6
; %bb.1:
	s_load_b64 s[2:3], s[0:1], 0x10
	s_mov_b32 s4, exec_lo
                                        ; implicit-def: $sgpr5
                                        ; implicit-def: $vgpr0
	v_cmpx_ne_u32_e64 v2, v3
	s_xor_b32 s4, exec_lo, s4
	s_cbranch_execz .LBB25_3
; %bb.2:
	s_waitcnt lgkmcnt(0)
	v_mad_u64_u32 v[0:1], null, v3, s3, v[2:3]
	s_mov_b32 s5, 0
                                        ; implicit-def: $vgpr2_vgpr3
.LBB25_3:
	s_or_saveexec_b32 s4, s4
	v_mov_b32_e32 v3, s5
	s_xor_b32 exec_lo, exec_lo, s4
	s_cbranch_execz .LBB25_5
; %bb.4:
	s_waitcnt lgkmcnt(0)
	s_delay_alu instid0(VALU_DEP_1)
	v_mad_u64_u32 v[0:1], null, v2, s3, v[2:3]
	v_mov_b32_e32 v3, 1.0
.LBB25_5:
	s_or_b32 exec_lo, exec_lo, s4
	s_clause 0x1
	s_load_b64 s[4:5], s[0:1], 0x18
	s_load_b64 s[0:1], s[0:1], 0x8
	v_mov_b32_e32 v1, 0
	s_delay_alu instid0(VALU_DEP_1)
	v_lshlrev_b64 v[0:1], 2, v[0:1]
	s_waitcnt lgkmcnt(0)
	s_mul_i32 s3, s15, s5
	s_mul_hi_u32 s5, s15, s4
	s_mul_i32 s4, s15, s4
	s_add_i32 s5, s5, s3
	s_ashr_i32 s3, s2, 31
	s_lshl_b64 s[4:5], s[4:5], 2
	s_delay_alu instid0(SALU_CYCLE_1) | instskip(SKIP_2) | instid1(SALU_CYCLE_1)
	s_add_u32 s4, s0, s4
	s_addc_u32 s5, s1, s5
	s_lshl_b64 s[0:1], s[2:3], 2
	s_add_u32 s0, s4, s0
	s_addc_u32 s1, s5, s1
	v_add_co_u32 v0, vcc_lo, s0, v0
	v_add_co_ci_u32_e32 v1, vcc_lo, s1, v1, vcc_lo
	global_store_b32 v[0:1], v3, off
.LBB25_6:
	s_nop 0
	s_sendmsg sendmsg(MSG_DEALLOC_VGPRS)
	s_endpgm
	.section	.rodata,"a",@progbits
	.p2align	6, 0x0
	.amdhsa_kernel _ZN9rocsolver6v33100L10init_identIfPfEEviiT0_iil
		.amdhsa_group_segment_fixed_size 0
		.amdhsa_private_segment_fixed_size 0
		.amdhsa_kernarg_size 288
		.amdhsa_user_sgpr_count 13
		.amdhsa_user_sgpr_dispatch_ptr 0
		.amdhsa_user_sgpr_queue_ptr 0
		.amdhsa_user_sgpr_kernarg_segment_ptr 1
		.amdhsa_user_sgpr_dispatch_id 0
		.amdhsa_user_sgpr_private_segment_size 0
		.amdhsa_wavefront_size32 1
		.amdhsa_uses_dynamic_stack 0
		.amdhsa_enable_private_segment 0
		.amdhsa_system_sgpr_workgroup_id_x 1
		.amdhsa_system_sgpr_workgroup_id_y 1
		.amdhsa_system_sgpr_workgroup_id_z 1
		.amdhsa_system_sgpr_workgroup_info 0
		.amdhsa_system_vgpr_workitem_id 1
		.amdhsa_next_free_vgpr 5
		.amdhsa_next_free_sgpr 16
		.amdhsa_reserve_vcc 1
		.amdhsa_float_round_mode_32 0
		.amdhsa_float_round_mode_16_64 0
		.amdhsa_float_denorm_mode_32 3
		.amdhsa_float_denorm_mode_16_64 3
		.amdhsa_dx10_clamp 1
		.amdhsa_ieee_mode 1
		.amdhsa_fp16_overflow 0
		.amdhsa_workgroup_processor_mode 1
		.amdhsa_memory_ordered 1
		.amdhsa_forward_progress 0
		.amdhsa_shared_vgpr_count 0
		.amdhsa_exception_fp_ieee_invalid_op 0
		.amdhsa_exception_fp_denorm_src 0
		.amdhsa_exception_fp_ieee_div_zero 0
		.amdhsa_exception_fp_ieee_overflow 0
		.amdhsa_exception_fp_ieee_underflow 0
		.amdhsa_exception_fp_ieee_inexact 0
		.amdhsa_exception_int_div_zero 0
	.end_amdhsa_kernel
	.section	.text._ZN9rocsolver6v33100L10init_identIfPfEEviiT0_iil,"axG",@progbits,_ZN9rocsolver6v33100L10init_identIfPfEEviiT0_iil,comdat
.Lfunc_end25:
	.size	_ZN9rocsolver6v33100L10init_identIfPfEEviiT0_iil, .Lfunc_end25-_ZN9rocsolver6v33100L10init_identIfPfEEviiT0_iil
                                        ; -- End function
	.section	.AMDGPU.csdata,"",@progbits
; Kernel info:
; codeLenInByte = 308
; NumSgprs: 18
; NumVgprs: 5
; ScratchSize: 0
; MemoryBound: 0
; FloatMode: 240
; IeeeMode: 1
; LDSByteSize: 0 bytes/workgroup (compile time only)
; SGPRBlocks: 2
; VGPRBlocks: 0
; NumSGPRsForWavesPerEU: 18
; NumVGPRsForWavesPerEU: 5
; Occupancy: 16
; WaveLimiterHint : 0
; COMPUTE_PGM_RSRC2:SCRATCH_EN: 0
; COMPUTE_PGM_RSRC2:USER_SGPR: 13
; COMPUTE_PGM_RSRC2:TRAP_HANDLER: 0
; COMPUTE_PGM_RSRC2:TGID_X_EN: 1
; COMPUTE_PGM_RSRC2:TGID_Y_EN: 1
; COMPUTE_PGM_RSRC2:TGID_Z_EN: 1
; COMPUTE_PGM_RSRC2:TIDIG_COMP_CNT: 1
	.section	.text._ZN9rocsolver6v33100L19stedc_divide_kernelIfEEviiiPT_lS3_liPi,"axG",@progbits,_ZN9rocsolver6v33100L19stedc_divide_kernelIfEEviiiPT_lS3_liPi,comdat
	.globl	_ZN9rocsolver6v33100L19stedc_divide_kernelIfEEviiiPT_lS3_liPi ; -- Begin function _ZN9rocsolver6v33100L19stedc_divide_kernelIfEEviiiPT_lS3_liPi
	.p2align	8
	.type	_ZN9rocsolver6v33100L19stedc_divide_kernelIfEEviiiPT_lS3_liPi,@function
_ZN9rocsolver6v33100L19stedc_divide_kernelIfEEviiiPT_lS3_liPi: ; @_ZN9rocsolver6v33100L19stedc_divide_kernelIfEEviiiPT_lS3_liPi
; %bb.0:
	s_clause 0x1
	s_load_b32 s2, s[0:1], 0x4c
	s_load_b32 s3, s[0:1], 0x30
	s_waitcnt lgkmcnt(0)
	s_and_b32 s2, s2, 0xffff
	s_delay_alu instid0(SALU_CYCLE_1) | instskip(SKIP_1) | instid1(VALU_DEP_1)
	v_mad_u64_u32 v[2:3], null, s15, s2, v[0:1]
	s_mov_b32 s2, exec_lo
	v_cmpx_gt_i32_e64 s3, v2
	s_cbranch_execz .LBB26_10
; %bb.1:
	s_clause 0x1
	s_load_b128 s[4:7], s[0:1], 0x0
	s_load_b64 s[2:3], s[0:1], 0x38
	s_waitcnt lgkmcnt(0)
	s_mul_i32 s7, s6, 13
	v_mov_b32_e32 v3, s6
	v_mul_lo_u32 v0, s7, v2
	s_cmp_lt_i32 s4, 1
	s_delay_alu instid0(VALU_DEP_1) | instskip(NEXT) | instid1(VALU_DEP_1)
	v_ashrrev_i32_e32 v1, 31, v0
	v_lshlrev_b64 v[0:1], 2, v[0:1]
	s_delay_alu instid0(VALU_DEP_1) | instskip(NEXT) | instid1(VALU_DEP_2)
	v_add_co_u32 v0, vcc_lo, s2, v0
	v_add_co_ci_u32_e32 v1, vcc_lo, s3, v1, vcc_lo
	global_store_b32 v[0:1], v3, off
	s_cbranch_scc1 .LBB26_7
; %bb.2:
	v_add_co_u32 v5, vcc_lo, v0, -4
	v_add_co_ci_u32_e32 v6, vcc_lo, -1, v1, vcc_lo
	s_mov_b32 s9, 0
	s_mov_b32 s3, 0
	s_set_inst_prefetch_distance 0x1
	s_branch .LBB26_4
	.p2align	6
.LBB26_3:                               ;   in Loop: Header=BB26_4 Depth=1
	s_add_i32 s3, s3, 1
	s_delay_alu instid0(SALU_CYCLE_1)
	s_cmp_eq_u32 s3, s4
	s_cbranch_scc1 .LBB26_7
.LBB26_4:                               ; =>This Loop Header: Depth=1
                                        ;     Child Loop BB26_6 Depth 2
	s_cmp_eq_u32 s3, 31
	s_cbranch_scc1 .LBB26_3
; %bb.5:                                ;   in Loop: Header=BB26_4 Depth=1
	s_lshl_b32 s8, 1, s3
	s_delay_alu instid0(SALU_CYCLE_1)
	s_lshl_b64 s[10:11], s[8:9], 2
	s_add_i32 s7, s8, 1
	v_add_co_u32 v3, vcc_lo, v5, s10
	v_add_co_ci_u32_e32 v4, vcc_lo, s11, v6, vcc_lo
	s_lshl_b32 s8, s8, 1
	.p2align	6
.LBB26_6:                               ;   Parent Loop BB26_4 Depth=1
                                        ; =>  This Inner Loop Header: Depth=2
	global_load_b32 v7, v[3:4], off
	s_lshl_b64 s[10:11], s[8:9], 2
	v_add_co_u32 v3, vcc_lo, v3, -4
	v_add_co_u32 v9, s2, v0, s10
	s_delay_alu instid0(VALU_DEP_1)
	v_add_co_ci_u32_e64 v10, s2, s11, v1, s2
	v_add_co_ci_u32_e32 v4, vcc_lo, -1, v4, vcc_lo
	s_add_i32 s7, s7, -1
	s_add_i32 s8, s8, -2
	s_cmp_lt_i32 s7, 2
	s_waitcnt vmcnt(0)
	v_lshrrev_b32_e32 v8, 31, v7
	v_and_b32_e32 v11, 1, v7
	s_delay_alu instid0(VALU_DEP_2) | instskip(NEXT) | instid1(VALU_DEP_1)
	v_add_nc_u32_e32 v8, v7, v8
	v_ashrrev_i32_e32 v7, 1, v8
	s_delay_alu instid0(VALU_DEP_1)
	v_add_nc_u32_e32 v8, v7, v11
	global_store_b64 v[9:10], v[7:8], off offset:-8
	s_cbranch_scc0 .LBB26_6
	s_branch .LBB26_3
.LBB26_7:
	s_set_inst_prefetch_distance 0x2
	s_ashr_i32 s7, s6, 31
	v_mov_b32_e32 v3, 0
	s_lshl_b64 s[2:3], s[6:7], 2
	s_cmp_lt_i32 s5, 2
	v_add_co_u32 v4, vcc_lo, v0, s2
	v_add_co_ci_u32_e32 v5, vcc_lo, s3, v1, vcc_lo
	global_store_b32 v[4:5], v3, off
	s_cbranch_scc1 .LBB26_10
; %bb.8:
	s_load_b256 s[8:15], s[0:1], 0x10
	v_ashrrev_i32_e32 v6, 31, v2
	s_add_i32 s0, s5, -1
	s_add_u32 s1, s2, 4
	s_addc_u32 s2, s3, 0
	s_waitcnt lgkmcnt(0)
	v_mul_lo_u32 v8, v2, s15
	v_mul_lo_u32 v9, v6, s14
	v_mad_u64_u32 v[4:5], null, v2, s14, 0
	v_mul_lo_u32 v10, v2, s11
	v_mul_lo_u32 v11, v6, s10
	v_mad_u64_u32 v[6:7], null, v2, s10, 0
	s_delay_alu instid0(VALU_DEP_4) | instskip(NEXT) | instid1(VALU_DEP_2)
	v_add3_u32 v5, v5, v8, v9
	v_add3_u32 v7, v7, v10, v11
	s_delay_alu instid0(VALU_DEP_2) | instskip(NEXT) | instid1(VALU_DEP_2)
	v_lshlrev_b64 v[4:5], 2, v[4:5]
	v_lshlrev_b64 v[6:7], 2, v[6:7]
	s_delay_alu instid0(VALU_DEP_2) | instskip(NEXT) | instid1(VALU_DEP_3)
	v_add_co_u32 v4, vcc_lo, s12, v4
	v_add_co_ci_u32_e32 v8, vcc_lo, s13, v5, vcc_lo
	s_delay_alu instid0(VALU_DEP_3) | instskip(NEXT) | instid1(VALU_DEP_4)
	v_add_co_u32 v2, vcc_lo, s8, v6
	v_add_co_ci_u32_e32 v5, vcc_lo, s9, v7, vcc_lo
	s_delay_alu instid0(VALU_DEP_4) | instskip(NEXT) | instid1(VALU_DEP_4)
	v_add_co_u32 v6, vcc_lo, v4, -4
	v_add_co_ci_u32_e32 v7, vcc_lo, -1, v8, vcc_lo
	.p2align	6
.LBB26_9:                               ; =>This Inner Loop Header: Depth=1
	global_load_b32 v4, v[0:1], off
	s_add_i32 s0, s0, -1
	s_delay_alu instid0(SALU_CYCLE_1) | instskip(SKIP_2) | instid1(VALU_DEP_1)
	s_cmp_lg_u32 s0, 0
	s_waitcnt vmcnt(0)
	v_add_nc_u32_e32 v3, v4, v3
	v_ashrrev_i32_e32 v4, 31, v3
	s_delay_alu instid0(VALU_DEP_1) | instskip(NEXT) | instid1(VALU_DEP_1)
	v_lshlrev_b64 v[8:9], 2, v[3:4]
	v_add_co_u32 v10, vcc_lo, v6, v8
	s_delay_alu instid0(VALU_DEP_2)
	v_add_co_ci_u32_e32 v11, vcc_lo, v7, v9, vcc_lo
	v_add_co_u32 v8, vcc_lo, v2, v8
	v_add_co_ci_u32_e32 v9, vcc_lo, v5, v9, vcc_lo
	v_add_co_u32 v12, vcc_lo, v0, s1
	global_load_b32 v4, v[10:11], off
	global_load_b64 v[10:11], v[8:9], off offset:-4
	v_add_co_ci_u32_e32 v13, vcc_lo, s2, v1, vcc_lo
	v_add_co_u32 v0, vcc_lo, v0, 4
	v_add_co_ci_u32_e32 v1, vcc_lo, 0, v1, vcc_lo
	s_waitcnt vmcnt(0)
	v_sub_f32_e32 v10, v10, v4
	v_sub_f32_e32 v11, v11, v4
	global_store_b32 v[12:13], v3, off
	global_store_b64 v[8:9], v[10:11], off offset:-4
	s_cbranch_scc1 .LBB26_9
.LBB26_10:
	s_nop 0
	s_sendmsg sendmsg(MSG_DEALLOC_VGPRS)
	s_endpgm
	.section	.rodata,"a",@progbits
	.p2align	6, 0x0
	.amdhsa_kernel _ZN9rocsolver6v33100L19stedc_divide_kernelIfEEviiiPT_lS3_liPi
		.amdhsa_group_segment_fixed_size 0
		.amdhsa_private_segment_fixed_size 0
		.amdhsa_kernarg_size 320
		.amdhsa_user_sgpr_count 15
		.amdhsa_user_sgpr_dispatch_ptr 0
		.amdhsa_user_sgpr_queue_ptr 0
		.amdhsa_user_sgpr_kernarg_segment_ptr 1
		.amdhsa_user_sgpr_dispatch_id 0
		.amdhsa_user_sgpr_private_segment_size 0
		.amdhsa_wavefront_size32 1
		.amdhsa_uses_dynamic_stack 0
		.amdhsa_enable_private_segment 0
		.amdhsa_system_sgpr_workgroup_id_x 1
		.amdhsa_system_sgpr_workgroup_id_y 0
		.amdhsa_system_sgpr_workgroup_id_z 0
		.amdhsa_system_sgpr_workgroup_info 0
		.amdhsa_system_vgpr_workitem_id 0
		.amdhsa_next_free_vgpr 14
		.amdhsa_next_free_sgpr 16
		.amdhsa_reserve_vcc 1
		.amdhsa_float_round_mode_32 0
		.amdhsa_float_round_mode_16_64 0
		.amdhsa_float_denorm_mode_32 3
		.amdhsa_float_denorm_mode_16_64 3
		.amdhsa_dx10_clamp 1
		.amdhsa_ieee_mode 1
		.amdhsa_fp16_overflow 0
		.amdhsa_workgroup_processor_mode 1
		.amdhsa_memory_ordered 1
		.amdhsa_forward_progress 0
		.amdhsa_shared_vgpr_count 0
		.amdhsa_exception_fp_ieee_invalid_op 0
		.amdhsa_exception_fp_denorm_src 0
		.amdhsa_exception_fp_ieee_div_zero 0
		.amdhsa_exception_fp_ieee_overflow 0
		.amdhsa_exception_fp_ieee_underflow 0
		.amdhsa_exception_fp_ieee_inexact 0
		.amdhsa_exception_int_div_zero 0
	.end_amdhsa_kernel
	.section	.text._ZN9rocsolver6v33100L19stedc_divide_kernelIfEEviiiPT_lS3_liPi,"axG",@progbits,_ZN9rocsolver6v33100L19stedc_divide_kernelIfEEviiiPT_lS3_liPi,comdat
.Lfunc_end26:
	.size	_ZN9rocsolver6v33100L19stedc_divide_kernelIfEEviiiPT_lS3_liPi, .Lfunc_end26-_ZN9rocsolver6v33100L19stedc_divide_kernelIfEEviiiPT_lS3_liPi
                                        ; -- End function
	.section	.AMDGPU.csdata,"",@progbits
; Kernel info:
; codeLenInByte = 700
; NumSgprs: 18
; NumVgprs: 14
; ScratchSize: 0
; MemoryBound: 0
; FloatMode: 240
; IeeeMode: 1
; LDSByteSize: 0 bytes/workgroup (compile time only)
; SGPRBlocks: 2
; VGPRBlocks: 1
; NumSGPRsForWavesPerEU: 18
; NumVGPRsForWavesPerEU: 14
; Occupancy: 16
; WaveLimiterHint : 1
; COMPUTE_PGM_RSRC2:SCRATCH_EN: 0
; COMPUTE_PGM_RSRC2:USER_SGPR: 15
; COMPUTE_PGM_RSRC2:TRAP_HANDLER: 0
; COMPUTE_PGM_RSRC2:TGID_X_EN: 1
; COMPUTE_PGM_RSRC2:TGID_Y_EN: 0
; COMPUTE_PGM_RSRC2:TGID_Z_EN: 0
; COMPUTE_PGM_RSRC2:TIDIG_COMP_CNT: 0
	.section	.text._ZN9rocsolver6v33100L18stedc_solve_kernelIfEEviiPT_lS3_lS3_iilPiS3_S4_S2_S2_S2_,"axG",@progbits,_ZN9rocsolver6v33100L18stedc_solve_kernelIfEEviiPT_lS3_lS3_iilPiS3_S4_S2_S2_S2_,comdat
	.globl	_ZN9rocsolver6v33100L18stedc_solve_kernelIfEEviiPT_lS3_lS3_iilPiS3_S4_S2_S2_S2_ ; -- Begin function _ZN9rocsolver6v33100L18stedc_solve_kernelIfEEviiPT_lS3_lS3_iilPiS3_S4_S2_S2_S2_
	.p2align	8
	.type	_ZN9rocsolver6v33100L18stedc_solve_kernelIfEEviiPT_lS3_lS3_iilPiS3_S4_S2_S2_S2_,@function
_ZN9rocsolver6v33100L18stedc_solve_kernelIfEEviiPT_lS3_lS3_iilPiS3_S4_S2_S2_S2_: ; @_ZN9rocsolver6v33100L18stedc_solve_kernelIfEEviiPT_lS3_lS3_iilPiS3_S4_S2_S2_S2_
; %bb.0:
	s_mov_b32 s12, s15
	s_clause 0x4
	s_load_b32 s2, s[0:1], 0x4
	s_load_b32 s15, s[0:1], 0x74
	s_load_b128 s[24:27], s[0:1], 0x28
	s_load_b256 s[4:11], s[0:1], 0x38
	s_load_b256 s[16:23], s[0:1], 0x8
	s_ashr_i32 s13, s12, 31
	s_mov_b32 s32, 0
	v_mov_b32_e32 v18, 0
	s_waitcnt lgkmcnt(0)
	s_ashr_i32 s3, s2, 31
	s_and_b32 s30, s15, 0xffff
	s_ashr_i32 s29, s26, 31
	s_mul_i32 s5, s12, s5
	s_mul_hi_u32 s15, s12, s4
	s_mov_b32 s28, s26
	s_mul_i32 s26, s13, s4
	s_add_i32 s5, s15, s5
	s_mul_i32 s4, s12, s4
	s_add_i32 s5, s5, s26
	s_mul_i32 s15, s12, s19
	s_lshl_b64 s[4:5], s[4:5], 2
	s_mul_hi_u32 s19, s12, s18
	s_add_u32 s24, s24, s4
	s_addc_u32 s25, s25, s5
	s_lshl_b64 s[4:5], s[28:29], 2
	s_mul_i32 s26, s13, s18
	s_add_u32 s24, s24, s4
	s_addc_u32 s25, s25, s5
	s_add_i32 s4, s19, s15
	s_mul_i32 s18, s12, s18
	s_add_i32 s19, s4, s26
	s_mul_i32 s15, s12, s23
	s_lshl_b64 s[4:5], s[18:19], 2
	s_mul_hi_u32 s23, s12, s22
	s_add_u32 s16, s16, s4
	s_mul_i32 s18, s13, s22
	s_addc_u32 s17, s17, s5
	s_add_i32 s5, s23, s15
	s_mul_i32 s4, s12, s22
	s_add_i32 s5, s5, s18
	s_mul_i32 s15, s12, s2
	s_lshl_b64 s[4:5], s[4:5], 2
	s_delay_alu instid0(SALU_CYCLE_1)
	s_add_u32 s18, s20, s4
	s_addc_u32 s19, s21, s5
	s_lshl_b64 s[4:5], s[12:13], 2
	s_mul_i32 s12, s15, 13
	s_add_u32 s20, s6, s4
	s_addc_u32 s21, s7, s5
	s_ashr_i32 s13, s12, 31
	v_mov_b32_e32 v10, s20
	s_lshl_b64 s[4:5], s[12:13], 2
	s_delay_alu instid0(SALU_CYCLE_1) | instskip(SKIP_4) | instid1(SALU_CYCLE_1)
	s_add_u32 s6, s10, s4
	s_addc_u32 s7, s11, s5
	s_lshl_b32 s4, s15, 1
	s_lshl_b64 s[2:3], s[2:3], 2
	s_ashr_i32 s5, s4, 31
	s_lshl_b64 s[4:5], s[4:5], 2
	s_delay_alu instid0(SALU_CYCLE_1) | instskip(SKIP_2) | instid1(SALU_CYCLE_1)
	s_add_u32 s12, s8, s4
	s_addc_u32 s13, s9, s5
	s_ashr_i32 s15, s14, 31
	s_lshl_b64 s[4:5], s[14:15], 2
	s_delay_alu instid0(SALU_CYCLE_1)
	s_add_u32 s8, s6, s4
	s_addc_u32 s9, s7, s5
	s_add_u32 s2, s8, s2
	s_addc_u32 s3, s9, s3
	s_load_b32 s2, s[2:3], 0x0
	s_load_b128 s[4:7], s[0:1], 0x58
	s_waitcnt lgkmcnt(0)
	s_load_b32 s7, s[8:9], 0x0
	v_mov_b32_e32 v9, s27
	s_ashr_i32 s3, s2, 31
	v_mov_b32_e32 v16, s5
	s_lshl_b64 s[8:9], s[2:3], 2
	s_mul_i32 s10, s2, s27
	s_add_u32 s14, s16, s8
	s_addc_u32 s15, s17, s9
	s_add_u32 s16, s18, s8
	s_addc_u32 s17, s19, s9
	;; [unrolled: 2-line block ×3, first 2 shown]
	s_ashr_i32 s11, s10, 31
	v_mov_b32_e32 v15, s4
	s_lshl_b64 s[8:9], s[10:11], 2
	s_waitcnt lgkmcnt(0)
	v_dual_mov_b32 v17, s6 :: v_dual_mov_b32 v2, s7
	s_add_u32 s10, s3, s8
	s_addc_u32 s11, s18, s9
	s_lshl_b32 s2, s2, 1
	s_mul_i32 s18, s7, 30
	s_ashr_i32 s3, s2, 31
	v_dual_mov_b32 v1, s30 :: v_dual_mov_b32 v14, s18
	s_lshl_b64 s[2:3], s[2:3], 2
	v_dual_mov_b32 v11, s21 :: v_dual_mov_b32 v4, s15
	s_add_u32 s2, s12, s2
	s_addc_u32 s3, s13, s3
	v_dual_mov_b32 v3, s14 :: v_dual_mov_b32 v6, s17
	v_dual_mov_b32 v5, s16 :: v_dual_mov_b32 v8, s11
	v_dual_mov_b32 v7, s10 :: v_dual_mov_b32 v12, s2
	v_mov_b32_e32 v13, s3
	s_add_u32 s8, s0, 0x68
	s_addc_u32 s9, s1, 0
	s_getpc_b64 s[0:1]
	s_add_u32 s0, s0, _ZN9rocsolver6v331009run_steqrIffEEviiiPT0_S3_PT_iPiS3_iS2_S2_S2_b@rel32@lo+4
	s_addc_u32 s1, s1, _ZN9rocsolver6v331009run_steqrIffEEviiiPT0_S3_PT_iPiS3_iS2_S2_S2_b@rel32@hi+12
	s_delay_alu instid0(SALU_CYCLE_1)
	s_swappc_b64 s[30:31], s[0:1]
	s_endpgm
	.section	.rodata,"a",@progbits
	.p2align	6, 0x0
	.amdhsa_kernel _ZN9rocsolver6v33100L18stedc_solve_kernelIfEEviiPT_lS3_lS3_iilPiS3_S4_S2_S2_S2_
		.amdhsa_group_segment_fixed_size 36
		.amdhsa_private_segment_fixed_size 0
		.amdhsa_kernarg_size 360
		.amdhsa_user_sgpr_count 14
		.amdhsa_user_sgpr_dispatch_ptr 0
		.amdhsa_user_sgpr_queue_ptr 0
		.amdhsa_user_sgpr_kernarg_segment_ptr 1
		.amdhsa_user_sgpr_dispatch_id 0
		.amdhsa_user_sgpr_private_segment_size 0
		.amdhsa_wavefront_size32 1
		.amdhsa_uses_dynamic_stack 0
		.amdhsa_enable_private_segment 0
		.amdhsa_system_sgpr_workgroup_id_x 1
		.amdhsa_system_sgpr_workgroup_id_y 1
		.amdhsa_system_sgpr_workgroup_id_z 0
		.amdhsa_system_sgpr_workgroup_info 0
		.amdhsa_system_vgpr_workitem_id 0
		.amdhsa_next_free_vgpr 150
		.amdhsa_next_free_sgpr 33
		.amdhsa_reserve_vcc 1
		.amdhsa_float_round_mode_32 0
		.amdhsa_float_round_mode_16_64 0
		.amdhsa_float_denorm_mode_32 3
		.amdhsa_float_denorm_mode_16_64 3
		.amdhsa_dx10_clamp 1
		.amdhsa_ieee_mode 1
		.amdhsa_fp16_overflow 0
		.amdhsa_workgroup_processor_mode 1
		.amdhsa_memory_ordered 1
		.amdhsa_forward_progress 0
		.amdhsa_shared_vgpr_count 0
		.amdhsa_exception_fp_ieee_invalid_op 0
		.amdhsa_exception_fp_denorm_src 0
		.amdhsa_exception_fp_ieee_div_zero 0
		.amdhsa_exception_fp_ieee_overflow 0
		.amdhsa_exception_fp_ieee_underflow 0
		.amdhsa_exception_fp_ieee_inexact 0
		.amdhsa_exception_int_div_zero 0
	.end_amdhsa_kernel
	.section	.text._ZN9rocsolver6v33100L18stedc_solve_kernelIfEEviiPT_lS3_lS3_iilPiS3_S4_S2_S2_S2_,"axG",@progbits,_ZN9rocsolver6v33100L18stedc_solve_kernelIfEEviiPT_lS3_lS3_iilPiS3_S4_S2_S2_S2_,comdat
.Lfunc_end27:
	.size	_ZN9rocsolver6v33100L18stedc_solve_kernelIfEEviiPT_lS3_lS3_iilPiS3_S4_S2_S2_S2_, .Lfunc_end27-_ZN9rocsolver6v33100L18stedc_solve_kernelIfEEviiPT_lS3_lS3_iilPiS3_S4_S2_S2_S2_
                                        ; -- End function
	.section	.AMDGPU.csdata,"",@progbits
; Kernel info:
; codeLenInByte = 524
; NumSgprs: 35
; NumVgprs: 150
; ScratchSize: 0
; MemoryBound: 0
; FloatMode: 240
; IeeeMode: 1
; LDSByteSize: 36 bytes/workgroup (compile time only)
; SGPRBlocks: 4
; VGPRBlocks: 18
; NumSGPRsForWavesPerEU: 35
; NumVGPRsForWavesPerEU: 150
; Occupancy: 9
; WaveLimiterHint : 0
; COMPUTE_PGM_RSRC2:SCRATCH_EN: 0
; COMPUTE_PGM_RSRC2:USER_SGPR: 14
; COMPUTE_PGM_RSRC2:TRAP_HANDLER: 0
; COMPUTE_PGM_RSRC2:TGID_X_EN: 1
; COMPUTE_PGM_RSRC2:TGID_Y_EN: 1
; COMPUTE_PGM_RSRC2:TGID_Z_EN: 0
; COMPUTE_PGM_RSRC2:TIDIG_COMP_CNT: 0
	.section	.text._ZN9rocsolver6v33100L37stedc_mergePrepare_DeflateZero_kernelIfEEviiPT_lS3_lS3_iilS3_PiS2_,"axG",@progbits,_ZN9rocsolver6v33100L37stedc_mergePrepare_DeflateZero_kernelIfEEviiPT_lS3_lS3_iilS3_PiS2_,comdat
	.globl	_ZN9rocsolver6v33100L37stedc_mergePrepare_DeflateZero_kernelIfEEviiPT_lS3_lS3_iilS3_PiS2_ ; -- Begin function _ZN9rocsolver6v33100L37stedc_mergePrepare_DeflateZero_kernelIfEEviiPT_lS3_lS3_iilS3_PiS2_
	.p2align	8
	.type	_ZN9rocsolver6v33100L37stedc_mergePrepare_DeflateZero_kernelIfEEviiPT_lS3_lS3_iilS3_PiS2_,@function
_ZN9rocsolver6v33100L37stedc_mergePrepare_DeflateZero_kernelIfEEviiPT_lS3_lS3_iilS3_PiS2_: ; @_ZN9rocsolver6v33100L37stedc_mergePrepare_DeflateZero_kernelIfEEviiPT_lS3_lS3_iilS3_PiS2_
; %bb.0:
	s_clause 0x3
	s_load_b32 s6, s[0:1], 0x4
	s_load_b256 s[16:23], s[0:1], 0x8
	s_load_b64 s[2:3], s[0:1], 0x48
	s_load_b128 s[8:11], s[0:1], 0x38
	s_ashr_i32 s31, s15, 31
	s_waitcnt lgkmcnt(0)
	s_ashr_i32 s7, s6, 31
	s_mul_i32 s4, s15, s23
	s_mul_hi_u32 s5, s15, s22
	s_mul_i32 s12, s31, s22
	s_add_i32 s5, s5, s4
	s_mul_i32 s4, s15, s22
	s_add_i32 s5, s5, s12
	s_mul_i32 s22, s15, s6
	s_lshl_b64 s[4:5], s[4:5], 2
	s_mul_i32 s12, s22, 13
	s_add_u32 s24, s20, s4
	s_addc_u32 s25, s21, s5
	s_ashr_i32 s13, s12, 31
	s_mul_i32 s20, s6, 0xffffffe8
	s_lshl_b64 s[4:5], s[12:13], 2
	s_mul_hi_i32 s13, s6, 0xffffffe8
	s_add_u32 s12, s2, s4
	s_addc_u32 s5, s3, s5
	s_lshl_b32 s2, s6, 3
	s_mul_i32 s4, s22, 10
	s_ashr_i32 s3, s2, 31
	s_delay_alu instid0(SALU_CYCLE_1) | instskip(NEXT) | instid1(SALU_CYCLE_1)
	s_lshl_b64 s[2:3], s[2:3], 2
	s_add_u32 s26, s12, s2
	s_addc_u32 s27, s5, s3
	s_add_u32 s20, s26, s20
	s_addc_u32 s21, s27, s13
	s_ashr_i32 s5, s4, 31
	s_mul_i32 s2, s6, 9
	s_lshl_b64 s[4:5], s[4:5], 2
	s_lshl_b64 s[12:13], s[6:7], 2
	s_add_u32 s7, s10, s4
	s_addc_u32 s28, s11, s5
	s_ashr_i32 s3, s2, 31
	s_delay_alu instid0(SALU_CYCLE_1) | instskip(NEXT) | instid1(SALU_CYCLE_1)
	s_lshl_b64 s[2:3], s[2:3], 2
	s_add_u32 s29, s7, s2
	s_addc_u32 s30, s28, s3
	s_lshl_b32 s2, s14, 1
	s_delay_alu instid0(SALU_CYCLE_1) | instskip(NEXT) | instid1(SALU_CYCLE_1)
	s_ashr_i32 s3, s2, 31
	s_lshl_b64 s[2:3], s[2:3], 2
	s_delay_alu instid0(SALU_CYCLE_1)
	s_add_u32 s2, s20, s2
	s_addc_u32 s3, s21, s3
	s_add_u32 s4, s2, s12
	s_addc_u32 s5, s3, s13
	s_clause 0x1
	s_load_b64 s[22:23], s[2:3], 0x0
	s_load_b64 s[10:11], s[4:5], 0x0
	s_waitcnt lgkmcnt(0)
	s_ashr_i32 s21, s11, 31
	s_mov_b32 s20, s11
	s_delay_alu instid0(SALU_CYCLE_1) | instskip(NEXT) | instid1(SALU_CYCLE_1)
	s_lshl_b64 s[4:5], s[20:21], 2
	s_add_u32 s2, s24, s4
	s_addc_u32 s3, s25, s5
	s_add_u32 s2, s2, -4
	s_addc_u32 s3, s3, -1
	s_load_b32 s2, s[2:3], 0x0
	s_load_b64 s[24:25], s[0:1], 0x28
	s_add_i32 s11, s23, s22
	s_delay_alu instid0(SALU_CYCLE_1) | instskip(SKIP_3) | instid1(VALU_DEP_1)
	v_cmp_le_i32_e64 s3, s11, v0
	s_waitcnt lgkmcnt(0)
	v_add_f32_e64 v3, s2, s2
	v_cmp_gt_i32_e64 s2, s11, v0
	s_and_saveexec_b32 s5, s2
	s_cbranch_execz .LBB28_3
; %bb.1:
	s_load_b32 s4, s[0:1], 0x64
	v_mov_b32_e32 v1, v0
	s_mov_b32 s33, 0
	s_waitcnt lgkmcnt(0)
	s_and_b32 s14, s4, 0xffff
.LBB28_2:                               ; =>This Inner Loop Header: Depth=1
	s_delay_alu instid0(VALU_DEP_1) | instskip(SKIP_1) | instid1(VALU_DEP_2)
	v_add_nc_u32_e32 v4, s10, v1
	v_add_nc_u32_e32 v1, s14, v1
	v_ashrrev_i32_e32 v5, 31, v4
	s_delay_alu instid0(VALU_DEP_2) | instskip(NEXT) | instid1(VALU_DEP_2)
	v_cmp_le_i32_e32 vcc_lo, s11, v1
	v_lshlrev_b64 v[4:5], 2, v[4:5]
	s_or_b32 s33, vcc_lo, s33
	s_delay_alu instid0(VALU_DEP_1) | instskip(NEXT) | instid1(VALU_DEP_1)
	v_add_co_u32 v4, s4, s29, v4
	v_add_co_ci_u32_e64 v5, s4, s30, v5, s4
	global_store_b32 v[4:5], v3, off
	s_and_not1_b32 exec_lo, exec_lo, s33
	s_cbranch_execnz .LBB28_2
.LBB28_3:
	s_or_b32 exec_lo, exec_lo, s5
	s_load_b64 s[4:5], s[0:1], 0x30
	s_mul_i32 s9, s15, s9
	s_mul_hi_u32 s14, s15, s8
	s_mul_i32 s33, s31, s8
	s_add_i32 s9, s14, s9
	s_mul_i32 s8, s15, s8
	s_add_i32 s9, s9, s33
	v_mov_b32_e32 v4, 0
	s_lshl_b64 s[8:9], s[8:9], 2
	s_waitcnt lgkmcnt(0)
	s_ashr_i32 s35, s4, 31
	s_mov_b32 s34, s4
	s_add_u32 s4, s24, s8
	s_addc_u32 s24, s25, s9
	s_lshl_b64 s[8:9], s[34:35], 2
	s_delay_alu instid0(SALU_CYCLE_1)
	s_add_u32 s14, s4, s8
	s_addc_u32 s33, s24, s9
	s_mov_b32 s24, exec_lo
	v_cmpx_gt_i32_e64 s22, v0
	s_cbranch_execz .LBB28_7
; %bb.4:
	s_load_b32 s4, s[0:1], 0x64
	v_dual_mov_b32 v4, 0 :: v_dual_add_nc_u32 v1, s10, v0
	v_mov_b32_e32 v2, v0
	s_mov_b32 s8, 0x667f3bcd
	s_mov_b32 s9, 0x3ff6a09e
	s_delay_alu instid0(VALU_DEP_2)
	v_mul_lo_u32 v1, s5, v1
	s_mov_b32 s36, 0
	s_waitcnt lgkmcnt(0)
	s_and_b32 s25, s4, 0xffff
	s_add_u32 s34, s14, -4
	s_addc_u32 s35, s33, -1
	s_mul_i32 s37, s5, s25
.LBB28_5:                               ; =>This Inner Loop Header: Depth=1
	s_delay_alu instid0(VALU_DEP_1) | instskip(SKIP_2) | instid1(VALU_DEP_3)
	v_ashrrev_i32_e32 v6, 31, v1
	v_add_co_u32 v5, vcc_lo, v1, s20
	v_add_nc_u32_e32 v1, s37, v1
	v_add_co_ci_u32_e32 v6, vcc_lo, s21, v6, vcc_lo
	s_delay_alu instid0(VALU_DEP_1) | instskip(NEXT) | instid1(VALU_DEP_1)
	v_lshlrev_b64 v[5:6], 2, v[5:6]
	v_add_co_u32 v5, vcc_lo, s34, v5
	s_delay_alu instid0(VALU_DEP_2) | instskip(SKIP_3) | instid1(VALU_DEP_1)
	v_add_co_ci_u32_e32 v6, vcc_lo, s35, v6, vcc_lo
	global_load_b32 v5, v[5:6], off
	s_waitcnt vmcnt(0)
	v_cvt_f64_f32_e32 v[5:6], v5
	v_div_scale_f64 v[7:8], null, s[8:9], s[8:9], v[5:6]
	v_div_scale_f64 v[13:14], vcc_lo, v[5:6], s[8:9], v[5:6]
	s_delay_alu instid0(VALU_DEP_2) | instskip(SKIP_2) | instid1(VALU_DEP_1)
	v_rcp_f64_e32 v[9:10], v[7:8]
	s_waitcnt_depctr 0xfff
	v_fma_f64 v[11:12], -v[7:8], v[9:10], 1.0
	v_fma_f64 v[9:10], v[9:10], v[11:12], v[9:10]
	s_delay_alu instid0(VALU_DEP_1) | instskip(NEXT) | instid1(VALU_DEP_1)
	v_fma_f64 v[11:12], -v[7:8], v[9:10], 1.0
	v_fma_f64 v[9:10], v[9:10], v[11:12], v[9:10]
	s_delay_alu instid0(VALU_DEP_1) | instskip(NEXT) | instid1(VALU_DEP_1)
	v_mul_f64 v[11:12], v[13:14], v[9:10]
	v_fma_f64 v[7:8], -v[7:8], v[11:12], v[13:14]
	s_delay_alu instid0(VALU_DEP_1) | instskip(NEXT) | instid1(VALU_DEP_1)
	v_div_fmas_f64 v[7:8], v[7:8], v[9:10], v[11:12]
	v_div_fixup_f64 v[5:6], v[7:8], s[8:9], v[5:6]
	s_delay_alu instid0(VALU_DEP_1) | instskip(SKIP_2) | instid1(VALU_DEP_2)
	v_cvt_f32_f64_e32 v7, v[5:6]
	v_add_nc_u32_e32 v5, s10, v2
	v_add_nc_u32_e32 v2, s25, v2
	v_ashrrev_i32_e32 v6, 31, v5
	s_delay_alu instid0(VALU_DEP_2) | instskip(NEXT) | instid1(VALU_DEP_2)
	v_cmp_le_i32_e32 vcc_lo, s22, v2
	v_lshlrev_b64 v[5:6], 2, v[5:6]
	s_or_b32 s36, vcc_lo, s36
	s_delay_alu instid0(VALU_DEP_1) | instskip(NEXT) | instid1(VALU_DEP_1)
	v_add_co_u32 v5, s4, s7, v5
	v_add_co_ci_u32_e64 v6, s4, s28, v6, s4
	v_cmp_lt_f32_e64 s4, v4, |v7|
	global_store_b32 v[5:6], v7, off
	v_cndmask_b32_e64 v4, v4, |v7|, s4
	s_and_not1_b32 exec_lo, exec_lo, s36
	s_cbranch_execnz .LBB28_5
; %bb.6:
	s_or_b32 exec_lo, exec_lo, s36
.LBB28_7:
	s_delay_alu instid0(SALU_CYCLE_1) | instskip(NEXT) | instid1(SALU_CYCLE_1)
	s_or_b32 exec_lo, exec_lo, s24
	s_mov_b32 s4, exec_lo
                                        ; implicit-def: $sgpr8_sgpr9
	v_cmpx_le_i32_e64 s23, v0
	s_xor_b32 s4, exec_lo, s4
; %bb.8:
	s_add_u32 s8, s0, 0x58
	s_addc_u32 s9, s1, 0
; %bb.9:
	s_or_saveexec_b32 s21, s4
	v_dual_mov_b32 v1, s8 :: v_dual_mov_b32 v2, s9
	s_xor_b32 exec_lo, exec_lo, s21
	s_cbranch_execz .LBB28_13
; %bb.10:
	s_load_b32 s4, s[0:1], 0x64
	v_dual_mov_b32 v2, v0 :: v_dual_add_nc_u32 v1, s20, v0
	s_add_u32 s8, s0, 0x58
	s_addc_u32 s9, s1, 0
	s_mov_b32 s24, 0x667f3bcd
	s_delay_alu instid0(VALU_DEP_1) | instskip(SKIP_3) | instid1(SALU_CYCLE_1)
	v_mul_lo_u32 v1, s5, v1
	s_mov_b32 s25, 0x3ff6a09e
	s_waitcnt lgkmcnt(0)
	s_and_b32 s22, s4, 0xffff
	s_mul_i32 s34, s5, s22
	s_mov_b32 s5, 0
.LBB28_11:                              ; =>This Inner Loop Header: Depth=1
	s_delay_alu instid0(VALU_DEP_1) | instskip(SKIP_1) | instid1(VALU_DEP_2)
	v_add_nc_u32_e32 v5, s20, v1
	v_add_nc_u32_e32 v1, s34, v1
	v_ashrrev_i32_e32 v6, 31, v5
	s_delay_alu instid0(VALU_DEP_1) | instskip(NEXT) | instid1(VALU_DEP_1)
	v_lshlrev_b64 v[5:6], 2, v[5:6]
	v_add_co_u32 v5, vcc_lo, s14, v5
	s_delay_alu instid0(VALU_DEP_2) | instskip(SKIP_3) | instid1(VALU_DEP_1)
	v_add_co_ci_u32_e32 v6, vcc_lo, s33, v6, vcc_lo
	global_load_b32 v5, v[5:6], off
	s_waitcnt vmcnt(0)
	v_cvt_f64_f32_e32 v[5:6], v5
	v_div_scale_f64 v[7:8], null, s[24:25], s[24:25], v[5:6]
	v_div_scale_f64 v[13:14], vcc_lo, v[5:6], s[24:25], v[5:6]
	s_delay_alu instid0(VALU_DEP_2) | instskip(SKIP_2) | instid1(VALU_DEP_1)
	v_rcp_f64_e32 v[9:10], v[7:8]
	s_waitcnt_depctr 0xfff
	v_fma_f64 v[11:12], -v[7:8], v[9:10], 1.0
	v_fma_f64 v[9:10], v[9:10], v[11:12], v[9:10]
	s_delay_alu instid0(VALU_DEP_1) | instskip(NEXT) | instid1(VALU_DEP_1)
	v_fma_f64 v[11:12], -v[7:8], v[9:10], 1.0
	v_fma_f64 v[9:10], v[9:10], v[11:12], v[9:10]
	s_delay_alu instid0(VALU_DEP_1) | instskip(NEXT) | instid1(VALU_DEP_1)
	v_mul_f64 v[11:12], v[13:14], v[9:10]
	v_fma_f64 v[7:8], -v[7:8], v[11:12], v[13:14]
	s_delay_alu instid0(VALU_DEP_1) | instskip(NEXT) | instid1(VALU_DEP_1)
	v_div_fmas_f64 v[7:8], v[7:8], v[9:10], v[11:12]
	v_div_fixup_f64 v[5:6], v[7:8], s[24:25], v[5:6]
	s_delay_alu instid0(VALU_DEP_1) | instskip(SKIP_2) | instid1(VALU_DEP_2)
	v_cvt_f32_f64_e32 v7, v[5:6]
	v_add_nc_u32_e32 v5, s20, v2
	v_add_nc_u32_e32 v2, s22, v2
	v_ashrrev_i32_e32 v6, 31, v5
	s_delay_alu instid0(VALU_DEP_2) | instskip(NEXT) | instid1(VALU_DEP_2)
	v_cmp_le_i32_e32 vcc_lo, s23, v2
	v_lshlrev_b64 v[5:6], 2, v[5:6]
	s_or_b32 s5, vcc_lo, s5
	s_delay_alu instid0(VALU_DEP_1) | instskip(NEXT) | instid1(VALU_DEP_1)
	v_add_co_u32 v5, s4, s7, v5
	v_add_co_ci_u32_e64 v6, s4, s28, v6, s4
	v_cmp_lt_f32_e64 s4, v4, |v7|
	global_store_b32 v[5:6], v7, off
	v_cndmask_b32_e64 v4, v4, |v7|, s4
	s_and_not1_b32 exec_lo, exec_lo, s5
	s_cbranch_execnz .LBB28_11
; %bb.12:
	s_or_b32 exec_lo, exec_lo, s5
	v_dual_mov_b32 v1, s8 :: v_dual_mov_b32 v2, s9
.LBB28_13:
	s_or_b32 exec_lo, exec_lo, s21
                                        ; implicit-def: $sgpr4
                                        ; implicit-def: $vgpr7
                                        ; implicit-def: $vgpr5
	s_and_saveexec_b32 s5, s3
	s_delay_alu instid0(SALU_CYCLE_1)
	s_xor_b32 s3, exec_lo, s5
	s_cbranch_execz .LBB28_15
; %bb.14:
	global_load_u16 v7, v[1:2], off offset:12
	s_mov_b32 s4, 0
                                        ; implicit-def: $vgpr1_vgpr2
	s_waitcnt vmcnt(0)
	v_and_b32_e32 v5, 0xffff, v7
	s_or_saveexec_b32 s3, s3
	v_mov_b32_e32 v6, s4
	s_xor_b32 exec_lo, exec_lo, s3
	s_cbranch_execz .LBB28_19
	s_branch .LBB28_16
.LBB28_15:
	s_or_saveexec_b32 s3, s3
	v_mov_b32_e32 v6, s4
	s_xor_b32 exec_lo, exec_lo, s3
	s_cbranch_execz .LBB28_19
.LBB28_16:
	global_load_u16 v7, v[1:2], off offset:12
	s_mul_i32 s4, s15, s19
	s_mul_hi_u32 s5, s15, s18
	s_mul_i32 s8, s31, s18
	s_add_i32 s5, s5, s4
	s_mul_i32 s4, s15, s18
	s_add_i32 s5, s5, s8
	v_mov_b32_e32 v6, 0
	s_lshl_b64 s[4:5], s[4:5], 2
	v_mov_b32_e32 v1, v0
	s_add_u32 s4, s16, s4
	s_addc_u32 s8, s17, s5
	s_mov_b32 s5, 0
	s_waitcnt vmcnt(0)
	v_and_b32_e32 v5, 0xffff, v7
	.p2align	6
.LBB28_17:                              ; =>This Inner Loop Header: Depth=1
	v_add_nc_u32_e32 v8, s10, v1
	s_delay_alu instid0(VALU_DEP_2) | instskip(NEXT) | instid1(VALU_DEP_2)
	v_add_nc_u32_e32 v1, v1, v5
	v_ashrrev_i32_e32 v9, 31, v8
	s_delay_alu instid0(VALU_DEP_1) | instskip(NEXT) | instid1(VALU_DEP_1)
	v_lshlrev_b64 v[8:9], 2, v[8:9]
	v_add_co_u32 v8, vcc_lo, s4, v8
	s_delay_alu instid0(VALU_DEP_2)
	v_add_co_ci_u32_e32 v9, vcc_lo, s8, v9, vcc_lo
	v_cmp_le_i32_e32 vcc_lo, s11, v1
	global_load_b32 v2, v[8:9], off
	s_or_b32 s5, vcc_lo, s5
	s_waitcnt vmcnt(0)
	v_cmp_lt_f32_e64 s9, v6, |v2|
	s_delay_alu instid0(VALU_DEP_1)
	v_cndmask_b32_e64 v6, v6, |v2|, s9
	s_and_not1_b32 exec_lo, exec_lo, s5
	s_cbranch_execnz .LBB28_17
; %bb.18:
	s_or_b32 exec_lo, exec_lo, s5
.LBB28_19:
	s_delay_alu instid0(SALU_CYCLE_1)
	s_or_b32 exec_lo, exec_lo, s3
	v_lshlrev_b32_e32 v1, 2, v0
	s_mov_b32 s3, exec_lo
	ds_store_2addr_stride64_b32 v1, v6, v4 offset1:8
	s_waitcnt lgkmcnt(0)
	s_waitcnt_vscnt null, 0x0
	s_barrier
	buffer_gl0_inv
	v_cmpx_lt_u16_e32 1, v7
	s_cbranch_execz .LBB28_24
; %bb.20:
	v_or_b32_e32 v2, 0x800, v1
	v_mov_b32_e32 v7, v5
	s_mov_b32 s4, 0
	s_set_inst_prefetch_distance 0x1
	s_branch .LBB28_22
	.p2align	6
.LBB28_21:                              ;   in Loop: Header=BB28_22 Depth=1
	s_or_b32 exec_lo, exec_lo, s5
	v_cmp_gt_u32_e32 vcc_lo, 4, v7
	v_mov_b32_e32 v7, v8
	s_waitcnt lgkmcnt(0)
	s_barrier
	buffer_gl0_inv
	s_or_b32 s4, vcc_lo, s4
	s_delay_alu instid0(SALU_CYCLE_1)
	s_and_not1_b32 exec_lo, exec_lo, s4
	s_cbranch_execz .LBB28_24
.LBB28_22:                              ; =>This Inner Loop Header: Depth=1
	s_delay_alu instid0(VALU_DEP_1) | instskip(SKIP_1) | instid1(VALU_DEP_1)
	v_lshrrev_b32_e32 v8, 1, v7
	s_mov_b32 s5, exec_lo
	v_cmpx_lt_u32_e64 v0, v8
	s_cbranch_execz .LBB28_21
; %bb.23:                               ;   in Loop: Header=BB28_22 Depth=1
	v_lshlrev_b32_e32 v9, 2, v8
	s_delay_alu instid0(VALU_DEP_1)
	v_add_nc_u32_e32 v10, v1, v9
	v_add_nc_u32_e32 v9, v2, v9
	ds_load_b32 v10, v10
	ds_load_b32 v9, v9
	s_waitcnt lgkmcnt(1)
	v_cmp_lt_f32_e32 vcc_lo, v6, v10
	v_cndmask_b32_e32 v6, v6, v10, vcc_lo
	s_waitcnt lgkmcnt(0)
	v_cmp_lt_f32_e32 vcc_lo, v4, v9
	v_cndmask_b32_e32 v4, v4, v9, vcc_lo
	ds_store_b32 v1, v6
	ds_store_b32 v2, v4
	s_branch .LBB28_21
.LBB28_24:
	s_set_inst_prefetch_distance 0x2
	s_or_b32 exec_lo, exec_lo, s3
	s_and_saveexec_b32 s3, s2
	s_cbranch_execz .LBB28_29
; %bb.25:
	v_mov_b32_e32 v1, 0
	s_load_b32 s0, s[0:1], 0x50
	s_mul_hi_i32 s2, s6, 0xffffffec
	s_mov_b32 s4, 0
	ds_load_2addr_stride64_b32 v[1:2], v1 offset1:8
	s_waitcnt lgkmcnt(0)
	v_mul_f32_e64 v4, 0x41000000, s0
	s_mul_i32 s0, s6, 0xffffffec
	s_delay_alu instid0(SALU_CYCLE_1)
	s_add_u32 s1, s29, s0
	v_cmp_lt_f32_e32 vcc_lo, v1, v2
	s_addc_u32 s2, s30, s2
	s_add_u32 s3, s1, s12
	s_addc_u32 s5, s2, s13
	v_dual_cndmask_b32 v1, v1, v2 :: v_dual_mov_b32 v2, v0
	s_delay_alu instid0(VALU_DEP_1)
	v_mul_f32_e32 v1, v4, v1
	.p2align	6
.LBB28_26:                              ; =>This Inner Loop Header: Depth=1
	s_delay_alu instid0(VALU_DEP_2) | instskip(SKIP_1) | instid1(VALU_DEP_2)
	v_add_nc_u32_e32 v6, s10, v2
	v_add_nc_u32_e32 v2, v2, v5
	v_ashrrev_i32_e32 v7, 31, v6
	s_delay_alu instid0(VALU_DEP_2) | instskip(NEXT) | instid1(VALU_DEP_2)
	v_cmp_le_i32_e32 vcc_lo, s11, v2
	v_lshlrev_b64 v[6:7], 2, v[6:7]
	s_or_b32 s4, vcc_lo, s4
	s_delay_alu instid0(VALU_DEP_1) | instskip(NEXT) | instid1(VALU_DEP_1)
	v_add_co_u32 v8, s0, s1, v6
	v_add_co_ci_u32_e64 v9, s0, s2, v7, s0
	v_add_co_u32 v6, s0, s3, v6
	s_delay_alu instid0(VALU_DEP_1)
	v_add_co_ci_u32_e64 v7, s0, s5, v7, s0
	s_clause 0x1
	global_store_b32 v[8:9], v1, off
	global_store_b32 v[6:7], v1, off
	s_and_not1_b32 exec_lo, exec_lo, s4
	s_cbranch_execnz .LBB28_26
; %bb.27:
	s_or_b32 exec_lo, exec_lo, s4
	s_mov_b32 s1, 0
	.p2align	6
.LBB28_28:                              ; =>This Inner Loop Header: Depth=1
	v_add_nc_u32_e32 v6, s10, v0
	v_add_nc_u32_e32 v0, v0, v5
	s_delay_alu instid0(VALU_DEP_2) | instskip(NEXT) | instid1(VALU_DEP_1)
	v_ashrrev_i32_e32 v7, 31, v6
	v_lshlrev_b64 v[6:7], 2, v[6:7]
	s_delay_alu instid0(VALU_DEP_1) | instskip(NEXT) | instid1(VALU_DEP_2)
	v_add_co_u32 v8, vcc_lo, s7, v6
	v_add_co_ci_u32_e32 v9, vcc_lo, s28, v7, vcc_lo
	v_add_co_u32 v6, s0, s26, v6
	s_delay_alu instid0(VALU_DEP_1)
	v_add_co_ci_u32_e64 v7, s0, s27, v7, s0
	global_load_b32 v2, v[8:9], off
	v_cmp_le_i32_e32 vcc_lo, s11, v0
	s_or_b32 s1, vcc_lo, s1
	s_waitcnt vmcnt(0)
	v_mul_f32_e32 v2, v3, v2
	s_delay_alu instid0(VALU_DEP_1) | instskip(NEXT) | instid1(VALU_DEP_1)
	v_cmp_nle_f32_e64 s0, |v2|, v1
	v_cndmask_b32_e64 v2, 0, 1, s0
	global_store_b32 v[6:7], v2, off
	s_and_not1_b32 exec_lo, exec_lo, s1
	s_cbranch_execnz .LBB28_28
.LBB28_29:
	s_nop 0
	s_sendmsg sendmsg(MSG_DEALLOC_VGPRS)
	s_endpgm
	.section	.rodata,"a",@progbits
	.p2align	6, 0x0
	.amdhsa_kernel _ZN9rocsolver6v33100L37stedc_mergePrepare_DeflateZero_kernelIfEEviiPT_lS3_lS3_iilS3_PiS2_
		.amdhsa_group_segment_fixed_size 4096
		.amdhsa_private_segment_fixed_size 0
		.amdhsa_kernarg_size 344
		.amdhsa_user_sgpr_count 14
		.amdhsa_user_sgpr_dispatch_ptr 0
		.amdhsa_user_sgpr_queue_ptr 0
		.amdhsa_user_sgpr_kernarg_segment_ptr 1
		.amdhsa_user_sgpr_dispatch_id 0
		.amdhsa_user_sgpr_private_segment_size 0
		.amdhsa_wavefront_size32 1
		.amdhsa_uses_dynamic_stack 0
		.amdhsa_enable_private_segment 0
		.amdhsa_system_sgpr_workgroup_id_x 1
		.amdhsa_system_sgpr_workgroup_id_y 1
		.amdhsa_system_sgpr_workgroup_id_z 0
		.amdhsa_system_sgpr_workgroup_info 0
		.amdhsa_system_vgpr_workitem_id 0
		.amdhsa_next_free_vgpr 15
		.amdhsa_next_free_sgpr 38
		.amdhsa_reserve_vcc 1
		.amdhsa_float_round_mode_32 0
		.amdhsa_float_round_mode_16_64 0
		.amdhsa_float_denorm_mode_32 3
		.amdhsa_float_denorm_mode_16_64 3
		.amdhsa_dx10_clamp 1
		.amdhsa_ieee_mode 1
		.amdhsa_fp16_overflow 0
		.amdhsa_workgroup_processor_mode 1
		.amdhsa_memory_ordered 1
		.amdhsa_forward_progress 0
		.amdhsa_shared_vgpr_count 0
		.amdhsa_exception_fp_ieee_invalid_op 0
		.amdhsa_exception_fp_denorm_src 0
		.amdhsa_exception_fp_ieee_div_zero 0
		.amdhsa_exception_fp_ieee_overflow 0
		.amdhsa_exception_fp_ieee_underflow 0
		.amdhsa_exception_fp_ieee_inexact 0
		.amdhsa_exception_int_div_zero 0
	.end_amdhsa_kernel
	.section	.text._ZN9rocsolver6v33100L37stedc_mergePrepare_DeflateZero_kernelIfEEviiPT_lS3_lS3_iilS3_PiS2_,"axG",@progbits,_ZN9rocsolver6v33100L37stedc_mergePrepare_DeflateZero_kernelIfEEviiPT_lS3_lS3_iilS3_PiS2_,comdat
.Lfunc_end28:
	.size	_ZN9rocsolver6v33100L37stedc_mergePrepare_DeflateZero_kernelIfEEviiPT_lS3_lS3_iilS3_PiS2_, .Lfunc_end28-_ZN9rocsolver6v33100L37stedc_mergePrepare_DeflateZero_kernelIfEEviiPT_lS3_lS3_iilS3_PiS2_
                                        ; -- End function
	.section	.AMDGPU.csdata,"",@progbits
; Kernel info:
; codeLenInByte = 2116
; NumSgprs: 40
; NumVgprs: 15
; ScratchSize: 0
; MemoryBound: 0
; FloatMode: 240
; IeeeMode: 1
; LDSByteSize: 4096 bytes/workgroup (compile time only)
; SGPRBlocks: 4
; VGPRBlocks: 1
; NumSGPRsForWavesPerEU: 40
; NumVGPRsForWavesPerEU: 15
; Occupancy: 16
; WaveLimiterHint : 1
; COMPUTE_PGM_RSRC2:SCRATCH_EN: 0
; COMPUTE_PGM_RSRC2:USER_SGPR: 14
; COMPUTE_PGM_RSRC2:TRAP_HANDLER: 0
; COMPUTE_PGM_RSRC2:TGID_X_EN: 1
; COMPUTE_PGM_RSRC2:TGID_Y_EN: 1
; COMPUTE_PGM_RSRC2:TGID_Z_EN: 0
; COMPUTE_PGM_RSRC2:TIDIG_COMP_CNT: 0
	.section	.text._ZN9rocsolver6v33100L31stedc_mergePrepare_SortD_kernelIfEEviiPT_lS3_Pi,"axG",@progbits,_ZN9rocsolver6v33100L31stedc_mergePrepare_SortD_kernelIfEEviiPT_lS3_Pi,comdat
	.globl	_ZN9rocsolver6v33100L31stedc_mergePrepare_SortD_kernelIfEEviiPT_lS3_Pi ; -- Begin function _ZN9rocsolver6v33100L31stedc_mergePrepare_SortD_kernelIfEEviiPT_lS3_Pi
	.p2align	8
	.type	_ZN9rocsolver6v33100L31stedc_mergePrepare_SortD_kernelIfEEviiPT_lS3_Pi,@function
_ZN9rocsolver6v33100L31stedc_mergePrepare_SortD_kernelIfEEviiPT_lS3_Pi: ; @_ZN9rocsolver6v33100L31stedc_mergePrepare_SortD_kernelIfEEviiPT_lS3_Pi
; %bb.0:
	s_clause 0x1
	s_load_b32 s12, s[0:1], 0x4
	s_load_b256 s[4:11], s[0:1], 0x8
	s_ashr_i32 s2, s15, 31
	v_mov_b32_e32 v17, 0
	s_waitcnt lgkmcnt(0)
	s_mul_i32 s19, s15, s12
	s_mul_i32 s3, s15, s7
	s_mul_hi_u32 s7, s15, s6
	s_mul_i32 s16, s2, s6
	s_add_i32 s3, s7, s3
	s_mul_i32 s2, s15, s6
	s_add_i32 s3, s3, s16
	s_ashr_i32 s13, s12, 31
	s_lshl_b64 s[2:3], s[2:3], 2
	s_mul_i32 s6, s19, 13
	s_add_u32 s22, s4, s2
	s_addc_u32 s23, s5, s3
	s_ashr_i32 s7, s6, 31
	s_mul_i32 s5, s12, 12
	s_lshl_b64 s[2:3], s[6:7], 2
	s_load_b32 s6, s[0:1], 0x34
	s_add_u32 s2, s10, s2
	s_addc_u32 s3, s11, s3
	s_lshl_b32 s0, s12, 3
	s_mul_hi_i32 s4, s12, 12
	s_ashr_i32 s1, s0, 31
	s_mul_hi_i32 s7, s12, 0xffffffec
	s_lshl_b64 s[0:1], s[0:1], 2
	s_delay_alu instid0(SALU_CYCLE_1)
	s_add_u32 s24, s2, s0
	s_addc_u32 s25, s3, s1
	s_lshl_b64 s[0:1], s[12:13], 2
	s_mul_i32 s2, s12, 0xffffffec
	s_sub_u32 s13, s24, s0
	s_subb_u32 s16, s25, s1
	s_add_u32 s17, s13, s5
	s_addc_u32 s18, s16, s4
	s_add_u32 s4, s17, s2
	s_addc_u32 s5, s18, s7
	s_ashr_i32 s15, s14, 31
	s_delay_alu instid0(SALU_CYCLE_1) | instskip(NEXT) | instid1(SALU_CYCLE_1)
	s_lshl_b64 s[10:11], s[14:15], 2
	s_add_u32 s2, s22, s10
	s_addc_u32 s3, s23, s11
	s_add_u32 s4, s4, s10
	s_addc_u32 s5, s5, s11
	;; [unrolled: 2-line block ×3, first 2 shown]
	s_waitcnt lgkmcnt(0)
	s_and_b32 s21, s6, 0xffff
	s_load_b32 s27, s[4:5], 0x0
	s_lshl_b32 s26, s21, 3
	s_load_b32 s15, s[2:3], 0x0
	v_cvt_f32_u32_e32 v1, s26
	s_sub_i32 s5, 0, s26
	s_load_b32 s20, s[0:1], 0x0
	s_delay_alu instid0(VALU_DEP_1) | instskip(SKIP_4) | instid1(SALU_CYCLE_1)
	v_rcp_iflag_f32_e32 v1, v1
	s_waitcnt_depctr 0xfff
	v_mul_f32_e32 v1, 0x4f7ffffe, v1
	s_waitcnt lgkmcnt(0)
	s_add_i32 s6, s27, -1
	s_abs_i32 s7, s6
	s_delay_alu instid0(VALU_DEP_1) | instskip(SKIP_1) | instid1(VALU_DEP_1)
	v_cvt_u32_f32_e32 v1, v1
	s_ashr_i32 s1, s6, 31
	v_readfirstlane_b32 s4, v1
	v_mov_b32_e32 v1, 0
	s_delay_alu instid0(VALU_DEP_2) | instskip(NEXT) | instid1(SALU_CYCLE_1)
	s_mul_i32 s5, s5, s4
	s_mul_hi_u32 s5, s4, s5
	s_delay_alu instid0(SALU_CYCLE_1) | instskip(NEXT) | instid1(SALU_CYCLE_1)
	s_add_i32 s4, s4, s5
	s_mul_hi_u32 s2, s7, s4
	s_delay_alu instid0(SALU_CYCLE_1) | instskip(SKIP_2) | instid1(SALU_CYCLE_1)
	s_mul_i32 s0, s2, s26
	s_add_i32 s3, s2, 1
	s_sub_i32 s0, s7, s0
	s_sub_i32 s4, s0, s26
	s_cmp_ge_u32 s0, s26
	s_cselect_b32 s2, s3, s2
	s_cselect_b32 s0, s4, s0
	s_add_i32 s3, s2, 1
	s_cmp_ge_u32 s0, s26
	s_cselect_b32 s0, s3, s2
	s_delay_alu instid0(SALU_CYCLE_1) | instskip(NEXT) | instid1(SALU_CYCLE_1)
	s_xor_b32 s0, s0, s1
	s_sub_i32 s1, s0, s1
	s_mov_b32 s0, -1
	s_cmp_lt_i32 s1, 0
	s_cbranch_scc1 .LBB29_68
; %bb.1:
	s_add_u32 s2, s24, s10
	s_addc_u32 s3, s25, s11
	s_add_i32 s29, s1, 1
	s_load_b32 s28, s[2:3], 0x0
	s_lshl_b32 s0, s21, 1
	s_mul_i32 s1, s21, 3
	s_add_i32 s30, s20, s0
	s_add_i32 s31, s20, s1
	s_lshl_b32 s0, s21, 2
	s_mul_i32 s1, s21, 5
	v_dual_mov_b32 v17, 0 :: v_dual_mov_b32 v18, v0
	v_dual_mov_b32 v19, 0 :: v_dual_mov_b32 v20, 0
	v_mov_b32_e32 v21, 0
	s_add_i32 s33, s20, s0
	s_add_i32 s34, s20, s1
	s_mul_i32 s0, s21, 6
	s_mul_i32 s1, s21, 7
	s_add_i32 s35, s20, s0
	s_add_i32 s36, s20, s1
	;; [unrolled: 1-line block ×3, first 2 shown]
                                        ; implicit-def: $vgpr1_vgpr2_vgpr3_vgpr4_vgpr5_vgpr6_vgpr7_vgpr8
                                        ; implicit-def: $vgpr9_vgpr10_vgpr11_vgpr12_vgpr13_vgpr14_vgpr15_vgpr16
	s_branch .LBB29_4
.LBB29_2:                               ;   in Loop: Header=BB29_4 Depth=1
	s_or_b32 exec_lo, exec_lo, s3
	v_cmp_u_f32_e32 vcc_lo, v8, v8
	v_cndmask_b32_e64 v22, 0, 1, s2
	v_cndmask_b32_e64 v23, 0, 1, s0
	v_add_co_ci_u32_e32 v19, vcc_lo, 0, v19, vcc_lo
	v_cmp_lt_i32_e32 vcc_lo, 0, v16
	s_delay_alu instid0(VALU_DEP_4) | instskip(NEXT) | instid1(VALU_DEP_4)
	v_add_nc_u32_e32 v21, v21, v22
	v_add_nc_u32_e32 v20, v20, v23
	v_add_co_ci_u32_e32 v17, vcc_lo, 0, v17, vcc_lo
.LBB29_3:                               ;   in Loop: Header=BB29_4 Depth=1
	s_or_b32 exec_lo, exec_lo, s1
	v_add_nc_u32_e32 v18, s26, v18
	s_add_i32 s29, s29, -1
	s_delay_alu instid0(SALU_CYCLE_1)
	s_cmp_eq_u32 s29, 0
	s_cbranch_scc1 .LBB29_67
.LBB29_4:                               ; =>This Inner Loop Header: Depth=1
	s_delay_alu instid0(VALU_DEP_1) | instskip(NEXT) | instid1(VALU_DEP_1)
	v_cmp_gt_i32_e64 s6, s27, v18
	s_and_saveexec_b32 s0, s6
	s_cbranch_execz .LBB29_6
; %bb.5:                                ;   in Loop: Header=BB29_4 Depth=1
	v_add_nc_u32_e32 v22, s20, v18
	s_delay_alu instid0(VALU_DEP_1) | instskip(NEXT) | instid1(VALU_DEP_1)
	v_ashrrev_i32_e32 v23, 31, v22
	v_lshlrev_b64 v[22:23], 2, v[22:23]
	s_delay_alu instid0(VALU_DEP_1) | instskip(NEXT) | instid1(VALU_DEP_2)
	v_add_co_u32 v24, vcc_lo, s22, v22
	v_add_co_ci_u32_e32 v25, vcc_lo, s23, v23, vcc_lo
	v_add_co_u32 v22, vcc_lo, s24, v22
	v_add_co_ci_u32_e32 v23, vcc_lo, s25, v23, vcc_lo
	global_load_b32 v1, v[24:25], off
	global_load_b32 v9, v[22:23], off
.LBB29_6:                               ;   in Loop: Header=BB29_4 Depth=1
	s_or_b32 exec_lo, exec_lo, s0
	v_add_nc_u32_e32 v22, s21, v18
	s_delay_alu instid0(VALU_DEP_1) | instskip(NEXT) | instid1(VALU_DEP_1)
	v_cmp_gt_i32_e64 s5, s27, v22
	s_and_saveexec_b32 s0, s5
	s_cbranch_execz .LBB29_8
; %bb.7:                                ;   in Loop: Header=BB29_4 Depth=1
	v_add_nc_u32_e32 v23, s37, v18
	s_delay_alu instid0(VALU_DEP_1) | instskip(NEXT) | instid1(VALU_DEP_1)
	v_ashrrev_i32_e32 v24, 31, v23
	v_lshlrev_b64 v[23:24], 2, v[23:24]
	s_delay_alu instid0(VALU_DEP_1) | instskip(NEXT) | instid1(VALU_DEP_2)
	v_add_co_u32 v25, vcc_lo, s22, v23
	v_add_co_ci_u32_e32 v26, vcc_lo, s23, v24, vcc_lo
	v_add_co_u32 v23, vcc_lo, s24, v23
	v_add_co_ci_u32_e32 v24, vcc_lo, s25, v24, vcc_lo
	global_load_b32 v2, v[25:26], off
	global_load_b32 v10, v[23:24], off
.LBB29_8:                               ;   in Loop: Header=BB29_4 Depth=1
	s_or_b32 exec_lo, exec_lo, s0
	v_add_nc_u32_e32 v22, s21, v22
	s_delay_alu instid0(VALU_DEP_1) | instskip(NEXT) | instid1(VALU_DEP_1)
	v_cmp_gt_i32_e64 s4, s27, v22
	s_and_saveexec_b32 s0, s4
	s_cbranch_execz .LBB29_10
; %bb.9:                                ;   in Loop: Header=BB29_4 Depth=1
	v_add_nc_u32_e32 v23, s30, v18
	s_delay_alu instid0(VALU_DEP_1) | instskip(NEXT) | instid1(VALU_DEP_1)
	v_ashrrev_i32_e32 v24, 31, v23
	v_lshlrev_b64 v[23:24], 2, v[23:24]
	s_delay_alu instid0(VALU_DEP_1) | instskip(NEXT) | instid1(VALU_DEP_2)
	v_add_co_u32 v25, vcc_lo, s22, v23
	v_add_co_ci_u32_e32 v26, vcc_lo, s23, v24, vcc_lo
	v_add_co_u32 v23, vcc_lo, s24, v23
	v_add_co_ci_u32_e32 v24, vcc_lo, s25, v24, vcc_lo
	global_load_b32 v3, v[25:26], off
	global_load_b32 v11, v[23:24], off
.LBB29_10:                              ;   in Loop: Header=BB29_4 Depth=1
	s_or_b32 exec_lo, exec_lo, s0
	v_add_nc_u32_e32 v22, s21, v22
	s_delay_alu instid0(VALU_DEP_1) | instskip(NEXT) | instid1(VALU_DEP_1)
	v_cmp_gt_i32_e64 s3, s27, v22
	s_and_saveexec_b32 s0, s3
	s_cbranch_execz .LBB29_12
; %bb.11:                               ;   in Loop: Header=BB29_4 Depth=1
	v_add_nc_u32_e32 v23, s31, v18
	s_delay_alu instid0(VALU_DEP_1) | instskip(NEXT) | instid1(VALU_DEP_1)
	v_ashrrev_i32_e32 v24, 31, v23
	v_lshlrev_b64 v[23:24], 2, v[23:24]
	s_delay_alu instid0(VALU_DEP_1) | instskip(NEXT) | instid1(VALU_DEP_2)
	v_add_co_u32 v25, vcc_lo, s22, v23
	v_add_co_ci_u32_e32 v26, vcc_lo, s23, v24, vcc_lo
	v_add_co_u32 v23, vcc_lo, s24, v23
	v_add_co_ci_u32_e32 v24, vcc_lo, s25, v24, vcc_lo
	global_load_b32 v4, v[25:26], off
	global_load_b32 v12, v[23:24], off
.LBB29_12:                              ;   in Loop: Header=BB29_4 Depth=1
	s_or_b32 exec_lo, exec_lo, s0
	v_add_nc_u32_e32 v22, s21, v22
	s_delay_alu instid0(VALU_DEP_1) | instskip(NEXT) | instid1(VALU_DEP_1)
	v_cmp_gt_i32_e64 s2, s27, v22
	s_and_saveexec_b32 s0, s2
	s_cbranch_execz .LBB29_14
; %bb.13:                               ;   in Loop: Header=BB29_4 Depth=1
	v_add_nc_u32_e32 v23, s33, v18
	s_delay_alu instid0(VALU_DEP_1) | instskip(NEXT) | instid1(VALU_DEP_1)
	v_ashrrev_i32_e32 v24, 31, v23
	v_lshlrev_b64 v[23:24], 2, v[23:24]
	s_delay_alu instid0(VALU_DEP_1) | instskip(NEXT) | instid1(VALU_DEP_2)
	v_add_co_u32 v25, vcc_lo, s22, v23
	v_add_co_ci_u32_e32 v26, vcc_lo, s23, v24, vcc_lo
	v_add_co_u32 v23, vcc_lo, s24, v23
	v_add_co_ci_u32_e32 v24, vcc_lo, s25, v24, vcc_lo
	global_load_b32 v5, v[25:26], off
	global_load_b32 v13, v[23:24], off
.LBB29_14:                              ;   in Loop: Header=BB29_4 Depth=1
	;; [unrolled: 19-line block ×4, first 2 shown]
	s_or_b32 exec_lo, exec_lo, s7
	v_add_nc_u32_e32 v22, s21, v22
	s_delay_alu instid0(VALU_DEP_1)
	v_cmp_gt_i32_e32 vcc_lo, s27, v22
	s_and_saveexec_b32 s38, vcc_lo
	s_cbranch_execnz .LBB29_27
; %bb.19:                               ;   in Loop: Header=BB29_4 Depth=1
	s_or_b32 exec_lo, exec_lo, s38
	s_and_saveexec_b32 s38, s6
	s_cbranch_execnz .LBB29_28
.LBB29_20:                              ;   in Loop: Header=BB29_4 Depth=1
	s_or_b32 exec_lo, exec_lo, s38
	s_and_saveexec_b32 s7, s5
	s_cbranch_execnz .LBB29_33
.LBB29_21:                              ;   in Loop: Header=BB29_4 Depth=1
	s_or_b32 exec_lo, exec_lo, s7
	s_and_saveexec_b32 s6, s4
	s_cbranch_execnz .LBB29_38
.LBB29_22:                              ;   in Loop: Header=BB29_4 Depth=1
	s_or_b32 exec_lo, exec_lo, s6
	s_and_saveexec_b32 s5, s3
	s_cbranch_execnz .LBB29_43
.LBB29_23:                              ;   in Loop: Header=BB29_4 Depth=1
	s_or_b32 exec_lo, exec_lo, s5
	s_and_saveexec_b32 s4, s2
	s_cbranch_execnz .LBB29_48
.LBB29_24:                              ;   in Loop: Header=BB29_4 Depth=1
	s_or_b32 exec_lo, exec_lo, s4
	s_and_saveexec_b32 s3, s1
	s_cbranch_execnz .LBB29_53
.LBB29_25:                              ;   in Loop: Header=BB29_4 Depth=1
	s_or_b32 exec_lo, exec_lo, s3
	s_and_saveexec_b32 s2, s0
	s_cbranch_execnz .LBB29_58
.LBB29_26:                              ;   in Loop: Header=BB29_4 Depth=1
	s_or_b32 exec_lo, exec_lo, s2
	s_and_saveexec_b32 s1, vcc_lo
	s_cbranch_execz .LBB29_3
	s_branch .LBB29_63
.LBB29_27:                              ;   in Loop: Header=BB29_4 Depth=1
	v_add_nc_u32_e32 v22, s36, v18
	s_delay_alu instid0(VALU_DEP_1) | instskip(NEXT) | instid1(VALU_DEP_1)
	v_ashrrev_i32_e32 v23, 31, v22
	v_lshlrev_b64 v[22:23], 2, v[22:23]
	s_delay_alu instid0(VALU_DEP_1) | instskip(NEXT) | instid1(VALU_DEP_1)
	v_add_co_u32 v24, s7, s22, v22
	v_add_co_ci_u32_e64 v25, s7, s23, v23, s7
	v_add_co_u32 v22, s7, s24, v22
	s_delay_alu instid0(VALU_DEP_1)
	v_add_co_ci_u32_e64 v23, s7, s25, v23, s7
	global_load_b32 v8, v[24:25], off
	global_load_b32 v16, v[22:23], off
	s_or_b32 exec_lo, exec_lo, s38
	s_and_saveexec_b32 s38, s6
	s_cbranch_execz .LBB29_20
.LBB29_28:                              ;   in Loop: Header=BB29_4 Depth=1
	s_mov_b32 s39, -1
	s_mov_b32 s40, exec_lo
	s_waitcnt vmcnt(0) lgkmcnt(0)
	v_cmpx_ge_i32_e64 s28, v9
; %bb.29:                               ;   in Loop: Header=BB29_4 Depth=1
	v_cmp_eq_u32_e64 s6, s28, v9
	v_cmp_gt_f32_e64 s7, s15, v1
	s_delay_alu instid0(VALU_DEP_1) | instskip(NEXT) | instid1(SALU_CYCLE_1)
	s_and_b32 s6, s6, s7
	s_or_not1_b32 s39, s6, exec_lo
; %bb.30:                               ;   in Loop: Header=BB29_4 Depth=1
	s_or_b32 exec_lo, exec_lo, s40
	v_cmp_eq_u32_e64 s6, s28, v9
	v_cmp_eq_f32_e64 s7, s15, v1
	s_delay_alu instid0(VALU_DEP_1)
	s_and_b32 s6, s6, s7
	s_mov_b32 s7, 0
	s_and_saveexec_b32 s40, s6
; %bb.31:                               ;   in Loop: Header=BB29_4 Depth=1
	v_add_nc_u32_e32 v22, s20, v18
	s_delay_alu instid0(VALU_DEP_1) | instskip(NEXT) | instid1(VALU_DEP_1)
	v_cmp_gt_i32_e64 s6, s14, v22
	s_and_b32 s7, s6, exec_lo
; %bb.32:                               ;   in Loop: Header=BB29_4 Depth=1
	s_or_b32 exec_lo, exec_lo, s40
	v_cmp_u_f32_e64 s6, v1, v1
	v_cndmask_b32_e64 v22, 0, 1, s39
	v_cndmask_b32_e64 v23, 0, 1, s7
	s_delay_alu instid0(VALU_DEP_3) | instskip(SKIP_1) | instid1(VALU_DEP_4)
	v_add_co_ci_u32_e64 v19, s6, 0, v19, s6
	v_cmp_lt_i32_e64 s6, 0, v9
	v_add_nc_u32_e32 v21, v21, v22
	s_delay_alu instid0(VALU_DEP_4) | instskip(NEXT) | instid1(VALU_DEP_3)
	v_add_nc_u32_e32 v20, v20, v23
	v_add_co_ci_u32_e64 v17, s6, 0, v17, s6
	s_or_b32 exec_lo, exec_lo, s38
	s_and_saveexec_b32 s7, s5
	s_cbranch_execz .LBB29_21
.LBB29_33:                              ;   in Loop: Header=BB29_4 Depth=1
	s_mov_b32 s38, -1
	s_mov_b32 s39, exec_lo
	s_waitcnt vmcnt(0) lgkmcnt(0)
	v_cmpx_ge_i32_e64 s28, v10
; %bb.34:                               ;   in Loop: Header=BB29_4 Depth=1
	v_cmp_eq_u32_e64 s5, s28, v10
	v_cmp_gt_f32_e64 s6, s15, v2
	s_delay_alu instid0(VALU_DEP_1) | instskip(NEXT) | instid1(SALU_CYCLE_1)
	s_and_b32 s5, s5, s6
	s_or_not1_b32 s38, s5, exec_lo
; %bb.35:                               ;   in Loop: Header=BB29_4 Depth=1
	s_or_b32 exec_lo, exec_lo, s39
	v_cmp_eq_u32_e64 s5, s28, v10
	v_cmp_eq_f32_e64 s6, s15, v2
	s_delay_alu instid0(VALU_DEP_1)
	s_and_b32 s5, s5, s6
	s_mov_b32 s6, 0
	s_and_saveexec_b32 s39, s5
; %bb.36:                               ;   in Loop: Header=BB29_4 Depth=1
	v_add_nc_u32_e32 v22, s37, v18
	s_delay_alu instid0(VALU_DEP_1) | instskip(NEXT) | instid1(VALU_DEP_1)
	v_cmp_gt_i32_e64 s5, s14, v22
	s_and_b32 s6, s5, exec_lo
; %bb.37:                               ;   in Loop: Header=BB29_4 Depth=1
	s_or_b32 exec_lo, exec_lo, s39
	v_cmp_u_f32_e64 s5, v2, v2
	v_cndmask_b32_e64 v22, 0, 1, s38
	v_cndmask_b32_e64 v23, 0, 1, s6
	s_delay_alu instid0(VALU_DEP_3) | instskip(SKIP_1) | instid1(VALU_DEP_4)
	v_add_co_ci_u32_e64 v19, s5, 0, v19, s5
	v_cmp_lt_i32_e64 s5, 0, v10
	v_add_nc_u32_e32 v21, v21, v22
	s_delay_alu instid0(VALU_DEP_4) | instskip(NEXT) | instid1(VALU_DEP_3)
	v_add_nc_u32_e32 v20, v20, v23
	v_add_co_ci_u32_e64 v17, s5, 0, v17, s5
	s_or_b32 exec_lo, exec_lo, s7
	s_and_saveexec_b32 s6, s4
	s_cbranch_execz .LBB29_22
.LBB29_38:                              ;   in Loop: Header=BB29_4 Depth=1
	s_mov_b32 s7, -1
	s_mov_b32 s38, exec_lo
	s_waitcnt vmcnt(0) lgkmcnt(0)
	v_cmpx_ge_i32_e64 s28, v11
; %bb.39:                               ;   in Loop: Header=BB29_4 Depth=1
	v_cmp_eq_u32_e64 s4, s28, v11
	v_cmp_gt_f32_e64 s5, s15, v3
	s_delay_alu instid0(VALU_DEP_1) | instskip(NEXT) | instid1(SALU_CYCLE_1)
	s_and_b32 s4, s4, s5
	s_or_not1_b32 s7, s4, exec_lo
; %bb.40:                               ;   in Loop: Header=BB29_4 Depth=1
	s_or_b32 exec_lo, exec_lo, s38
	v_cmp_eq_u32_e64 s4, s28, v11
	v_cmp_eq_f32_e64 s5, s15, v3
	s_delay_alu instid0(VALU_DEP_1)
	s_and_b32 s4, s4, s5
	s_mov_b32 s5, 0
	s_and_saveexec_b32 s38, s4
; %bb.41:                               ;   in Loop: Header=BB29_4 Depth=1
	v_add_nc_u32_e32 v22, s30, v18
	s_delay_alu instid0(VALU_DEP_1) | instskip(NEXT) | instid1(VALU_DEP_1)
	v_cmp_gt_i32_e64 s4, s14, v22
	s_and_b32 s5, s4, exec_lo
; %bb.42:                               ;   in Loop: Header=BB29_4 Depth=1
	s_or_b32 exec_lo, exec_lo, s38
	v_cmp_u_f32_e64 s4, v3, v3
	v_cndmask_b32_e64 v22, 0, 1, s7
	v_cndmask_b32_e64 v23, 0, 1, s5
	s_delay_alu instid0(VALU_DEP_3) | instskip(SKIP_1) | instid1(VALU_DEP_4)
	v_add_co_ci_u32_e64 v19, s4, 0, v19, s4
	v_cmp_lt_i32_e64 s4, 0, v11
	v_add_nc_u32_e32 v21, v21, v22
	s_delay_alu instid0(VALU_DEP_4) | instskip(NEXT) | instid1(VALU_DEP_3)
	v_add_nc_u32_e32 v20, v20, v23
	v_add_co_ci_u32_e64 v17, s4, 0, v17, s4
	s_or_b32 exec_lo, exec_lo, s6
	s_and_saveexec_b32 s5, s3
	s_cbranch_execz .LBB29_23
.LBB29_43:                              ;   in Loop: Header=BB29_4 Depth=1
	s_mov_b32 s6, -1
	s_mov_b32 s7, exec_lo
	s_waitcnt vmcnt(0) lgkmcnt(0)
	v_cmpx_ge_i32_e64 s28, v12
; %bb.44:                               ;   in Loop: Header=BB29_4 Depth=1
	v_cmp_eq_u32_e64 s3, s28, v12
	v_cmp_gt_f32_e64 s4, s15, v4
	s_delay_alu instid0(VALU_DEP_1) | instskip(NEXT) | instid1(SALU_CYCLE_1)
	s_and_b32 s3, s3, s4
	s_or_not1_b32 s6, s3, exec_lo
; %bb.45:                               ;   in Loop: Header=BB29_4 Depth=1
	s_or_b32 exec_lo, exec_lo, s7
	v_cmp_eq_u32_e64 s3, s28, v12
	v_cmp_eq_f32_e64 s4, s15, v4
	s_delay_alu instid0(VALU_DEP_1)
	s_and_b32 s3, s3, s4
	s_mov_b32 s4, 0
	s_and_saveexec_b32 s7, s3
; %bb.46:                               ;   in Loop: Header=BB29_4 Depth=1
	v_add_nc_u32_e32 v22, s31, v18
	s_delay_alu instid0(VALU_DEP_1) | instskip(NEXT) | instid1(VALU_DEP_1)
	v_cmp_gt_i32_e64 s3, s14, v22
	s_and_b32 s4, s3, exec_lo
; %bb.47:                               ;   in Loop: Header=BB29_4 Depth=1
	s_or_b32 exec_lo, exec_lo, s7
	v_cmp_u_f32_e64 s3, v4, v4
	v_cndmask_b32_e64 v22, 0, 1, s6
	v_cndmask_b32_e64 v23, 0, 1, s4
	s_delay_alu instid0(VALU_DEP_3) | instskip(SKIP_1) | instid1(VALU_DEP_4)
	v_add_co_ci_u32_e64 v19, s3, 0, v19, s3
	v_cmp_lt_i32_e64 s3, 0, v12
	v_add_nc_u32_e32 v21, v21, v22
	s_delay_alu instid0(VALU_DEP_4) | instskip(NEXT) | instid1(VALU_DEP_3)
	v_add_nc_u32_e32 v20, v20, v23
	v_add_co_ci_u32_e64 v17, s3, 0, v17, s3
	s_or_b32 exec_lo, exec_lo, s5
	s_and_saveexec_b32 s4, s2
	s_cbranch_execz .LBB29_24
.LBB29_48:                              ;   in Loop: Header=BB29_4 Depth=1
	s_mov_b32 s5, -1
	s_mov_b32 s6, exec_lo
	s_waitcnt vmcnt(0) lgkmcnt(0)
	v_cmpx_ge_i32_e64 s28, v13
; %bb.49:                               ;   in Loop: Header=BB29_4 Depth=1
	v_cmp_eq_u32_e64 s2, s28, v13
	v_cmp_gt_f32_e64 s3, s15, v5
	s_delay_alu instid0(VALU_DEP_1) | instskip(NEXT) | instid1(SALU_CYCLE_1)
	s_and_b32 s2, s2, s3
	s_or_not1_b32 s5, s2, exec_lo
; %bb.50:                               ;   in Loop: Header=BB29_4 Depth=1
	s_or_b32 exec_lo, exec_lo, s6
	v_cmp_eq_u32_e64 s2, s28, v13
	v_cmp_eq_f32_e64 s3, s15, v5
	s_delay_alu instid0(VALU_DEP_1)
	s_and_b32 s2, s2, s3
	s_mov_b32 s3, 0
	s_and_saveexec_b32 s6, s2
; %bb.51:                               ;   in Loop: Header=BB29_4 Depth=1
	v_add_nc_u32_e32 v22, s33, v18
	s_delay_alu instid0(VALU_DEP_1) | instskip(NEXT) | instid1(VALU_DEP_1)
	v_cmp_gt_i32_e64 s2, s14, v22
	s_and_b32 s3, s2, exec_lo
; %bb.52:                               ;   in Loop: Header=BB29_4 Depth=1
	s_or_b32 exec_lo, exec_lo, s6
	v_cmp_u_f32_e64 s2, v5, v5
	v_cndmask_b32_e64 v22, 0, 1, s5
	v_cndmask_b32_e64 v23, 0, 1, s3
	s_delay_alu instid0(VALU_DEP_3) | instskip(SKIP_1) | instid1(VALU_DEP_4)
	v_add_co_ci_u32_e64 v19, s2, 0, v19, s2
	v_cmp_lt_i32_e64 s2, 0, v13
	v_add_nc_u32_e32 v21, v21, v22
	s_delay_alu instid0(VALU_DEP_4) | instskip(NEXT) | instid1(VALU_DEP_3)
	v_add_nc_u32_e32 v20, v20, v23
	v_add_co_ci_u32_e64 v17, s2, 0, v17, s2
	s_or_b32 exec_lo, exec_lo, s4
	s_and_saveexec_b32 s3, s1
	s_cbranch_execz .LBB29_25
.LBB29_53:                              ;   in Loop: Header=BB29_4 Depth=1
	s_mov_b32 s4, -1
	s_mov_b32 s5, exec_lo
	s_waitcnt vmcnt(0) lgkmcnt(0)
	v_cmpx_ge_i32_e64 s28, v14
; %bb.54:                               ;   in Loop: Header=BB29_4 Depth=1
	v_cmp_eq_u32_e64 s1, s28, v14
	v_cmp_gt_f32_e64 s2, s15, v6
	s_delay_alu instid0(VALU_DEP_1) | instskip(NEXT) | instid1(SALU_CYCLE_1)
	s_and_b32 s1, s1, s2
	s_or_not1_b32 s4, s1, exec_lo
; %bb.55:                               ;   in Loop: Header=BB29_4 Depth=1
	s_or_b32 exec_lo, exec_lo, s5
	v_cmp_eq_u32_e64 s1, s28, v14
	v_cmp_eq_f32_e64 s2, s15, v6
	s_delay_alu instid0(VALU_DEP_1)
	s_and_b32 s1, s1, s2
	s_mov_b32 s2, 0
	s_and_saveexec_b32 s5, s1
; %bb.56:                               ;   in Loop: Header=BB29_4 Depth=1
	v_add_nc_u32_e32 v22, s34, v18
	s_delay_alu instid0(VALU_DEP_1) | instskip(NEXT) | instid1(VALU_DEP_1)
	v_cmp_gt_i32_e64 s1, s14, v22
	s_and_b32 s2, s1, exec_lo
; %bb.57:                               ;   in Loop: Header=BB29_4 Depth=1
	s_or_b32 exec_lo, exec_lo, s5
	v_cmp_u_f32_e64 s1, v6, v6
	v_cndmask_b32_e64 v22, 0, 1, s4
	v_cndmask_b32_e64 v23, 0, 1, s2
	s_delay_alu instid0(VALU_DEP_3) | instskip(SKIP_1) | instid1(VALU_DEP_4)
	v_add_co_ci_u32_e64 v19, s1, 0, v19, s1
	v_cmp_lt_i32_e64 s1, 0, v14
	v_add_nc_u32_e32 v21, v21, v22
	s_delay_alu instid0(VALU_DEP_4) | instskip(NEXT) | instid1(VALU_DEP_3)
	v_add_nc_u32_e32 v20, v20, v23
	v_add_co_ci_u32_e64 v17, s1, 0, v17, s1
	s_or_b32 exec_lo, exec_lo, s3
	s_and_saveexec_b32 s2, s0
	s_cbranch_execz .LBB29_26
.LBB29_58:                              ;   in Loop: Header=BB29_4 Depth=1
	s_mov_b32 s3, -1
	s_mov_b32 s4, exec_lo
	s_waitcnt vmcnt(0) lgkmcnt(0)
	v_cmpx_ge_i32_e64 s28, v15
; %bb.59:                               ;   in Loop: Header=BB29_4 Depth=1
	v_cmp_eq_u32_e64 s0, s28, v15
	v_cmp_gt_f32_e64 s1, s15, v7
	s_delay_alu instid0(VALU_DEP_1) | instskip(NEXT) | instid1(SALU_CYCLE_1)
	s_and_b32 s0, s0, s1
	s_or_not1_b32 s3, s0, exec_lo
; %bb.60:                               ;   in Loop: Header=BB29_4 Depth=1
	s_or_b32 exec_lo, exec_lo, s4
	v_cmp_eq_u32_e64 s0, s28, v15
	v_cmp_eq_f32_e64 s1, s15, v7
	s_delay_alu instid0(VALU_DEP_1)
	s_and_b32 s0, s0, s1
	s_mov_b32 s1, 0
	s_and_saveexec_b32 s4, s0
; %bb.61:                               ;   in Loop: Header=BB29_4 Depth=1
	v_add_nc_u32_e32 v22, s35, v18
	s_delay_alu instid0(VALU_DEP_1) | instskip(NEXT) | instid1(VALU_DEP_1)
	v_cmp_gt_i32_e64 s0, s14, v22
	s_and_b32 s1, s0, exec_lo
; %bb.62:                               ;   in Loop: Header=BB29_4 Depth=1
	s_or_b32 exec_lo, exec_lo, s4
	v_cmp_u_f32_e64 s0, v7, v7
	v_cndmask_b32_e64 v22, 0, 1, s3
	v_cndmask_b32_e64 v23, 0, 1, s1
	s_delay_alu instid0(VALU_DEP_3) | instskip(SKIP_1) | instid1(VALU_DEP_4)
	v_add_co_ci_u32_e64 v19, s0, 0, v19, s0
	v_cmp_lt_i32_e64 s0, 0, v15
	v_add_nc_u32_e32 v21, v21, v22
	s_delay_alu instid0(VALU_DEP_4) | instskip(NEXT) | instid1(VALU_DEP_3)
	v_add_nc_u32_e32 v20, v20, v23
	v_add_co_ci_u32_e64 v17, s0, 0, v17, s0
	s_or_b32 exec_lo, exec_lo, s2
	s_and_saveexec_b32 s1, vcc_lo
	s_cbranch_execz .LBB29_3
.LBB29_63:                              ;   in Loop: Header=BB29_4 Depth=1
	s_mov_b32 s2, -1
	s_mov_b32 s3, exec_lo
	s_waitcnt vmcnt(0) lgkmcnt(0)
	v_cmpx_ge_i32_e64 s28, v16
; %bb.64:                               ;   in Loop: Header=BB29_4 Depth=1
	v_cmp_eq_u32_e32 vcc_lo, s28, v16
	v_cmp_gt_f32_e64 s0, s15, v8
	s_delay_alu instid0(VALU_DEP_1) | instskip(NEXT) | instid1(SALU_CYCLE_1)
	s_and_b32 s0, vcc_lo, s0
	s_or_not1_b32 s2, s0, exec_lo
; %bb.65:                               ;   in Loop: Header=BB29_4 Depth=1
	s_or_b32 exec_lo, exec_lo, s3
	v_cmp_eq_u32_e32 vcc_lo, s28, v16
	v_cmp_eq_f32_e64 s0, s15, v8
	s_delay_alu instid0(VALU_DEP_1)
	s_and_b32 s4, vcc_lo, s0
	s_mov_b32 s0, 0
	s_and_saveexec_b32 s3, s4
	s_cbranch_execz .LBB29_2
; %bb.66:                               ;   in Loop: Header=BB29_4 Depth=1
	v_add_nc_u32_e32 v22, s36, v18
	s_delay_alu instid0(VALU_DEP_1)
	v_cmp_gt_i32_e32 vcc_lo, s14, v22
	s_and_b32 s0, vcc_lo, exec_lo
	s_branch .LBB29_2
.LBB29_67:
	s_waitcnt vmcnt(1)
	v_add_nc_u32_e32 v1, v20, v21
	v_cmp_eq_u32_e64 s0, 0, v19
.LBB29_68:
	v_lshlrev_b32_e32 v2, 2, v0
	s_cmp_lt_u32 s21, 2
	ds_store_2addr_stride64_b32 v2, v17, v1 offset1:8
	s_cbranch_scc1 .LBB29_74
; %bb.69:
	v_or_b32_e32 v3, 0x800, v2
	.p2align	6
.LBB29_70:                              ; =>This Inner Loop Header: Depth=1
	s_lshr_b32 s1, s21, 1
	s_mov_b32 s2, exec_lo
	s_waitcnt vmcnt(0) lgkmcnt(0)
	s_barrier
	buffer_gl0_inv
	v_cmpx_gt_u32_e64 s1, v0
	s_cbranch_execz .LBB29_72
; %bb.71:                               ;   in Loop: Header=BB29_70 Depth=1
	s_lshl_b32 s3, s1, 2
	s_delay_alu instid0(SALU_CYCLE_1)
	v_add_nc_u32_e32 v4, s3, v3
	v_add_nc_u32_e32 v5, s3, v2
	ds_load_b32 v4, v4
	ds_load_b32 v5, v5
	s_waitcnt lgkmcnt(1)
	v_add_nc_u32_e32 v1, v4, v1
	s_waitcnt lgkmcnt(0)
	v_add_nc_u32_e32 v17, v5, v17
	ds_store_b32 v3, v1
	ds_store_b32 v2, v17
.LBB29_72:                              ;   in Loop: Header=BB29_70 Depth=1
	s_or_b32 exec_lo, exec_lo, s2
	s_cmp_lt_u32 s21, 4
	s_cbranch_scc1 .LBB29_74
; %bb.73:                               ;   in Loop: Header=BB29_70 Depth=1
	s_mov_b32 s21, s1
	s_branch .LBB29_70
.LBB29_74:
	s_mul_i32 s2, s19, 10
	s_mul_i32 s4, s12, 6
	s_ashr_i32 s3, s2, 31
	s_xor_b32 s0, s0, -1
	s_lshl_b64 s[2:3], s[2:3], 2
	s_ashr_i32 s5, s4, 31
	s_add_u32 s1, s8, s2
	s_addc_u32 s6, s9, s3
	s_lshl_b64 s[2:3], s[4:5], 2
	s_delay_alu instid0(SALU_CYCLE_1)
	s_add_u32 s1, s1, s2
	s_addc_u32 s2, s6, s3
	s_mov_b32 s3, exec_lo
	v_cmpx_eq_u32_e32 0, v0
	s_cbranch_execz .LBB29_76
; %bb.75:
	v_dual_mov_b32 v7, s15 :: v_dual_add_nc_u32 v0, s20, v1
	v_mov_b32_e32 v6, s14
	s_delay_alu instid0(VALU_DEP_2) | instskip(NEXT) | instid1(VALU_DEP_1)
	v_ashrrev_i32_e32 v1, 31, v0
	v_lshlrev_b64 v[0:1], 2, v[0:1]
	s_delay_alu instid0(VALU_DEP_1) | instskip(NEXT) | instid1(VALU_DEP_2)
	v_add_co_u32 v2, vcc_lo, s17, v0
	v_add_co_ci_u32_e32 v3, vcc_lo, s18, v1, vcc_lo
	v_add_co_u32 v4, vcc_lo, s13, v0
	v_add_co_ci_u32_e32 v5, vcc_lo, s16, v1, vcc_lo
	;; [unrolled: 2-line block ×3, first 2 shown]
	s_clause 0x1
	global_store_b32 v[4:5], v17, off
	global_store_b32 v[2:3], v6, off
	;; [unrolled: 1-line block ×3, first 2 shown]
.LBB29_76:
	s_or_b32 exec_lo, exec_lo, s3
	s_waitcnt vmcnt(0) lgkmcnt(0)
	s_waitcnt_vscnt null, 0x0
	s_barrier
	buffer_gl0_inv
	s_and_saveexec_b32 s3, s0
	s_cbranch_execz .LBB29_78
; %bb.77:
	v_dual_mov_b32 v0, 0 :: v_dual_mov_b32 v1, 0x7fc00000
	s_add_u32 s0, s1, s10
	s_addc_u32 s1, s2, s11
	global_store_b32 v0, v1, s[0:1]
.LBB29_78:
	s_nop 0
	s_sendmsg sendmsg(MSG_DEALLOC_VGPRS)
	s_endpgm
	.section	.rodata,"a",@progbits
	.p2align	6, 0x0
	.amdhsa_kernel _ZN9rocsolver6v33100L31stedc_mergePrepare_SortD_kernelIfEEviiPT_lS3_Pi
		.amdhsa_group_segment_fixed_size 4096
		.amdhsa_private_segment_fixed_size 0
		.amdhsa_kernarg_size 296
		.amdhsa_user_sgpr_count 14
		.amdhsa_user_sgpr_dispatch_ptr 0
		.amdhsa_user_sgpr_queue_ptr 0
		.amdhsa_user_sgpr_kernarg_segment_ptr 1
		.amdhsa_user_sgpr_dispatch_id 0
		.amdhsa_user_sgpr_private_segment_size 0
		.amdhsa_wavefront_size32 1
		.amdhsa_uses_dynamic_stack 0
		.amdhsa_enable_private_segment 0
		.amdhsa_system_sgpr_workgroup_id_x 1
		.amdhsa_system_sgpr_workgroup_id_y 1
		.amdhsa_system_sgpr_workgroup_id_z 0
		.amdhsa_system_sgpr_workgroup_info 0
		.amdhsa_system_vgpr_workitem_id 0
		.amdhsa_next_free_vgpr 27
		.amdhsa_next_free_sgpr 41
		.amdhsa_reserve_vcc 1
		.amdhsa_float_round_mode_32 0
		.amdhsa_float_round_mode_16_64 0
		.amdhsa_float_denorm_mode_32 3
		.amdhsa_float_denorm_mode_16_64 3
		.amdhsa_dx10_clamp 1
		.amdhsa_ieee_mode 1
		.amdhsa_fp16_overflow 0
		.amdhsa_workgroup_processor_mode 1
		.amdhsa_memory_ordered 1
		.amdhsa_forward_progress 0
		.amdhsa_shared_vgpr_count 0
		.amdhsa_exception_fp_ieee_invalid_op 0
		.amdhsa_exception_fp_denorm_src 0
		.amdhsa_exception_fp_ieee_div_zero 0
		.amdhsa_exception_fp_ieee_overflow 0
		.amdhsa_exception_fp_ieee_underflow 0
		.amdhsa_exception_fp_ieee_inexact 0
		.amdhsa_exception_int_div_zero 0
	.end_amdhsa_kernel
	.section	.text._ZN9rocsolver6v33100L31stedc_mergePrepare_SortD_kernelIfEEviiPT_lS3_Pi,"axG",@progbits,_ZN9rocsolver6v33100L31stedc_mergePrepare_SortD_kernelIfEEviiPT_lS3_Pi,comdat
.Lfunc_end29:
	.size	_ZN9rocsolver6v33100L31stedc_mergePrepare_SortD_kernelIfEEviiPT_lS3_Pi, .Lfunc_end29-_ZN9rocsolver6v33100L31stedc_mergePrepare_SortD_kernelIfEEviiPT_lS3_Pi
                                        ; -- End function
	.section	.AMDGPU.csdata,"",@progbits
; Kernel info:
; codeLenInByte = 3204
; NumSgprs: 43
; NumVgprs: 27
; ScratchSize: 0
; MemoryBound: 0
; FloatMode: 240
; IeeeMode: 1
; LDSByteSize: 4096 bytes/workgroup (compile time only)
; SGPRBlocks: 5
; VGPRBlocks: 3
; NumSGPRsForWavesPerEU: 43
; NumVGPRsForWavesPerEU: 27
; Occupancy: 16
; WaveLimiterHint : 1
; COMPUTE_PGM_RSRC2:SCRATCH_EN: 0
; COMPUTE_PGM_RSRC2:USER_SGPR: 14
; COMPUTE_PGM_RSRC2:TRAP_HANDLER: 0
; COMPUTE_PGM_RSRC2:TGID_X_EN: 1
; COMPUTE_PGM_RSRC2:TGID_Y_EN: 1
; COMPUTE_PGM_RSRC2:TGID_Z_EN: 0
; COMPUTE_PGM_RSRC2:TIDIG_COMP_CNT: 0
	.section	.text._ZN9rocsolver6v33100L38stedc_mergePrepare_SetCandFlags_kernelIfEEviiPT_lS3_Pi,"axG",@progbits,_ZN9rocsolver6v33100L38stedc_mergePrepare_SetCandFlags_kernelIfEEviiPT_lS3_Pi,comdat
	.globl	_ZN9rocsolver6v33100L38stedc_mergePrepare_SetCandFlags_kernelIfEEviiPT_lS3_Pi ; -- Begin function _ZN9rocsolver6v33100L38stedc_mergePrepare_SetCandFlags_kernelIfEEviiPT_lS3_Pi
	.p2align	8
	.type	_ZN9rocsolver6v33100L38stedc_mergePrepare_SetCandFlags_kernelIfEEviiPT_lS3_Pi,@function
_ZN9rocsolver6v33100L38stedc_mergePrepare_SetCandFlags_kernelIfEEviiPT_lS3_Pi: ; @_ZN9rocsolver6v33100L38stedc_mergePrepare_SetCandFlags_kernelIfEEviiPT_lS3_Pi
; %bb.0:
	s_clause 0x1
	s_load_b32 s2, s[0:1], 0x34
	s_load_b32 s4, s[0:1], 0x4
	s_waitcnt lgkmcnt(0)
	s_and_b32 s2, s2, 0xffff
	s_delay_alu instid0(SALU_CYCLE_1) | instskip(SKIP_1) | instid1(VALU_DEP_1)
	v_mad_u64_u32 v[1:2], null, s14, s2, v[0:1]
	s_mov_b32 s2, exec_lo
	v_cmpx_gt_i32_e64 s4, v1
	s_cbranch_execz .LBB30_6
; %bb.1:
	s_load_b128 s[0:3], s[0:1], 0x18
	s_mul_i32 s5, s15, s4
	s_mul_i32 s8, s4, 6
	;; [unrolled: 1-line block ×4, first 2 shown]
	s_ashr_i32 s7, s6, 31
	s_mul_hi_i32 s10, s4, 20
	s_lshl_b64 s[6:7], s[6:7], 2
	v_ashrrev_i32_e32 v2, 31, v1
	v_add_nc_u32_e32 v0, -1, v1
	v_cmp_lt_i32_e32 vcc_lo, 0, v1
	s_delay_alu instid0(VALU_DEP_3) | instskip(NEXT) | instid1(VALU_DEP_3)
	v_lshlrev_b64 v[2:3], 2, v[1:2]
	v_cndmask_b32_e32 v4, 0, v0, vcc_lo
	s_delay_alu instid0(VALU_DEP_1) | instskip(SKIP_4) | instid1(SALU_CYCLE_1)
	v_ashrrev_i32_e32 v5, 31, v4
	s_waitcnt lgkmcnt(0)
	s_add_u32 s6, s2, s6
	s_addc_u32 s7, s3, s7
	s_ashr_i32 s9, s8, 31
	s_lshl_b64 s[2:3], s[8:9], 2
	s_mul_i32 s8, s5, 10
	s_add_u32 s2, s6, s2
	s_addc_u32 s7, s7, s3
	s_ashr_i32 s5, s4, 31
	s_add_u32 s3, s2, s11
	s_addc_u32 s6, s7, s10
	s_ashr_i32 s9, s8, 31
	v_lshlrev_b64 v[5:6], 2, v[4:5]
	s_lshl_b64 s[8:9], s[8:9], 2
	s_delay_alu instid0(SALU_CYCLE_1) | instskip(SKIP_2) | instid1(SALU_CYCLE_1)
	s_add_u32 s8, s0, s8
	s_addc_u32 s9, s1, s9
	s_lshl_b32 s0, s4, 2
	s_ashr_i32 s1, s0, 31
	s_delay_alu instid0(SALU_CYCLE_1) | instskip(NEXT) | instid1(SALU_CYCLE_1)
	s_lshl_b64 s[0:1], s[0:1], 2
	s_add_u32 s0, s8, s0
	s_addc_u32 s12, s9, s1
	s_lshl_b64 s[8:9], s[4:5], 3
	s_delay_alu instid0(SALU_CYCLE_1)
	s_add_u32 s1, s0, s8
	v_add_co_u32 v7, s0, s0, v2
	s_addc_u32 s8, s12, s9
	s_lshl_b64 s[10:11], s[4:5], 4
	v_add_co_ci_u32_e64 v8, s0, s12, v3, s0
	s_sub_u32 s0, s3, s10
	s_subb_u32 s5, s6, s11
	v_add_co_u32 v9, s0, s0, v2
	s_delay_alu instid0(VALU_DEP_1) | instskip(SKIP_1) | instid1(VALU_DEP_1)
	v_add_co_ci_u32_e64 v10, s0, s5, v3, s0
	v_add_co_u32 v11, s0, s2, v2
	v_add_co_ci_u32_e64 v12, s0, s7, v3, s0
	v_add_co_u32 v13, s0, s1, v2
	s_delay_alu instid0(VALU_DEP_1) | instskip(SKIP_4) | instid1(VALU_DEP_1)
	v_add_co_ci_u32_e64 v14, s0, s8, v3, s0
	s_clause 0x1
	global_load_b32 v0, v[9:10], off
	global_load_b32 v4, v[11:12], off
	v_add_co_u32 v9, s0, s1, v5
	v_add_co_ci_u32_e64 v10, s0, s8, v6, s0
	v_add_co_u32 v11, s0, s2, v5
	s_delay_alu instid0(VALU_DEP_1)
	v_add_co_ci_u32_e64 v12, s0, s7, v6, s0
	s_clause 0x2
	global_load_b32 v5, v[7:8], off
	global_load_b32 v6, v[13:14], off
	;; [unrolled: 1-line block ×4, first 2 shown]
	s_waitcnt vmcnt(5)
	v_add_nc_u32_e32 v10, -1, v0
	s_waitcnt vmcnt(4)
	v_sub_nc_u32_e32 v9, v1, v4
	s_delay_alu instid0(VALU_DEP_1) | instskip(SKIP_1) | instid1(VALU_DEP_2)
	v_cmp_lt_i32_e64 s0, v9, v10
	v_mov_b32_e32 v10, 0
	s_and_saveexec_b32 s5, s0
	s_cbranch_execz .LBB30_5
; %bb.2:
	v_add_nc_u32_e32 v10, 1, v1
	s_delay_alu instid0(VALU_DEP_1) | instskip(NEXT) | instid1(VALU_DEP_1)
	v_cmp_gt_i32_e64 s0, s4, v10
	v_cndmask_b32_e64 v10, v1, v10, s0
	s_delay_alu instid0(VALU_DEP_1) | instskip(NEXT) | instid1(VALU_DEP_1)
	v_ashrrev_i32_e32 v11, 31, v10
	v_lshlrev_b64 v[10:11], 2, v[10:11]
	s_delay_alu instid0(VALU_DEP_1) | instskip(NEXT) | instid1(VALU_DEP_1)
	v_add_co_u32 v12, s0, s1, v10
	v_add_co_ci_u32_e64 v13, s0, s8, v11, s0
	v_add_co_u32 v10, s0, s2, v10
	s_delay_alu instid0(VALU_DEP_1)
	v_add_co_ci_u32_e64 v11, s0, s7, v11, s0
	global_load_b32 v12, v[12:13], off
	global_load_b32 v10, v[10:11], off
	s_waitcnt vmcnt(1)
	v_sub_f32_e32 v11, v6, v12
	s_waitcnt vmcnt(0)
	v_cmp_eq_u32_e64 s0, v4, v10
	s_delay_alu instid0(VALU_DEP_2) | instskip(NEXT) | instid1(VALU_DEP_1)
	v_dual_mov_b32 v10, 0 :: v_dual_and_b32 v11, 0x7fffffff, v11
	v_cmp_le_f32_e64 s1, v11, v5
	s_delay_alu instid0(VALU_DEP_1) | instskip(NEXT) | instid1(SALU_CYCLE_1)
	s_and_b32 s0, s0, s1
	s_and_saveexec_b32 s1, s0
; %bb.3:
	s_add_i32 s0, s4, -1
	s_delay_alu instid0(SALU_CYCLE_1) | instskip(NEXT) | instid1(VALU_DEP_1)
	v_cmp_ne_u32_e64 s0, s0, v1
	v_cndmask_b32_e64 v10, 0, 1, s0
; %bb.4:
	s_or_b32 exec_lo, exec_lo, s1
.LBB30_5:
	s_delay_alu instid0(SALU_CYCLE_1)
	s_or_b32 exec_lo, exec_lo, s5
	s_waitcnt vmcnt(1)
	v_sub_f32_e32 v1, v6, v7
	v_cmp_ge_i32_e64 s0, v9, v0
	s_waitcnt vmcnt(0)
	v_cmp_ne_u32_e64 s1, v4, v8
	v_cndmask_b32_e64 v0, 0, 2, vcc_lo
	v_and_b32_e32 v1, 0x7fffffff, v1
	s_delay_alu instid0(VALU_DEP_3) | instskip(NEXT) | instid1(VALU_DEP_1)
	s_or_b32 s0, s0, s1
	v_cmp_nle_f32_e64 s2, v1, v5
	s_delay_alu instid0(VALU_DEP_1) | instskip(NEXT) | instid1(SALU_CYCLE_1)
	s_or_b32 s0, s0, s2
	v_cndmask_b32_e64 v0, v0, 0, s0
	s_delay_alu instid0(VALU_DEP_1)
	v_or_b32_e32 v4, v10, v0
	v_add_co_u32 v0, vcc_lo, s3, v2
	v_add_co_ci_u32_e32 v1, vcc_lo, s6, v3, vcc_lo
	global_store_b32 v[0:1], v4, off
.LBB30_6:
	s_nop 0
	s_sendmsg sendmsg(MSG_DEALLOC_VGPRS)
	s_endpgm
	.section	.rodata,"a",@progbits
	.p2align	6, 0x0
	.amdhsa_kernel _ZN9rocsolver6v33100L38stedc_mergePrepare_SetCandFlags_kernelIfEEviiPT_lS3_Pi
		.amdhsa_group_segment_fixed_size 0
		.amdhsa_private_segment_fixed_size 0
		.amdhsa_kernarg_size 296
		.amdhsa_user_sgpr_count 14
		.amdhsa_user_sgpr_dispatch_ptr 0
		.amdhsa_user_sgpr_queue_ptr 0
		.amdhsa_user_sgpr_kernarg_segment_ptr 1
		.amdhsa_user_sgpr_dispatch_id 0
		.amdhsa_user_sgpr_private_segment_size 0
		.amdhsa_wavefront_size32 1
		.amdhsa_uses_dynamic_stack 0
		.amdhsa_enable_private_segment 0
		.amdhsa_system_sgpr_workgroup_id_x 1
		.amdhsa_system_sgpr_workgroup_id_y 1
		.amdhsa_system_sgpr_workgroup_id_z 0
		.amdhsa_system_sgpr_workgroup_info 0
		.amdhsa_system_vgpr_workitem_id 0
		.amdhsa_next_free_vgpr 15
		.amdhsa_next_free_sgpr 16
		.amdhsa_reserve_vcc 1
		.amdhsa_float_round_mode_32 0
		.amdhsa_float_round_mode_16_64 0
		.amdhsa_float_denorm_mode_32 3
		.amdhsa_float_denorm_mode_16_64 3
		.amdhsa_dx10_clamp 1
		.amdhsa_ieee_mode 1
		.amdhsa_fp16_overflow 0
		.amdhsa_workgroup_processor_mode 1
		.amdhsa_memory_ordered 1
		.amdhsa_forward_progress 0
		.amdhsa_shared_vgpr_count 0
		.amdhsa_exception_fp_ieee_invalid_op 0
		.amdhsa_exception_fp_denorm_src 0
		.amdhsa_exception_fp_ieee_div_zero 0
		.amdhsa_exception_fp_ieee_overflow 0
		.amdhsa_exception_fp_ieee_underflow 0
		.amdhsa_exception_fp_ieee_inexact 0
		.amdhsa_exception_int_div_zero 0
	.end_amdhsa_kernel
	.section	.text._ZN9rocsolver6v33100L38stedc_mergePrepare_SetCandFlags_kernelIfEEviiPT_lS3_Pi,"axG",@progbits,_ZN9rocsolver6v33100L38stedc_mergePrepare_SetCandFlags_kernelIfEEviiPT_lS3_Pi,comdat
.Lfunc_end30:
	.size	_ZN9rocsolver6v33100L38stedc_mergePrepare_SetCandFlags_kernelIfEEviiPT_lS3_Pi, .Lfunc_end30-_ZN9rocsolver6v33100L38stedc_mergePrepare_SetCandFlags_kernelIfEEviiPT_lS3_Pi
                                        ; -- End function
	.section	.AMDGPU.csdata,"",@progbits
; Kernel info:
; codeLenInByte = 764
; NumSgprs: 18
; NumVgprs: 15
; ScratchSize: 0
; MemoryBound: 0
; FloatMode: 240
; IeeeMode: 1
; LDSByteSize: 0 bytes/workgroup (compile time only)
; SGPRBlocks: 2
; VGPRBlocks: 1
; NumSGPRsForWavesPerEU: 18
; NumVGPRsForWavesPerEU: 15
; Occupancy: 16
; WaveLimiterHint : 0
; COMPUTE_PGM_RSRC2:SCRATCH_EN: 0
; COMPUTE_PGM_RSRC2:USER_SGPR: 14
; COMPUTE_PGM_RSRC2:TRAP_HANDLER: 0
; COMPUTE_PGM_RSRC2:TGID_X_EN: 1
; COMPUTE_PGM_RSRC2:TGID_Y_EN: 1
; COMPUTE_PGM_RSRC2:TGID_Z_EN: 0
; COMPUTE_PGM_RSRC2:TIDIG_COMP_CNT: 0
	.section	.text._ZN9rocsolver6v33100L38stedc_mergePrepare_DeflateCount_kernelIfEEviiPT_lS3_Pi,"axG",@progbits,_ZN9rocsolver6v33100L38stedc_mergePrepare_DeflateCount_kernelIfEEviiPT_lS3_Pi,comdat
	.globl	_ZN9rocsolver6v33100L38stedc_mergePrepare_DeflateCount_kernelIfEEviiPT_lS3_Pi ; -- Begin function _ZN9rocsolver6v33100L38stedc_mergePrepare_DeflateCount_kernelIfEEviiPT_lS3_Pi
	.p2align	8
	.type	_ZN9rocsolver6v33100L38stedc_mergePrepare_DeflateCount_kernelIfEEviiPT_lS3_Pi,@function
_ZN9rocsolver6v33100L38stedc_mergePrepare_DeflateCount_kernelIfEEviiPT_lS3_Pi: ; @_ZN9rocsolver6v33100L38stedc_mergePrepare_DeflateCount_kernelIfEEviiPT_lS3_Pi
; %bb.0:
	s_clause 0x2
	s_load_b32 s2, s[0:1], 0x4
	s_load_b128 s[4:7], s[0:1], 0x18
	s_load_b32 s17, s[0:1], 0x34
	s_mov_b32 s21, 0
	s_mov_b32 s22, -1
	s_waitcnt lgkmcnt(0)
	s_mul_i32 s15, s15, s2
	s_delay_alu instid0(SALU_CYCLE_1) | instskip(NEXT) | instid1(SALU_CYCLE_1)
	s_mul_i32 s0, s15, 13
	s_ashr_i32 s1, s0, 31
	s_delay_alu instid0(SALU_CYCLE_1) | instskip(SKIP_4) | instid1(SALU_CYCLE_1)
	s_lshl_b64 s[8:9], s[0:1], 2
	s_mul_i32 s0, s2, 9
	s_add_u32 s3, s6, s8
	s_addc_u32 s12, s7, s9
	s_ashr_i32 s1, s0, 31
	s_lshl_b64 s[10:11], s[0:1], 2
	s_mov_b32 s0, exec_lo
	s_add_u32 s18, s3, s10
	s_addc_u32 s19, s12, s11
	s_ashr_i32 s3, s2, 31
	s_delay_alu instid0(SALU_CYCLE_1) | instskip(NEXT) | instid1(SALU_CYCLE_1)
	s_lshl_b64 s[12:13], s[2:3], 3
	s_add_u32 s1, s18, s12
	s_addc_u32 s16, s19, s13
	s_and_b32 s20, s17, 0xffff
	s_delay_alu instid0(SALU_CYCLE_1) | instskip(NEXT) | instid1(SALU_CYCLE_1)
	s_mul_i32 s3, s14, s20
	v_add_nc_u32_e32 v1, s3, v0
	s_delay_alu instid0(VALU_DEP_1) | instskip(SKIP_1) | instid1(VALU_DEP_2)
	v_add_nc_u32_e32 v2, -1, v1
	v_cmp_lt_i32_e32 vcc_lo, 0, v1
	v_cndmask_b32_e32 v2, 0, v2, vcc_lo
	s_delay_alu instid0(VALU_DEP_1)
	v_cmpx_gt_i32_e64 s2, v2
	s_cbranch_execz .LBB31_2
; %bb.1:
	v_ashrrev_i32_e32 v3, 31, v2
	s_delay_alu instid0(VALU_DEP_1) | instskip(NEXT) | instid1(VALU_DEP_1)
	v_lshlrev_b64 v[2:3], 2, v[2:3]
	v_add_co_u32 v2, vcc_lo, s1, v2
	s_delay_alu instid0(VALU_DEP_2) | instskip(SKIP_3) | instid1(VALU_DEP_1)
	v_add_co_ci_u32_e32 v3, vcc_lo, s16, v3, vcc_lo
	global_load_b32 v2, v[2:3], off
	s_waitcnt vmcnt(0)
	v_and_b32_e32 v2, 1, v2
	v_cmp_eq_u32_e32 vcc_lo, 0, v2
	s_or_not1_b32 s22, vcc_lo, exec_lo
.LBB31_2:
	s_or_b32 exec_lo, exec_lo, s0
	v_cmp_le_i32_e32 vcc_lo, s2, v1
	v_cmp_gt_i32_e64 s0, s2, v1
	v_ashrrev_i32_e32 v2, 31, v1
	s_delay_alu instid0(VALU_DEP_2)
	s_and_saveexec_b32 s14, s0
	s_cbranch_execz .LBB31_4
; %bb.3:
	s_delay_alu instid0(VALU_DEP_1) | instskip(NEXT) | instid1(VALU_DEP_1)
	v_lshlrev_b64 v[3:4], 2, v[1:2]
	v_add_co_u32 v3, s1, s1, v3
	s_delay_alu instid0(VALU_DEP_1) | instskip(SKIP_3) | instid1(VALU_DEP_1)
	v_add_co_ci_u32_e64 v4, s1, s16, v4, s1
	global_load_b32 v3, v[3:4], off
	s_waitcnt vmcnt(0)
	v_and_b32_e32 v3, 1, v3
	v_cmp_eq_u32_e64 s1, 1, v3
	s_delay_alu instid0(VALU_DEP_1)
	s_and_b32 s21, s1, exec_lo
.LBB31_4:
	s_or_b32 exec_lo, exec_lo, s14
	s_mul_i32 s14, s15, 10
	s_mul_i32 s16, s2, 6
	s_ashr_i32 s15, s14, 31
	v_mov_b32_e32 v5, 0
	s_lshl_b64 s[14:15], s[14:15], 2
	s_delay_alu instid0(SALU_CYCLE_1) | instskip(SKIP_2) | instid1(SALU_CYCLE_1)
	s_add_u32 s1, s4, s14
	s_addc_u32 s23, s5, s15
	s_ashr_i32 s17, s16, 31
	s_lshl_b64 s[16:17], s[16:17], 2
	s_delay_alu instid0(SALU_CYCLE_1)
	s_add_u32 s1, s1, s16
	s_addc_u32 s23, s23, s17
	s_and_saveexec_b32 s24, s0
	s_cbranch_execz .LBB31_6
; %bb.5:
	v_lshlrev_b64 v[3:4], 2, v[1:2]
	s_delay_alu instid0(VALU_DEP_1) | instskip(NEXT) | instid1(VALU_DEP_1)
	v_add_co_u32 v3, s0, s1, v3
	v_add_co_ci_u32_e64 v4, s0, s23, v4, s0
	global_load_b32 v5, v[3:4], off
.LBB31_6:
	s_or_b32 exec_lo, exec_lo, s24
                                        ; implicit-def: $sgpr24
	s_and_saveexec_b32 s0, vcc_lo
	s_delay_alu instid0(SALU_CYCLE_1)
	s_xor_b32 s0, exec_lo, s0
	s_cbranch_execz .LBB31_8
; %bb.7:
	s_mov_b32 s24, 0
	s_or_saveexec_b32 s0, s0
	v_mov_b32_e32 v6, s24
	s_xor_b32 exec_lo, exec_lo, s0
	s_cbranch_execnz .LBB31_9
	s_branch .LBB31_10
.LBB31_8:
	s_or_saveexec_b32 s0, s0
	v_mov_b32_e32 v6, s24
	s_xor_b32 exec_lo, exec_lo, s0
	s_cbranch_execz .LBB31_10
.LBB31_9:
	v_lshlrev_b64 v[3:4], 2, v[1:2]
	s_sub_u32 s1, s1, s12
	s_subb_u32 s23, s23, s13
	s_delay_alu instid0(VALU_DEP_1) | instskip(NEXT) | instid1(VALU_DEP_2)
	v_add_co_u32 v3, vcc_lo, s1, v3
	v_add_co_ci_u32_e32 v4, vcc_lo, s23, v4, vcc_lo
	global_load_b32 v6, v[3:4], off
.LBB31_10:
	s_or_b32 exec_lo, exec_lo, s0
	s_lshl_b32 s23, s20, 2
	s_add_u32 s0, s12, s8
	s_addc_u32 s1, s13, s9
	v_lshlrev_b64 v[8:9], 2, v[1:2]
	s_add_u32 s10, s0, s10
	s_addc_u32 s11, s1, s11
	s_add_u32 s0, s6, s10
	s_addc_u32 s1, s7, s11
	s_add_u32 s12, s14, s16
	v_lshlrev_b32_e32 v7, 2, v0
	v_add_co_u32 v3, vcc_lo, s0, v8
	s_addc_u32 s9, s15, s17
	s_add_u32 s0, s4, s12
	v_add_co_ci_u32_e32 v4, vcc_lo, s1, v9, vcc_lo
	s_addc_u32 s1, s5, s9
	v_add_co_u32 v8, vcc_lo, s0, v8
	v_add_co_ci_u32_e32 v9, vcc_lo, s1, v9, vcc_lo
	v_dual_mov_b32 v10, v7 :: v_dual_mov_b32 v11, v0
	s_mov_b32 s8, 0
	s_mov_b64 s[0:1], 0
	s_set_inst_prefetch_distance 0x1
	s_branch .LBB31_12
	.p2align	6
.LBB31_11:                              ;   in Loop: Header=BB31_12 Depth=1
	s_or_b32 exec_lo, exec_lo, s13
	v_add_nc_u32_e32 v11, s20, v11
	s_waitcnt vmcnt(0)
	ds_store_2addr_stride64_b32 v10, v12, v13 offset1:64
	v_add_nc_u32_e32 v10, s23, v10
	s_add_u32 s0, s0, s23
	s_addc_u32 s1, s1, 0
	v_cmp_lt_u32_e32 vcc_lo, 0xfff, v11
	s_or_b32 s8, vcc_lo, s8
	s_delay_alu instid0(SALU_CYCLE_1)
	s_and_not1_b32 exec_lo, exec_lo, s8
	s_cbranch_execz .LBB31_14
.LBB31_12:                              ; =>This Inner Loop Header: Depth=1
	v_dual_mov_b32 v12, 0 :: v_dual_add_nc_u32 v13, s3, v11
	s_delay_alu instid0(VALU_DEP_1)
	v_cmp_gt_i32_e32 vcc_lo, s2, v13
	v_mov_b32_e32 v13, 0
	s_and_saveexec_b32 s13, vcc_lo
	s_cbranch_execz .LBB31_11
; %bb.13:                               ;   in Loop: Header=BB31_12 Depth=1
	v_add_co_u32 v12, vcc_lo, v8, s0
	v_add_co_ci_u32_e32 v13, vcc_lo, s1, v9, vcc_lo
	v_add_co_u32 v14, vcc_lo, v3, s0
	v_add_co_ci_u32_e32 v15, vcc_lo, s1, v4, vcc_lo
	global_load_b32 v12, v[12:13], off
	global_load_b32 v13, v[14:15], off
	s_branch .LBB31_11
.LBB31_14:
	s_set_inst_prefetch_distance 0x2
	s_or_b32 exec_lo, exec_lo, s8
	v_cmp_eq_u32_e32 vcc_lo, 0, v1
	s_waitcnt lgkmcnt(0)
	s_barrier
	buffer_gl0_inv
	s_or_b32 s0, vcc_lo, s22
	s_delay_alu instid0(SALU_CYCLE_1) | instskip(NEXT) | instid1(SALU_CYCLE_1)
	s_and_b32 s0, s21, s0
	s_and_saveexec_b32 s1, s0
	s_cbranch_execz .LBB31_22
; %bb.15:
	v_lshlrev_b32_e32 v3, 2, v0
	ds_load_b32 v4, v3 offset:16392
	v_add_nc_u32_e32 v3, 2, v1
	s_delay_alu instid0(VALU_DEP_1) | instskip(SKIP_2) | instid1(VALU_DEP_1)
	v_cmp_gt_i32_e32 vcc_lo, s2, v3
	s_waitcnt lgkmcnt(0)
	v_and_b32_e32 v4, 2, v4
	v_cmp_ne_u32_e64 s0, 0, v4
	s_delay_alu instid0(VALU_DEP_1) | instskip(NEXT) | instid1(SALU_CYCLE_1)
	s_and_b32 s0, vcc_lo, s0
	s_and_saveexec_b32 s8, s0
	s_cbranch_execz .LBB31_21
; %bb.16:
	v_ashrrev_i32_e32 v4, 31, v3
	s_add_u32 s0, s6, s10
	s_addc_u32 s1, s7, s11
	s_add_u32 s4, s4, s12
	v_add_nc_u32_e32 v7, 0x400c, v7
	v_lshlrev_b64 v[8:9], 2, v[3:4]
	s_mov_b32 s6, 0
	s_delay_alu instid0(VALU_DEP_1) | instskip(NEXT) | instid1(VALU_DEP_2)
	v_add_co_u32 v2, vcc_lo, s0, v8
	v_add_co_ci_u32_e32 v4, vcc_lo, s1, v9, vcc_lo
	s_addc_u32 s0, s5, s9
	s_delay_alu instid0(VALU_DEP_2) | instskip(NEXT) | instid1(VALU_DEP_2)
	v_add_co_u32 v3, vcc_lo, v2, 4
	v_add_co_ci_u32_e32 v4, vcc_lo, 0, v4, vcc_lo
	v_add_co_u32 v8, vcc_lo, s4, v8
	v_add_co_ci_u32_e32 v9, vcc_lo, s0, v9, vcc_lo
	s_mov_b64 s[4:5], src_shared_base
	s_branch .LBB31_18
.LBB31_17:                              ;   in Loop: Header=BB31_18 Depth=1
	s_or_b32 exec_lo, exec_lo, s0
	v_add_nc_u32_e32 v2, 3, v0
	v_add_nc_u32_e32 v10, 3, v10
	;; [unrolled: 1-line block ×3, first 2 shown]
	s_delay_alu instid0(VALU_DEP_3)
	v_cmp_gt_i32_e32 vcc_lo, 0x1000, v2
	v_cndmask_b32_e32 v11, v3, v7, vcc_lo
	v_cndmask_b32_e64 v12, v4, s5, vcc_lo
	v_add_co_u32 v8, vcc_lo, v8, 4
	v_add_co_ci_u32_e32 v9, vcc_lo, 0, v9, vcc_lo
	flat_load_b32 v2, v[11:12]
	v_cmp_le_i32_e32 vcc_lo, s2, v10
	v_add_co_u32 v3, s1, v3, 4
	s_delay_alu instid0(VALU_DEP_1) | instskip(SKIP_3) | instid1(VALU_DEP_1)
	v_add_co_ci_u32_e64 v4, s1, 0, v4, s1
	v_add_nc_u32_e32 v7, 4, v7
	s_waitcnt vmcnt(0) lgkmcnt(0)
	v_and_b32_e32 v2, 2, v2
	v_cmp_eq_u32_e64 s0, 0, v2
	s_delay_alu instid0(VALU_DEP_1) | instskip(NEXT) | instid1(SALU_CYCLE_1)
	s_or_b32 s0, vcc_lo, s0
	s_and_b32 s0, exec_lo, s0
	s_delay_alu instid0(SALU_CYCLE_1) | instskip(NEXT) | instid1(SALU_CYCLE_1)
	s_or_b32 s6, s0, s6
	s_and_not1_b32 exec_lo, exec_lo, s6
	s_cbranch_execz .LBB31_20
.LBB31_18:                              ; =>This Inner Loop Header: Depth=1
	v_add_nc_u32_e32 v2, 2, v0
	v_add_nc_u32_e32 v10, 0xffffbffc, v7
	s_mov_b32 s0, exec_lo
	s_delay_alu instid0(VALU_DEP_2) | instskip(NEXT) | instid1(VALU_DEP_2)
	v_cmp_gt_i32_e32 vcc_lo, 0x1000, v2
	v_cndmask_b32_e32 v10, v8, v10, vcc_lo
	v_cndmask_b32_e64 v11, v9, s5, vcc_lo
	flat_load_b32 v11, v[10:11]
	v_add_nc_u32_e32 v10, s3, v0
	s_waitcnt vmcnt(0) lgkmcnt(0)
	v_sub_f32_e32 v2, v11, v5
	s_delay_alu instid0(VALU_DEP_1)
	v_cmpx_gt_f32_e32 v2, v6
	s_cbranch_execz .LBB31_17
; %bb.19:                               ;   in Loop: Header=BB31_18 Depth=1
	v_ashrrev_i32_e32 v2, 31, v1
	v_sub_nc_u32_e32 v5, v10, v1
	v_add_nc_u32_e32 v14, 2, v10
	s_delay_alu instid0(VALU_DEP_3) | instskip(NEXT) | instid1(VALU_DEP_3)
	v_lshlrev_b64 v[1:2], 2, v[1:2]
	v_add_nc_u32_e32 v15, 1, v5
	v_mov_b32_e32 v5, v11
	s_delay_alu instid0(VALU_DEP_3) | instskip(NEXT) | instid1(VALU_DEP_4)
	v_add_co_u32 v12, vcc_lo, s18, v1
	v_add_co_ci_u32_e32 v13, vcc_lo, s19, v2, vcc_lo
	v_mov_b32_e32 v1, v14
	global_store_b32 v[12:13], v15, off
	s_branch .LBB31_17
.LBB31_20:
	s_or_b32 exec_lo, exec_lo, s6
	v_add3_u32 v3, s3, v0, 2
	v_ashrrev_i32_e32 v2, 31, v1
.LBB31_21:
	s_or_b32 exec_lo, exec_lo, s8
	s_delay_alu instid0(VALU_DEP_1) | instskip(NEXT) | instid1(VALU_DEP_3)
	v_lshlrev_b64 v[4:5], 2, v[1:2]
	v_xad_u32 v2, v1, -1, v3
	s_delay_alu instid0(VALU_DEP_2) | instskip(NEXT) | instid1(VALU_DEP_3)
	v_add_co_u32 v0, vcc_lo, s18, v4
	v_add_co_ci_u32_e32 v1, vcc_lo, s19, v5, vcc_lo
	global_store_b32 v[0:1], v2, off
.LBB31_22:
	s_nop 0
	s_sendmsg sendmsg(MSG_DEALLOC_VGPRS)
	s_endpgm
	.section	.rodata,"a",@progbits
	.p2align	6, 0x0
	.amdhsa_kernel _ZN9rocsolver6v33100L38stedc_mergePrepare_DeflateCount_kernelIfEEviiPT_lS3_Pi
		.amdhsa_group_segment_fixed_size 32768
		.amdhsa_private_segment_fixed_size 0
		.amdhsa_kernarg_size 296
		.amdhsa_user_sgpr_count 14
		.amdhsa_user_sgpr_dispatch_ptr 0
		.amdhsa_user_sgpr_queue_ptr 0
		.amdhsa_user_sgpr_kernarg_segment_ptr 1
		.amdhsa_user_sgpr_dispatch_id 0
		.amdhsa_user_sgpr_private_segment_size 0
		.amdhsa_wavefront_size32 1
		.amdhsa_uses_dynamic_stack 0
		.amdhsa_enable_private_segment 0
		.amdhsa_system_sgpr_workgroup_id_x 1
		.amdhsa_system_sgpr_workgroup_id_y 1
		.amdhsa_system_sgpr_workgroup_id_z 0
		.amdhsa_system_sgpr_workgroup_info 0
		.amdhsa_system_vgpr_workitem_id 0
		.amdhsa_next_free_vgpr 16
		.amdhsa_next_free_sgpr 25
		.amdhsa_reserve_vcc 1
		.amdhsa_float_round_mode_32 0
		.amdhsa_float_round_mode_16_64 0
		.amdhsa_float_denorm_mode_32 3
		.amdhsa_float_denorm_mode_16_64 3
		.amdhsa_dx10_clamp 1
		.amdhsa_ieee_mode 1
		.amdhsa_fp16_overflow 0
		.amdhsa_workgroup_processor_mode 1
		.amdhsa_memory_ordered 1
		.amdhsa_forward_progress 0
		.amdhsa_shared_vgpr_count 0
		.amdhsa_exception_fp_ieee_invalid_op 0
		.amdhsa_exception_fp_denorm_src 0
		.amdhsa_exception_fp_ieee_div_zero 0
		.amdhsa_exception_fp_ieee_overflow 0
		.amdhsa_exception_fp_ieee_underflow 0
		.amdhsa_exception_fp_ieee_inexact 0
		.amdhsa_exception_int_div_zero 0
	.end_amdhsa_kernel
	.section	.text._ZN9rocsolver6v33100L38stedc_mergePrepare_DeflateCount_kernelIfEEviiPT_lS3_Pi,"axG",@progbits,_ZN9rocsolver6v33100L38stedc_mergePrepare_DeflateCount_kernelIfEEviiPT_lS3_Pi,comdat
.Lfunc_end31:
	.size	_ZN9rocsolver6v33100L38stedc_mergePrepare_DeflateCount_kernelIfEEviiPT_lS3_Pi, .Lfunc_end31-_ZN9rocsolver6v33100L38stedc_mergePrepare_DeflateCount_kernelIfEEviiPT_lS3_Pi
                                        ; -- End function
	.section	.AMDGPU.csdata,"",@progbits
; Kernel info:
; codeLenInByte = 1296
; NumSgprs: 27
; NumVgprs: 16
; ScratchSize: 0
; MemoryBound: 0
; FloatMode: 240
; IeeeMode: 1
; LDSByteSize: 32768 bytes/workgroup (compile time only)
; SGPRBlocks: 3
; VGPRBlocks: 1
; NumSGPRsForWavesPerEU: 27
; NumVGPRsForWavesPerEU: 16
; Occupancy: 16
; WaveLimiterHint : 0
; COMPUTE_PGM_RSRC2:SCRATCH_EN: 0
; COMPUTE_PGM_RSRC2:USER_SGPR: 14
; COMPUTE_PGM_RSRC2:TRAP_HANDLER: 0
; COMPUTE_PGM_RSRC2:TGID_X_EN: 1
; COMPUTE_PGM_RSRC2:TGID_Y_EN: 1
; COMPUTE_PGM_RSRC2:TGID_Z_EN: 0
; COMPUTE_PGM_RSRC2:TIDIG_COMP_CNT: 0
	.section	.text._ZN9rocsolver6v33100L38stedc_mergePrepare_DeflateApply_kernelIfEEviiPT_lS3_Pi,"axG",@progbits,_ZN9rocsolver6v33100L38stedc_mergePrepare_DeflateApply_kernelIfEEviiPT_lS3_Pi,comdat
	.globl	_ZN9rocsolver6v33100L38stedc_mergePrepare_DeflateApply_kernelIfEEviiPT_lS3_Pi ; -- Begin function _ZN9rocsolver6v33100L38stedc_mergePrepare_DeflateApply_kernelIfEEviiPT_lS3_Pi
	.p2align	8
	.type	_ZN9rocsolver6v33100L38stedc_mergePrepare_DeflateApply_kernelIfEEviiPT_lS3_Pi,@function
_ZN9rocsolver6v33100L38stedc_mergePrepare_DeflateApply_kernelIfEEviiPT_lS3_Pi: ; @_ZN9rocsolver6v33100L38stedc_mergePrepare_DeflateApply_kernelIfEEviiPT_lS3_Pi
; %bb.0:
	s_clause 0x2
	s_load_b32 s2, s[0:1], 0x4
	s_load_b128 s[4:7], s[0:1], 0x18
	s_load_b32 s19, s[0:1], 0x34
	s_waitcnt lgkmcnt(0)
	s_mul_i32 s20, s15, s2
	s_delay_alu instid0(SALU_CYCLE_1) | instskip(NEXT) | instid1(SALU_CYCLE_1)
	s_mul_i32 s0, s20, 13
	s_ashr_i32 s1, s0, 31
	s_delay_alu instid0(SALU_CYCLE_1) | instskip(NEXT) | instid1(SALU_CYCLE_1)
	s_lshl_b64 s[0:1], s[0:1], 2
	s_add_u32 s3, s6, s0
	s_addc_u32 s12, s7, s1
	s_lshl_b32 s8, s2, 3
	s_delay_alu instid0(SALU_CYCLE_1) | instskip(NEXT) | instid1(SALU_CYCLE_1)
	s_ashr_i32 s9, s8, 31
	s_lshl_b64 s[10:11], s[8:9], 2
	s_mov_b32 s9, exec_lo
	s_add_u32 s15, s3, s10
	s_addc_u32 s16, s12, s11
	s_ashr_i32 s3, s2, 31
                                        ; implicit-def: $sgpr8
	s_delay_alu instid0(SALU_CYCLE_1) | instskip(NEXT) | instid1(SALU_CYCLE_1)
	s_lshl_b64 s[12:13], s[2:3], 3
	s_add_u32 s17, s15, s12
	s_addc_u32 s18, s16, s13
	s_and_b32 s19, s19, 0xffff
	s_delay_alu instid0(SALU_CYCLE_1) | instskip(NEXT) | instid1(SALU_CYCLE_1)
	s_mul_i32 s14, s14, s19
	v_add_nc_u32_e32 v1, s14, v0
	s_delay_alu instid0(VALU_DEP_1)
	v_ashrrev_i32_e32 v2, 31, v1
	v_cmpx_le_i32_e64 s2, v1
	s_xor_b32 s9, exec_lo, s9
; %bb.1:
	s_mov_b32 s8, 0
; %bb.2:
	s_or_saveexec_b32 s21, s9
	v_mov_b32_e32 v5, s8
	s_lshl_b64 s[8:9], s[2:3], 2
	s_xor_b32 exec_lo, exec_lo, s21
	s_cbranch_execz .LBB32_4
; %bb.3:
	v_lshlrev_b64 v[3:4], 2, v[1:2]
	s_sub_u32 s3, s17, s8
	s_subb_u32 s22, s18, s9
	s_delay_alu instid0(VALU_DEP_1) | instskip(NEXT) | instid1(VALU_DEP_2)
	v_add_co_u32 v3, vcc_lo, s3, v3
	v_add_co_ci_u32_e32 v4, vcc_lo, s22, v4, vcc_lo
	global_load_b32 v5, v[3:4], off
.LBB32_4:
	s_or_b32 exec_lo, exec_lo, s21
	s_mul_i32 s20, s20, 10
	v_lshlrev_b64 v[1:2], 2, v[1:2]
	s_ashr_i32 s21, s20, 31
	v_dual_mov_b32 v8, v0 :: v_dual_lshlrev_b32 v7, 2, v0
	s_lshl_b64 s[20:21], s[20:21], 2
	s_delay_alu instid0(SALU_CYCLE_1)
	s_add_u32 s3, s4, s20
	s_addc_u32 s4, s5, s21
	s_lshl_b32 s5, s19, 2
	s_add_u32 s0, s12, s0
	s_addc_u32 s1, s13, s1
	s_add_u32 s0, s0, s10
	s_addc_u32 s1, s1, s11
	;; [unrolled: 2-line block ×3, first 2 shown]
	v_add_co_u32 v1, vcc_lo, s0, v1
	v_add_co_ci_u32_e32 v2, vcc_lo, s1, v2, vcc_lo
	v_mov_b32_e32 v6, v7
	s_mov_b32 s1, 0
	s_set_inst_prefetch_distance 0x1
	s_branch .LBB32_6
	.p2align	6
.LBB32_5:                               ;   in Loop: Header=BB32_6 Depth=1
	s_or_b32 exec_lo, exec_lo, s0
	v_add_nc_u32_e32 v8, s19, v8
	v_add_co_u32 v1, s0, v1, s5
	s_waitcnt vmcnt(0)
	ds_store_2addr_stride64_b32 v6, v4, v3 offset1:64
	v_add_nc_u32_e32 v6, s5, v6
	v_cmp_lt_u32_e32 vcc_lo, 0xfff, v8
	v_add_co_ci_u32_e64 v2, s0, 0, v2, s0
	s_or_b32 s1, vcc_lo, s1
	s_delay_alu instid0(SALU_CYCLE_1)
	s_and_not1_b32 exec_lo, exec_lo, s1
	s_cbranch_execz .LBB32_8
.LBB32_6:                               ; =>This Inner Loop Header: Depth=1
	v_dual_mov_b32 v3, 0 :: v_dual_add_nc_u32 v4, s14, v8
	s_delay_alu instid0(VALU_DEP_1)
	v_cmp_gt_i32_e32 vcc_lo, s2, v4
	v_mov_b32_e32 v4, 0
	s_and_saveexec_b32 s0, vcc_lo
	s_cbranch_execz .LBB32_5
; %bb.7:                                ;   in Loop: Header=BB32_6 Depth=1
	global_load_b32 v3, v[1:2], off
	s_waitcnt vmcnt(0)
	v_ashrrev_i32_e32 v4, 31, v3
	s_delay_alu instid0(VALU_DEP_1) | instskip(NEXT) | instid1(VALU_DEP_1)
	v_lshlrev_b64 v[9:10], 2, v[3:4]
	v_add_co_u32 v9, vcc_lo, s3, v9
	s_delay_alu instid0(VALU_DEP_2)
	v_add_co_ci_u32_e32 v10, vcc_lo, s4, v10, vcc_lo
	global_load_b32 v4, v[9:10], off
	s_branch .LBB32_5
.LBB32_8:
	s_set_inst_prefetch_distance 0x2
	s_or_b32 exec_lo, exec_lo, s1
	s_waitcnt lgkmcnt(0)
	s_barrier
	buffer_gl0_inv
	s_mov_b32 s0, exec_lo
	v_cmpx_ne_u32_e32 0, v5
	s_cbranch_execz .LBB32_24
; %bb.9:
	v_lshlrev_b32_e32 v6, 2, v0
	s_mov_b32 s5, exec_lo
	ds_load_b32 v4, v6
	v_cmpx_lt_i32_e32 0, v5
	s_cbranch_execz .LBB32_23
; %bb.10:
	s_lshl_b32 s0, s2, 1
	v_add_nc_u32_e32 v7, 0x4004, v7
	s_ashr_i32 s1, s0, 31
	v_dual_mov_b32 v9, 0 :: v_dual_add_nc_u32 v8, 1, v0
	s_lshl_b64 s[0:1], s[0:1], 2
	s_delay_alu instid0(SALU_CYCLE_1)
	s_add_u32 s2, s3, s0
	s_addc_u32 s6, s4, s1
	s_add_u32 s7, s2, s8
	s_addc_u32 s9, s6, s9
	s_mov_b32 s8, 0
	s_mov_b64 s[0:1], src_shared_base
	s_branch .LBB32_13
.LBB32_11:                              ;   in Loop: Header=BB32_13 Depth=1
	s_or_b32 exec_lo, exec_lo, s0
.LBB32_12:                              ;   in Loop: Header=BB32_13 Depth=1
	s_delay_alu instid0(SALU_CYCLE_1)
	s_or_b32 exec_lo, exec_lo, s10
	v_add_co_u32 v13, vcc_lo, s15, v2
	v_add_co_ci_u32_e32 v14, vcc_lo, s16, v3, vcc_lo
	v_add_nc_u32_e32 v5, -1, v5
	v_add_nc_u32_e32 v7, 4, v7
	v_add_nc_u32_e32 v8, 1, v8
	global_store_b32 v[13:14], v9, off
	v_add_co_u32 v13, vcc_lo, s2, v2
	v_add_co_ci_u32_e32 v14, vcc_lo, s6, v3, vcc_lo
	v_cmp_eq_u32_e32 vcc_lo, 0, v5
	v_add_co_u32 v2, s0, s7, v2
	s_delay_alu instid0(VALU_DEP_1)
	v_add_co_ci_u32_e64 v3, s0, s9, v3, s0
	s_or_b32 s8, vcc_lo, s8
	s_clause 0x2
	global_store_b32 v[0:1], v9, off
	global_store_b32 v[13:14], v11, off
	;; [unrolled: 1-line block ×3, first 2 shown]
	s_and_not1_b32 exec_lo, exec_lo, s8
	s_cbranch_execz .LBB32_22
.LBB32_13:                              ; =>This Inner Loop Header: Depth=1
	v_add_nc_u32_e32 v0, s14, v8
	v_add_nc_u32_e32 v10, 0xffffc000, v7
	v_mov_b32_e32 v12, 0
	s_mov_b32 s10, exec_lo
	s_delay_alu instid0(VALU_DEP_3) | instskip(NEXT) | instid1(VALU_DEP_1)
	v_ashrrev_i32_e32 v1, 31, v0
	v_lshlrev_b64 v[0:1], 2, v[0:1]
	s_delay_alu instid0(VALU_DEP_1) | instskip(NEXT) | instid1(VALU_DEP_2)
	v_add_co_u32 v0, vcc_lo, s17, v0
	v_add_co_ci_u32_e32 v1, vcc_lo, s18, v1, vcc_lo
	v_cmp_gt_i32_e32 vcc_lo, 0x1000, v8
	s_delay_alu instid0(VALU_DEP_2) | instskip(NEXT) | instid1(VALU_DEP_4)
	v_cndmask_b32_e64 v1, v1, s1, vcc_lo
	v_cndmask_b32_e32 v0, v0, v7, vcc_lo
	flat_load_b32 v0, v[0:1]
	s_waitcnt vmcnt(0) lgkmcnt(0)
	v_ashrrev_i32_e32 v1, 31, v0
	s_delay_alu instid0(VALU_DEP_1) | instskip(NEXT) | instid1(VALU_DEP_1)
	v_lshlrev_b64 v[2:3], 2, v[0:1]
	v_add_co_u32 v0, s0, s3, v2
	s_delay_alu instid0(VALU_DEP_1) | instskip(NEXT) | instid1(VALU_DEP_2)
	v_add_co_ci_u32_e64 v1, s0, s4, v3, s0
	v_cndmask_b32_e32 v10, v0, v10, vcc_lo
	s_delay_alu instid0(VALU_DEP_2)
	v_cndmask_b32_e64 v11, v1, s1, vcc_lo
	flat_load_b32 v10, v[10:11]
	v_mov_b32_e32 v11, 1.0
	s_waitcnt vmcnt(0) lgkmcnt(0)
	v_cmpx_neq_f32_e32 0, v10
	s_cbranch_execz .LBB32_12
; %bb.14:                               ;   in Loop: Header=BB32_13 Depth=1
                                        ; implicit-def: $vgpr11
                                        ; implicit-def: $vgpr12
	s_mov_b32 s0, exec_lo
	v_cmpx_neq_f32_e32 0, v4
	s_xor_b32 s11, exec_lo, s0
	s_cbranch_execz .LBB32_20
; %bb.15:                               ;   in Loop: Header=BB32_13 Depth=1
	s_mov_b32 s12, exec_lo
                                        ; implicit-def: $vgpr11
                                        ; implicit-def: $vgpr12
	v_cmpx_ngt_f32_e64 |v10|, |v4|
	s_xor_b32 s12, exec_lo, s12
	s_cbranch_execz .LBB32_17
; %bb.16:                               ;   in Loop: Header=BB32_13 Depth=1
	v_div_scale_f32 v11, null, v4, v4, -v10
	v_div_scale_f32 v14, vcc_lo, -v10, v4, -v10
	s_delay_alu instid0(VALU_DEP_2) | instskip(SKIP_2) | instid1(VALU_DEP_1)
	v_rcp_f32_e32 v12, v11
	s_waitcnt_depctr 0xfff
	v_fma_f32 v13, -v11, v12, 1.0
	v_fmac_f32_e32 v12, v13, v12
	s_delay_alu instid0(VALU_DEP_1) | instskip(NEXT) | instid1(VALU_DEP_1)
	v_mul_f32_e32 v13, v14, v12
	v_fma_f32 v15, -v11, v13, v14
	s_delay_alu instid0(VALU_DEP_1) | instskip(NEXT) | instid1(VALU_DEP_1)
	v_fmac_f32_e32 v13, v15, v12
	v_fma_f32 v11, -v11, v13, v14
	s_delay_alu instid0(VALU_DEP_1) | instskip(NEXT) | instid1(VALU_DEP_1)
	v_div_fmas_f32 v11, v11, v12, v13
	v_div_fixup_f32 v12, v11, v4, -v10
	s_delay_alu instid0(VALU_DEP_1) | instskip(NEXT) | instid1(VALU_DEP_1)
	v_fma_f32 v11, v12, v12, 1.0
	v_mul_f32_e32 v13, 0x4f800000, v11
	v_cmp_gt_f32_e32 vcc_lo, 0xf800000, v11
	s_delay_alu instid0(VALU_DEP_2) | instskip(NEXT) | instid1(VALU_DEP_1)
	v_cndmask_b32_e32 v11, v11, v13, vcc_lo
	v_sqrt_f32_e32 v13, v11
	s_waitcnt_depctr 0xfff
	v_add_nc_u32_e32 v14, -1, v13
	v_add_nc_u32_e32 v15, 1, v13
	s_delay_alu instid0(VALU_DEP_2) | instskip(NEXT) | instid1(VALU_DEP_2)
	v_fma_f32 v16, -v14, v13, v11
	v_fma_f32 v17, -v15, v13, v11
	s_delay_alu instid0(VALU_DEP_2) | instskip(NEXT) | instid1(VALU_DEP_1)
	v_cmp_ge_f32_e64 s0, 0, v16
	v_cndmask_b32_e64 v13, v13, v14, s0
	s_delay_alu instid0(VALU_DEP_3) | instskip(NEXT) | instid1(VALU_DEP_1)
	v_cmp_lt_f32_e64 s0, 0, v17
	v_cndmask_b32_e64 v13, v13, v15, s0
	s_delay_alu instid0(VALU_DEP_1) | instskip(NEXT) | instid1(VALU_DEP_1)
	v_mul_f32_e32 v14, 0x37800000, v13
	v_cndmask_b32_e32 v13, v13, v14, vcc_lo
	v_cmp_class_f32_e64 vcc_lo, v11, 0x260
	s_delay_alu instid0(VALU_DEP_2) | instskip(NEXT) | instid1(VALU_DEP_1)
	v_cndmask_b32_e32 v11, v13, v11, vcc_lo
	v_div_scale_f32 v13, null, v11, v11, 1.0
	s_delay_alu instid0(VALU_DEP_1) | instskip(SKIP_2) | instid1(VALU_DEP_1)
	v_rcp_f32_e32 v14, v13
	s_waitcnt_depctr 0xfff
	v_fma_f32 v15, -v13, v14, 1.0
	v_fmac_f32_e32 v14, v15, v14
	v_div_scale_f32 v15, vcc_lo, 1.0, v11, 1.0
	s_delay_alu instid0(VALU_DEP_1) | instskip(NEXT) | instid1(VALU_DEP_1)
	v_mul_f32_e32 v16, v15, v14
	v_fma_f32 v17, -v13, v16, v15
	s_delay_alu instid0(VALU_DEP_1) | instskip(NEXT) | instid1(VALU_DEP_1)
	v_fmac_f32_e32 v16, v17, v14
	v_fma_f32 v13, -v13, v16, v15
	s_delay_alu instid0(VALU_DEP_1) | instskip(NEXT) | instid1(VALU_DEP_1)
	v_div_fmas_f32 v13, v13, v14, v16
	v_div_fixup_f32 v11, v13, v11, 1.0
	s_delay_alu instid0(VALU_DEP_1)
	v_mul_f32_e32 v12, v12, v11
.LBB32_17:                              ;   in Loop: Header=BB32_13 Depth=1
	s_and_not1_saveexec_b32 s12, s12
	s_cbranch_execz .LBB32_19
; %bb.18:                               ;   in Loop: Header=BB32_13 Depth=1
	v_div_scale_f32 v11, null, v10, v10, -v4
	v_div_scale_f32 v14, vcc_lo, -v4, v10, -v4
	s_delay_alu instid0(VALU_DEP_2) | instskip(SKIP_2) | instid1(VALU_DEP_1)
	v_rcp_f32_e32 v12, v11
	s_waitcnt_depctr 0xfff
	v_fma_f32 v13, -v11, v12, 1.0
	v_fmac_f32_e32 v12, v13, v12
	s_delay_alu instid0(VALU_DEP_1) | instskip(NEXT) | instid1(VALU_DEP_1)
	v_mul_f32_e32 v13, v14, v12
	v_fma_f32 v15, -v11, v13, v14
	s_delay_alu instid0(VALU_DEP_1) | instskip(NEXT) | instid1(VALU_DEP_1)
	v_fmac_f32_e32 v13, v15, v12
	v_fma_f32 v11, -v11, v13, v14
	s_delay_alu instid0(VALU_DEP_1) | instskip(NEXT) | instid1(VALU_DEP_1)
	v_div_fmas_f32 v11, v11, v12, v13
	v_div_fixup_f32 v11, v11, v10, -v4
	s_delay_alu instid0(VALU_DEP_1) | instskip(NEXT) | instid1(VALU_DEP_1)
	v_fma_f32 v12, v11, v11, 1.0
	v_mul_f32_e32 v13, 0x4f800000, v12
	v_cmp_gt_f32_e32 vcc_lo, 0xf800000, v12
	s_delay_alu instid0(VALU_DEP_2) | instskip(NEXT) | instid1(VALU_DEP_1)
	v_cndmask_b32_e32 v12, v12, v13, vcc_lo
	v_sqrt_f32_e32 v13, v12
	s_waitcnt_depctr 0xfff
	v_add_nc_u32_e32 v14, -1, v13
	v_add_nc_u32_e32 v15, 1, v13
	s_delay_alu instid0(VALU_DEP_2) | instskip(NEXT) | instid1(VALU_DEP_2)
	v_fma_f32 v16, -v14, v13, v12
	v_fma_f32 v17, -v15, v13, v12
	s_delay_alu instid0(VALU_DEP_2) | instskip(NEXT) | instid1(VALU_DEP_1)
	v_cmp_ge_f32_e64 s0, 0, v16
	v_cndmask_b32_e64 v13, v13, v14, s0
	s_delay_alu instid0(VALU_DEP_3) | instskip(NEXT) | instid1(VALU_DEP_1)
	v_cmp_lt_f32_e64 s0, 0, v17
	v_cndmask_b32_e64 v13, v13, v15, s0
	s_delay_alu instid0(VALU_DEP_1) | instskip(NEXT) | instid1(VALU_DEP_1)
	v_mul_f32_e32 v14, 0x37800000, v13
	v_cndmask_b32_e32 v13, v13, v14, vcc_lo
	v_cmp_class_f32_e64 vcc_lo, v12, 0x260
	s_delay_alu instid0(VALU_DEP_2) | instskip(NEXT) | instid1(VALU_DEP_1)
	v_cndmask_b32_e32 v12, v13, v12, vcc_lo
	v_div_scale_f32 v13, null, v12, v12, 1.0
	s_delay_alu instid0(VALU_DEP_1) | instskip(SKIP_2) | instid1(VALU_DEP_1)
	v_rcp_f32_e32 v14, v13
	s_waitcnt_depctr 0xfff
	v_fma_f32 v15, -v13, v14, 1.0
	v_fmac_f32_e32 v14, v15, v14
	v_div_scale_f32 v15, vcc_lo, 1.0, v12, 1.0
	s_delay_alu instid0(VALU_DEP_1) | instskip(NEXT) | instid1(VALU_DEP_1)
	v_mul_f32_e32 v16, v15, v14
	v_fma_f32 v17, -v13, v16, v15
	s_delay_alu instid0(VALU_DEP_1) | instskip(NEXT) | instid1(VALU_DEP_1)
	v_fmac_f32_e32 v16, v17, v14
	v_fma_f32 v13, -v13, v16, v15
	s_delay_alu instid0(VALU_DEP_1) | instskip(NEXT) | instid1(VALU_DEP_1)
	v_div_fmas_f32 v13, v13, v14, v16
	v_div_fixup_f32 v12, v13, v12, 1.0
	s_delay_alu instid0(VALU_DEP_1)
	v_mul_f32_e32 v11, v11, v12
.LBB32_19:                              ;   in Loop: Header=BB32_13 Depth=1
	s_or_b32 exec_lo, exec_lo, s12
	s_delay_alu instid0(VALU_DEP_1) | instskip(NEXT) | instid1(VALU_DEP_1)
	v_mul_f32_e32 v10, v10, v12
	v_fma_f32 v4, v4, v11, -v10
                                        ; implicit-def: $vgpr10
.LBB32_20:                              ;   in Loop: Header=BB32_13 Depth=1
	s_and_not1_saveexec_b32 s0, s11
	s_cbranch_execz .LBB32_11
; %bb.21:                               ;   in Loop: Header=BB32_13 Depth=1
	v_xor_b32_e32 v4, 0x80000000, v10
	v_dual_mov_b32 v11, 0 :: v_dual_mov_b32 v12, 1.0
	s_branch .LBB32_11
.LBB32_22:
	s_or_b32 exec_lo, exec_lo, s8
.LBB32_23:
	s_delay_alu instid0(SALU_CYCLE_1) | instskip(SKIP_3) | instid1(VALU_DEP_1)
	s_or_b32 exec_lo, exec_lo, s5
	ds_load_b32 v0, v6 offset:16384
	s_waitcnt lgkmcnt(0)
	v_ashrrev_i32_e32 v1, 31, v0
	v_lshlrev_b64 v[0:1], 2, v[0:1]
	s_delay_alu instid0(VALU_DEP_1) | instskip(NEXT) | instid1(VALU_DEP_2)
	v_add_co_u32 v0, vcc_lo, s3, v0
	v_add_co_ci_u32_e32 v1, vcc_lo, s4, v1, vcc_lo
	global_store_b32 v[0:1], v4, off
.LBB32_24:
	s_nop 0
	s_sendmsg sendmsg(MSG_DEALLOC_VGPRS)
	s_endpgm
	.section	.rodata,"a",@progbits
	.p2align	6, 0x0
	.amdhsa_kernel _ZN9rocsolver6v33100L38stedc_mergePrepare_DeflateApply_kernelIfEEviiPT_lS3_Pi
		.amdhsa_group_segment_fixed_size 32768
		.amdhsa_private_segment_fixed_size 0
		.amdhsa_kernarg_size 296
		.amdhsa_user_sgpr_count 14
		.amdhsa_user_sgpr_dispatch_ptr 0
		.amdhsa_user_sgpr_queue_ptr 0
		.amdhsa_user_sgpr_kernarg_segment_ptr 1
		.amdhsa_user_sgpr_dispatch_id 0
		.amdhsa_user_sgpr_private_segment_size 0
		.amdhsa_wavefront_size32 1
		.amdhsa_uses_dynamic_stack 0
		.amdhsa_enable_private_segment 0
		.amdhsa_system_sgpr_workgroup_id_x 1
		.amdhsa_system_sgpr_workgroup_id_y 1
		.amdhsa_system_sgpr_workgroup_id_z 0
		.amdhsa_system_sgpr_workgroup_info 0
		.amdhsa_system_vgpr_workitem_id 0
		.amdhsa_next_free_vgpr 18
		.amdhsa_next_free_sgpr 23
		.amdhsa_reserve_vcc 1
		.amdhsa_float_round_mode_32 0
		.amdhsa_float_round_mode_16_64 0
		.amdhsa_float_denorm_mode_32 3
		.amdhsa_float_denorm_mode_16_64 3
		.amdhsa_dx10_clamp 1
		.amdhsa_ieee_mode 1
		.amdhsa_fp16_overflow 0
		.amdhsa_workgroup_processor_mode 1
		.amdhsa_memory_ordered 1
		.amdhsa_forward_progress 0
		.amdhsa_shared_vgpr_count 0
		.amdhsa_exception_fp_ieee_invalid_op 0
		.amdhsa_exception_fp_denorm_src 0
		.amdhsa_exception_fp_ieee_div_zero 0
		.amdhsa_exception_fp_ieee_overflow 0
		.amdhsa_exception_fp_ieee_underflow 0
		.amdhsa_exception_fp_ieee_inexact 0
		.amdhsa_exception_int_div_zero 0
	.end_amdhsa_kernel
	.section	.text._ZN9rocsolver6v33100L38stedc_mergePrepare_DeflateApply_kernelIfEEviiPT_lS3_Pi,"axG",@progbits,_ZN9rocsolver6v33100L38stedc_mergePrepare_DeflateApply_kernelIfEEviiPT_lS3_Pi,comdat
.Lfunc_end32:
	.size	_ZN9rocsolver6v33100L38stedc_mergePrepare_DeflateApply_kernelIfEEviiPT_lS3_Pi, .Lfunc_end32-_ZN9rocsolver6v33100L38stedc_mergePrepare_DeflateApply_kernelIfEEviiPT_lS3_Pi
                                        ; -- End function
	.section	.AMDGPU.csdata,"",@progbits
; Kernel info:
; codeLenInByte = 1712
; NumSgprs: 25
; NumVgprs: 18
; ScratchSize: 0
; MemoryBound: 0
; FloatMode: 240
; IeeeMode: 1
; LDSByteSize: 32768 bytes/workgroup (compile time only)
; SGPRBlocks: 3
; VGPRBlocks: 2
; NumSGPRsForWavesPerEU: 25
; NumVGPRsForWavesPerEU: 18
; Occupancy: 16
; WaveLimiterHint : 1
; COMPUTE_PGM_RSRC2:SCRATCH_EN: 0
; COMPUTE_PGM_RSRC2:USER_SGPR: 14
; COMPUTE_PGM_RSRC2:TRAP_HANDLER: 0
; COMPUTE_PGM_RSRC2:TGID_X_EN: 1
; COMPUTE_PGM_RSRC2:TGID_Y_EN: 1
; COMPUTE_PGM_RSRC2:TGID_Z_EN: 0
; COMPUTE_PGM_RSRC2:TIDIG_COMP_CNT: 0
	.section	.text._ZN9rocsolver6v33100L24stedc_mergeRotate_kernelIfEEviiPT_iilS3_Pi,"axG",@progbits,_ZN9rocsolver6v33100L24stedc_mergeRotate_kernelIfEEviiPT_iilS3_Pi,comdat
	.globl	_ZN9rocsolver6v33100L24stedc_mergeRotate_kernelIfEEviiPT_iilS3_Pi ; -- Begin function _ZN9rocsolver6v33100L24stedc_mergeRotate_kernelIfEEviiPT_iilS3_Pi
	.p2align	8
	.type	_ZN9rocsolver6v33100L24stedc_mergeRotate_kernelIfEEviiPT_iilS3_Pi,@function
_ZN9rocsolver6v33100L24stedc_mergeRotate_kernelIfEEviiPT_iilS3_Pi: ; @_ZN9rocsolver6v33100L24stedc_mergeRotate_kernelIfEEviiPT_iilS3_Pi
; %bb.0:
	s_clause 0x2
	s_load_b32 s24, s[0:1], 0x4
	s_load_b64 s[4:5], s[0:1], 0x28
	s_load_b32 s3, s[0:1], 0x3c
	s_mov_b32 s2, s14
	s_waitcnt lgkmcnt(0)
	s_mul_i32 s6, s15, s24
	s_ashr_i32 s25, s24, 31
	s_mul_i32 s6, s6, 13
	s_delay_alu instid0(SALU_CYCLE_1) | instskip(NEXT) | instid1(SALU_CYCLE_1)
	s_ashr_i32 s7, s6, 31
	s_lshl_b64 s[8:9], s[6:7], 2
	s_mul_i32 s6, s24, 10
	s_add_u32 s8, s4, s8
	s_addc_u32 s9, s5, s9
	s_ashr_i32 s7, s6, 31
	s_delay_alu instid0(SALU_CYCLE_1) | instskip(NEXT) | instid1(SALU_CYCLE_1)
	s_lshl_b64 s[4:5], s[6:7], 2
	s_add_u32 s7, s8, s4
	s_addc_u32 s8, s9, s5
	s_lshl_b64 s[4:5], s[24:25], 2
	s_delay_alu instid0(SALU_CYCLE_1)
	s_sub_u32 s9, s7, s4
	s_subb_u32 s11, s8, s5
	s_and_b32 s25, s3, 0xffff
	s_ashr_i32 s3, s14, 31
	s_lshl_b32 s26, s25, 4
	s_lshl_b64 s[2:3], s[2:3], 2
	v_cvt_f32_u32_e32 v1, s26
	s_add_u32 s10, s9, s2
	s_addc_u32 s11, s11, s3
	s_load_b32 s27, s[10:11], 0x0
	s_delay_alu instid0(VALU_DEP_1) | instskip(SKIP_2) | instid1(VALU_DEP_1)
	v_rcp_iflag_f32_e32 v1, v1
	s_waitcnt_depctr 0xfff
	v_mul_f32_e32 v1, 0x4f7ffffe, v1
	v_cvt_u32_f32_e32 v1, v1
	s_waitcnt lgkmcnt(0)
	s_cmp_eq_u32 s27, 0
	s_delay_alu instid0(VALU_DEP_1)
	v_readfirstlane_b32 s9, v1
	s_cbranch_scc1 .LBB33_136
; %bb.1:
	s_sub_i32 s10, 0, s26
	s_add_i32 s11, s24, -1
	s_delay_alu instid0(VALU_DEP_1) | instskip(SKIP_4) | instid1(SALU_CYCLE_1)
	s_mul_i32 s10, s10, s9
	s_abs_i32 s12, s11
	s_mul_hi_u32 s10, s9, s10
	s_ashr_i32 s11, s11, 31
	s_add_i32 s9, s9, s10
	s_mul_hi_u32 s9, s12, s9
	s_delay_alu instid0(SALU_CYCLE_1) | instskip(NEXT) | instid1(SALU_CYCLE_1)
	s_mul_i32 s10, s9, s26
	s_sub_i32 s10, s12, s10
	s_add_i32 s12, s9, 1
	s_sub_i32 s13, s10, s26
	s_cmp_ge_u32 s10, s26
	s_cselect_b32 s9, s12, s9
	s_cselect_b32 s10, s13, s10
	s_add_i32 s12, s9, 1
	s_cmp_ge_u32 s10, s26
	s_cselect_b32 s9, s12, s9
	s_delay_alu instid0(SALU_CYCLE_1) | instskip(NEXT) | instid1(SALU_CYCLE_1)
	s_xor_b32 s9, s9, s11
	s_sub_i32 s28, s9, s11
	s_delay_alu instid0(SALU_CYCLE_1)
	s_cmp_lt_i32 s28, 0
	s_cbranch_scc1 .LBB33_136
; %bb.2:
	s_load_b256 s[16:23], s[0:1], 0x8
	s_ashr_i32 s0, s15, 31
	s_mul_i32 s6, s6, s15
	v_mov_b32_e32 v113, 0
                                        ; implicit-def: $vgpr17_vgpr18_vgpr19_vgpr20_vgpr21_vgpr22_vgpr23_vgpr24_vgpr25_vgpr26_vgpr27_vgpr28_vgpr29_vgpr30_vgpr31_vgpr32
                                        ; implicit-def: $vgpr1_vgpr2_vgpr3_vgpr4_vgpr5_vgpr6_vgpr7_vgpr8_vgpr9_vgpr10_vgpr11_vgpr12_vgpr13_vgpr14_vgpr15_vgpr16
	s_waitcnt lgkmcnt(0)
	s_mul_i32 s1, s15, s21
	s_mul_hi_u32 s9, s15, s20
	s_mul_i32 s10, s0, s20
	s_add_i32 s1, s9, s1
	s_mul_i32 s0, s15, s20
	s_add_i32 s1, s1, s10
	s_ashr_i32 s11, s18, 31
	s_lshl_b64 s[0:1], s[0:1], 2
	s_mov_b32 s10, s18
	s_add_u32 s9, s16, s0
	s_addc_u32 s12, s17, s1
	s_lshl_b64 s[0:1], s[10:11], 2
	s_delay_alu instid0(SALU_CYCLE_1)
	s_add_u32 s18, s9, s0
	s_addc_u32 s29, s12, s1
	s_add_u32 s0, s7, s2
	s_addc_u32 s1, s8, s3
	s_load_b32 s2, s[0:1], 0x0
	s_waitcnt lgkmcnt(0)
	s_mul_i32 s2, s2, s19
	s_delay_alu instid0(SALU_CYCLE_1) | instskip(NEXT) | instid1(SALU_CYCLE_1)
	s_ashr_i32 s3, s2, 31
	s_lshl_b64 s[2:3], s[2:3], 2
	s_delay_alu instid0(SALU_CYCLE_1) | instskip(SKIP_2) | instid1(SALU_CYCLE_1)
	s_add_u32 s30, s18, s2
	s_addc_u32 s31, s29, s3
	s_ashr_i32 s7, s6, 31
	s_lshl_b64 s[2:3], s[6:7], 2
	s_delay_alu instid0(SALU_CYCLE_1) | instskip(SKIP_4) | instid1(SALU_CYCLE_1)
	s_add_u32 s6, s22, s2
	s_addc_u32 s7, s23, s3
	s_lshl_b32 s2, s24, 1
	s_mov_b32 s23, 0
	s_ashr_i32 s3, s2, 31
	s_lshl_b64 s[2:3], s[2:3], 2
	s_delay_alu instid0(SALU_CYCLE_1)
	s_add_u32 s22, s6, s2
	s_addc_u32 s33, s7, s3
	s_add_u32 s34, s22, s4
	s_addc_u32 s35, s33, s5
	s_cmp_gt_i32 s27, 0
	s_cselect_b32 s36, -1, 0
	s_add_u32 s16, s0, 4
	s_addc_u32 s17, s1, 0
	s_branch .LBB33_4
.LBB33_3:                               ;   in Loop: Header=BB33_4 Depth=1
	s_or_b32 exec_lo, exec_lo, s0
	s_add_i32 s0, s23, 1
	s_cmp_lg_u32 s23, s28
	s_mov_b32 s23, s0
	s_cbranch_scc0 .LBB33_136
.LBB33_4:                               ; =>This Loop Header: Depth=1
                                        ;     Child Loop BB33_39 Depth 2
	s_waitcnt vmcnt(0)
	v_mad_u64_u32 v[49:50], null, s23, s26, v[0:1]
	s_delay_alu instid0(VALU_DEP_1) | instskip(SKIP_1) | instid1(VALU_DEP_2)
	v_cmp_gt_i32_e64 s0, s24, v49
	v_ashrrev_i32_e32 v50, 31, v49
	s_and_saveexec_b32 s1, s0
	s_cbranch_execz .LBB33_6
; %bb.5:                                ;   in Loop: Header=BB33_4 Depth=1
	s_delay_alu instid0(VALU_DEP_1) | instskip(NEXT) | instid1(VALU_DEP_1)
	v_lshlrev_b64 v[33:34], 2, v[49:50]
	v_add_co_u32 v33, vcc_lo, s30, v33
	s_delay_alu instid0(VALU_DEP_2)
	v_add_co_ci_u32_e32 v34, vcc_lo, s31, v34, vcc_lo
	global_load_b32 v1, v[33:34], off
.LBB33_6:                               ;   in Loop: Header=BB33_4 Depth=1
	s_or_b32 exec_lo, exec_lo, s1
	v_add_nc_u32_e32 v51, s25, v49
	s_delay_alu instid0(VALU_DEP_1) | instskip(SKIP_1) | instid1(VALU_DEP_2)
	v_cmp_gt_i32_e64 s1, s24, v51
	v_ashrrev_i32_e32 v52, 31, v51
	s_and_saveexec_b32 s2, s1
	s_cbranch_execz .LBB33_8
; %bb.7:                                ;   in Loop: Header=BB33_4 Depth=1
	s_delay_alu instid0(VALU_DEP_1) | instskip(NEXT) | instid1(VALU_DEP_1)
	v_lshlrev_b64 v[33:34], 2, v[51:52]
	v_add_co_u32 v33, vcc_lo, s30, v33
	s_delay_alu instid0(VALU_DEP_2)
	v_add_co_ci_u32_e32 v34, vcc_lo, s31, v34, vcc_lo
	global_load_b32 v2, v[33:34], off
.LBB33_8:                               ;   in Loop: Header=BB33_4 Depth=1
	s_or_b32 exec_lo, exec_lo, s2
	v_add_nc_u32_e32 v53, s25, v51
	s_delay_alu instid0(VALU_DEP_1) | instskip(SKIP_1) | instid1(VALU_DEP_2)
	v_cmp_gt_i32_e64 s2, s24, v53
	v_ashrrev_i32_e32 v54, 31, v53
	s_and_saveexec_b32 s3, s2
	s_cbranch_execz .LBB33_10
; %bb.9:                                ;   in Loop: Header=BB33_4 Depth=1
	s_delay_alu instid0(VALU_DEP_1) | instskip(NEXT) | instid1(VALU_DEP_1)
	v_lshlrev_b64 v[33:34], 2, v[53:54]
	v_add_co_u32 v33, vcc_lo, s30, v33
	s_delay_alu instid0(VALU_DEP_2)
	v_add_co_ci_u32_e32 v34, vcc_lo, s31, v34, vcc_lo
	global_load_b32 v3, v[33:34], off
.LBB33_10:                              ;   in Loop: Header=BB33_4 Depth=1
	s_or_b32 exec_lo, exec_lo, s3
	v_add_nc_u32_e32 v55, s25, v53
	s_delay_alu instid0(VALU_DEP_1) | instskip(SKIP_1) | instid1(VALU_DEP_2)
	v_cmp_gt_i32_e64 s3, s24, v55
	v_ashrrev_i32_e32 v56, 31, v55
	s_and_saveexec_b32 s4, s3
	s_cbranch_execz .LBB33_12
; %bb.11:                               ;   in Loop: Header=BB33_4 Depth=1
	s_delay_alu instid0(VALU_DEP_1) | instskip(NEXT) | instid1(VALU_DEP_1)
	v_lshlrev_b64 v[33:34], 2, v[55:56]
	v_add_co_u32 v33, vcc_lo, s30, v33
	s_delay_alu instid0(VALU_DEP_2)
	v_add_co_ci_u32_e32 v34, vcc_lo, s31, v34, vcc_lo
	global_load_b32 v4, v[33:34], off
.LBB33_12:                              ;   in Loop: Header=BB33_4 Depth=1
	s_or_b32 exec_lo, exec_lo, s4
	v_add_nc_u32_e32 v57, s25, v55
	s_delay_alu instid0(VALU_DEP_1) | instskip(SKIP_1) | instid1(VALU_DEP_2)
	v_cmp_gt_i32_e64 s4, s24, v57
	v_ashrrev_i32_e32 v58, 31, v57
	s_and_saveexec_b32 s5, s4
	s_cbranch_execz .LBB33_14
; %bb.13:                               ;   in Loop: Header=BB33_4 Depth=1
	s_delay_alu instid0(VALU_DEP_1) | instskip(NEXT) | instid1(VALU_DEP_1)
	v_lshlrev_b64 v[33:34], 2, v[57:58]
	v_add_co_u32 v33, vcc_lo, s30, v33
	s_delay_alu instid0(VALU_DEP_2)
	v_add_co_ci_u32_e32 v34, vcc_lo, s31, v34, vcc_lo
	global_load_b32 v5, v[33:34], off
.LBB33_14:                              ;   in Loop: Header=BB33_4 Depth=1
	;; [unrolled: 15-line block ×13, first 2 shown]
	s_or_b32 exec_lo, exec_lo, s20
	s_delay_alu instid0(SALU_CYCLE_1)
	s_and_b32 vcc_lo, exec_lo, s36
	s_cbranch_vccz .LBB33_104
; %bb.37:                               ;   in Loop: Header=BB33_4 Depth=1
	v_lshlrev_b64 v[81:82], 2, v[49:50]
	v_lshlrev_b64 v[83:84], 2, v[51:52]
	;; [unrolled: 1-line block ×16, first 2 shown]
	s_mov_b32 s37, s27
	s_mov_b64 s[20:21], s[16:17]
	s_branch .LBB33_39
.LBB33_38:                              ;   in Loop: Header=BB33_39 Depth=2
	s_or_b32 exec_lo, exec_lo, s40
	v_mul_f32_e32 v17, v115, v17
	v_mul_f32_e32 v18, v115, v18
	;; [unrolled: 1-line block ×5, first 2 shown]
	v_fma_f32 v1, v114, v1, -v17
	v_mul_f32_e32 v17, v115, v22
	v_fma_f32 v2, v114, v2, -v18
	v_fma_f32 v3, v114, v3, -v19
	v_fma_f32 v4, v114, v4, -v20
	v_fma_f32 v5, v114, v5, -v21
	v_fma_f32 v6, v114, v6, -v17
	v_mul_f32_e32 v17, v115, v23
	v_mul_f32_e32 v18, v115, v24
	;; [unrolled: 1-line block ×5, first 2 shown]
	v_fma_f32 v7, v114, v7, -v17
	v_fma_f32 v8, v114, v8, -v18
	v_fma_f32 v9, v114, v9, -v19
	v_fma_f32 v10, v114, v10, -v20
	v_fma_f32 v11, v114, v11, -v21
	v_mul_f32_e32 v17, v115, v28
	v_mul_f32_e32 v18, v115, v29
	;; [unrolled: 1-line block ×5, first 2 shown]
	v_fma_f32 v12, v114, v12, -v17
	v_fma_f32 v13, v114, v13, -v18
	;; [unrolled: 1-line block ×5, first 2 shown]
	v_dual_mov_b32 v17, v33 :: v_dual_mov_b32 v32, v48
	s_add_u32 s20, s20, 4
	v_dual_mov_b32 v18, v34 :: v_dual_mov_b32 v19, v35
	v_dual_mov_b32 v20, v36 :: v_dual_mov_b32 v21, v37
	;; [unrolled: 1-line block ×7, first 2 shown]
	s_addc_u32 s21, s21, 0
	s_add_i32 s37, s37, -1
	s_waitcnt_vscnt null, 0x0
	s_cmp_eq_u32 s37, 0
	s_barrier
	buffer_gl0_inv
	s_cbranch_scc1 .LBB33_103
.LBB33_39:                              ;   Parent Loop BB33_4 Depth=1
                                        ; =>  This Inner Loop Header: Depth=2
	global_load_b32 v33, v113, s[20:21]
	s_waitcnt vmcnt(0)
	v_ashrrev_i32_e32 v34, 31, v33
	v_readfirstlane_b32 s38, v33
	s_delay_alu instid0(VALU_DEP_2) | instskip(NEXT) | instid1(VALU_DEP_2)
	v_lshlrev_b64 v[34:35], 2, v[33:34]
	s_mul_i32 s38, s38, s19
	s_delay_alu instid0(SALU_CYCLE_1) | instskip(NEXT) | instid1(SALU_CYCLE_1)
	s_ashr_i32 s39, s38, 31
	s_lshl_b64 s[38:39], s[38:39], 2
	s_delay_alu instid0(VALU_DEP_1) | instskip(NEXT) | instid1(VALU_DEP_2)
	v_add_co_u32 v36, vcc_lo, s22, v34
	v_add_co_ci_u32_e32 v37, vcc_lo, s33, v35, vcc_lo
	v_add_co_u32 v34, vcc_lo, s34, v34
	v_add_co_ci_u32_e32 v35, vcc_lo, s35, v35, vcc_lo
	s_add_u32 s38, s18, s38
	s_clause 0x1
	global_load_b32 v114, v[36:37], off
	global_load_b32 v115, v[34:35], off
	s_addc_u32 s39, s29, s39
	s_and_saveexec_b32 s40, s0
	s_cbranch_execnz .LBB33_88
; %bb.40:                               ;   in Loop: Header=BB33_39 Depth=2
	s_or_b32 exec_lo, exec_lo, s40
	s_and_saveexec_b32 s40, s1
	s_cbranch_execnz .LBB33_89
.LBB33_41:                              ;   in Loop: Header=BB33_39 Depth=2
	s_or_b32 exec_lo, exec_lo, s40
	s_and_saveexec_b32 s40, s2
	s_cbranch_execnz .LBB33_90
.LBB33_42:                              ;   in Loop: Header=BB33_39 Depth=2
	s_or_b32 exec_lo, exec_lo, s40
	s_and_saveexec_b32 s40, s3
	s_cbranch_execnz .LBB33_91
.LBB33_43:                              ;   in Loop: Header=BB33_39 Depth=2
	s_or_b32 exec_lo, exec_lo, s40
	s_and_saveexec_b32 s40, s4
	s_cbranch_execnz .LBB33_92
.LBB33_44:                              ;   in Loop: Header=BB33_39 Depth=2
	s_or_b32 exec_lo, exec_lo, s40
	s_and_saveexec_b32 s40, s5
	s_cbranch_execnz .LBB33_93
.LBB33_45:                              ;   in Loop: Header=BB33_39 Depth=2
	s_or_b32 exec_lo, exec_lo, s40
	s_and_saveexec_b32 s40, s6
	s_cbranch_execnz .LBB33_94
.LBB33_46:                              ;   in Loop: Header=BB33_39 Depth=2
	s_or_b32 exec_lo, exec_lo, s40
	s_and_saveexec_b32 s40, s7
	s_cbranch_execnz .LBB33_95
.LBB33_47:                              ;   in Loop: Header=BB33_39 Depth=2
	s_or_b32 exec_lo, exec_lo, s40
	s_and_saveexec_b32 s40, s8
	s_cbranch_execnz .LBB33_96
.LBB33_48:                              ;   in Loop: Header=BB33_39 Depth=2
	s_or_b32 exec_lo, exec_lo, s40
	s_and_saveexec_b32 s40, s9
	s_cbranch_execnz .LBB33_97
.LBB33_49:                              ;   in Loop: Header=BB33_39 Depth=2
	s_or_b32 exec_lo, exec_lo, s40
	s_and_saveexec_b32 s40, s10
	s_cbranch_execnz .LBB33_98
.LBB33_50:                              ;   in Loop: Header=BB33_39 Depth=2
	s_or_b32 exec_lo, exec_lo, s40
	s_and_saveexec_b32 s40, s11
	s_cbranch_execnz .LBB33_99
.LBB33_51:                              ;   in Loop: Header=BB33_39 Depth=2
	s_or_b32 exec_lo, exec_lo, s40
	s_and_saveexec_b32 s40, s12
	s_cbranch_execnz .LBB33_100
.LBB33_52:                              ;   in Loop: Header=BB33_39 Depth=2
	s_or_b32 exec_lo, exec_lo, s40
	s_and_saveexec_b32 s40, s13
	s_cbranch_execnz .LBB33_101
.LBB33_53:                              ;   in Loop: Header=BB33_39 Depth=2
	s_or_b32 exec_lo, exec_lo, s40
	s_and_saveexec_b32 s40, s14
	s_cbranch_execnz .LBB33_102
.LBB33_54:                              ;   in Loop: Header=BB33_39 Depth=2
	s_or_b32 exec_lo, exec_lo, s40
	s_and_saveexec_b32 s40, s15
	s_cbranch_execz .LBB33_56
.LBB33_55:                              ;   in Loop: Header=BB33_39 Depth=2
	v_add_co_u32 v32, vcc_lo, s38, v111
	v_add_co_ci_u32_e32 v33, vcc_lo, s39, v112, vcc_lo
	global_load_b32 v32, v[32:33], off
.LBB33_56:                              ;   in Loop: Header=BB33_39 Depth=2
	s_or_b32 exec_lo, exec_lo, s40
	s_waitcnt vmcnt(0)
	v_mul_f32_e32 v33, v114, v17
	s_delay_alu instid0(VALU_DEP_1)
	v_fmac_f32_e32 v33, v115, v1
	s_and_saveexec_b32 s40, s0
	s_cbranch_execz .LBB33_58
; %bb.57:                               ;   in Loop: Header=BB33_39 Depth=2
	v_add_co_u32 v34, vcc_lo, s38, v81
	v_add_co_ci_u32_e32 v35, vcc_lo, s39, v82, vcc_lo
	global_store_b32 v[34:35], v33, off
.LBB33_58:                              ;   in Loop: Header=BB33_39 Depth=2
	s_or_b32 exec_lo, exec_lo, s40
	v_mul_f32_e32 v34, v114, v18
	s_delay_alu instid0(VALU_DEP_1)
	v_fmac_f32_e32 v34, v115, v2
	s_and_saveexec_b32 s40, s1
	s_cbranch_execz .LBB33_60
; %bb.59:                               ;   in Loop: Header=BB33_39 Depth=2
	v_add_co_u32 v35, vcc_lo, s38, v83
	v_add_co_ci_u32_e32 v36, vcc_lo, s39, v84, vcc_lo
	global_store_b32 v[35:36], v34, off
.LBB33_60:                              ;   in Loop: Header=BB33_39 Depth=2
	s_or_b32 exec_lo, exec_lo, s40
	;; [unrolled: 11-line block ×15, first 2 shown]
	v_mul_f32_e32 v48, v114, v32
	s_delay_alu instid0(VALU_DEP_1)
	v_fmac_f32_e32 v48, v115, v16
	s_and_saveexec_b32 s40, s15
	s_cbranch_execz .LBB33_38
; %bb.87:                               ;   in Loop: Header=BB33_39 Depth=2
	v_add_co_u32 v116, vcc_lo, s38, v111
	v_add_co_ci_u32_e32 v117, vcc_lo, s39, v112, vcc_lo
	global_store_b32 v[116:117], v48, off
	s_branch .LBB33_38
.LBB33_88:                              ;   in Loop: Header=BB33_39 Depth=2
	v_add_co_u32 v33, vcc_lo, s38, v81
	v_add_co_ci_u32_e32 v34, vcc_lo, s39, v82, vcc_lo
	global_load_b32 v17, v[33:34], off
	s_or_b32 exec_lo, exec_lo, s40
	s_and_saveexec_b32 s40, s1
	s_cbranch_execz .LBB33_41
.LBB33_89:                              ;   in Loop: Header=BB33_39 Depth=2
	v_add_co_u32 v33, vcc_lo, s38, v83
	v_add_co_ci_u32_e32 v34, vcc_lo, s39, v84, vcc_lo
	global_load_b32 v18, v[33:34], off
	s_or_b32 exec_lo, exec_lo, s40
	s_and_saveexec_b32 s40, s2
	s_cbranch_execz .LBB33_42
.LBB33_90:                              ;   in Loop: Header=BB33_39 Depth=2
	v_add_co_u32 v33, vcc_lo, s38, v85
	v_add_co_ci_u32_e32 v34, vcc_lo, s39, v86, vcc_lo
	global_load_b32 v19, v[33:34], off
	s_or_b32 exec_lo, exec_lo, s40
	s_and_saveexec_b32 s40, s3
	s_cbranch_execz .LBB33_43
.LBB33_91:                              ;   in Loop: Header=BB33_39 Depth=2
	v_add_co_u32 v33, vcc_lo, s38, v87
	v_add_co_ci_u32_e32 v34, vcc_lo, s39, v88, vcc_lo
	global_load_b32 v20, v[33:34], off
	s_or_b32 exec_lo, exec_lo, s40
	s_and_saveexec_b32 s40, s4
	s_cbranch_execz .LBB33_44
.LBB33_92:                              ;   in Loop: Header=BB33_39 Depth=2
	v_add_co_u32 v33, vcc_lo, s38, v89
	v_add_co_ci_u32_e32 v34, vcc_lo, s39, v90, vcc_lo
	global_load_b32 v21, v[33:34], off
	s_or_b32 exec_lo, exec_lo, s40
	s_and_saveexec_b32 s40, s5
	s_cbranch_execz .LBB33_45
.LBB33_93:                              ;   in Loop: Header=BB33_39 Depth=2
	v_add_co_u32 v33, vcc_lo, s38, v91
	v_add_co_ci_u32_e32 v34, vcc_lo, s39, v92, vcc_lo
	global_load_b32 v22, v[33:34], off
	s_or_b32 exec_lo, exec_lo, s40
	s_and_saveexec_b32 s40, s6
	s_cbranch_execz .LBB33_46
.LBB33_94:                              ;   in Loop: Header=BB33_39 Depth=2
	v_add_co_u32 v33, vcc_lo, s38, v93
	v_add_co_ci_u32_e32 v34, vcc_lo, s39, v94, vcc_lo
	global_load_b32 v23, v[33:34], off
	s_or_b32 exec_lo, exec_lo, s40
	s_and_saveexec_b32 s40, s7
	s_cbranch_execz .LBB33_47
.LBB33_95:                              ;   in Loop: Header=BB33_39 Depth=2
	v_add_co_u32 v33, vcc_lo, s38, v95
	v_add_co_ci_u32_e32 v34, vcc_lo, s39, v96, vcc_lo
	global_load_b32 v24, v[33:34], off
	s_or_b32 exec_lo, exec_lo, s40
	s_and_saveexec_b32 s40, s8
	s_cbranch_execz .LBB33_48
.LBB33_96:                              ;   in Loop: Header=BB33_39 Depth=2
	v_add_co_u32 v33, vcc_lo, s38, v97
	v_add_co_ci_u32_e32 v34, vcc_lo, s39, v98, vcc_lo
	global_load_b32 v25, v[33:34], off
	s_or_b32 exec_lo, exec_lo, s40
	s_and_saveexec_b32 s40, s9
	s_cbranch_execz .LBB33_49
.LBB33_97:                              ;   in Loop: Header=BB33_39 Depth=2
	v_add_co_u32 v33, vcc_lo, s38, v99
	v_add_co_ci_u32_e32 v34, vcc_lo, s39, v100, vcc_lo
	global_load_b32 v26, v[33:34], off
	s_or_b32 exec_lo, exec_lo, s40
	s_and_saveexec_b32 s40, s10
	s_cbranch_execz .LBB33_50
.LBB33_98:                              ;   in Loop: Header=BB33_39 Depth=2
	v_add_co_u32 v33, vcc_lo, s38, v101
	v_add_co_ci_u32_e32 v34, vcc_lo, s39, v102, vcc_lo
	global_load_b32 v27, v[33:34], off
	s_or_b32 exec_lo, exec_lo, s40
	s_and_saveexec_b32 s40, s11
	s_cbranch_execz .LBB33_51
.LBB33_99:                              ;   in Loop: Header=BB33_39 Depth=2
	v_add_co_u32 v33, vcc_lo, s38, v103
	v_add_co_ci_u32_e32 v34, vcc_lo, s39, v104, vcc_lo
	global_load_b32 v28, v[33:34], off
	s_or_b32 exec_lo, exec_lo, s40
	s_and_saveexec_b32 s40, s12
	s_cbranch_execz .LBB33_52
.LBB33_100:                             ;   in Loop: Header=BB33_39 Depth=2
	v_add_co_u32 v33, vcc_lo, s38, v105
	v_add_co_ci_u32_e32 v34, vcc_lo, s39, v106, vcc_lo
	global_load_b32 v29, v[33:34], off
	s_or_b32 exec_lo, exec_lo, s40
	s_and_saveexec_b32 s40, s13
	s_cbranch_execz .LBB33_53
.LBB33_101:                             ;   in Loop: Header=BB33_39 Depth=2
	v_add_co_u32 v33, vcc_lo, s38, v107
	v_add_co_ci_u32_e32 v34, vcc_lo, s39, v108, vcc_lo
	global_load_b32 v30, v[33:34], off
	s_or_b32 exec_lo, exec_lo, s40
	s_and_saveexec_b32 s40, s14
	s_cbranch_execz .LBB33_54
.LBB33_102:                             ;   in Loop: Header=BB33_39 Depth=2
	v_add_co_u32 v33, vcc_lo, s38, v109
	v_add_co_ci_u32_e32 v34, vcc_lo, s39, v110, vcc_lo
	global_load_b32 v31, v[33:34], off
	s_or_b32 exec_lo, exec_lo, s40
	s_and_saveexec_b32 s40, s15
	s_cbranch_execnz .LBB33_55
	s_branch .LBB33_56
.LBB33_103:                             ;   in Loop: Header=BB33_4 Depth=1
	v_dual_mov_b32 v17, v33 :: v_dual_mov_b32 v18, v34
	v_dual_mov_b32 v19, v35 :: v_dual_mov_b32 v20, v36
	;; [unrolled: 1-line block ×8, first 2 shown]
.LBB33_104:                             ;   in Loop: Header=BB33_4 Depth=1
	s_and_saveexec_b32 s20, s0
	s_cbranch_execnz .LBB33_120
; %bb.105:                              ;   in Loop: Header=BB33_4 Depth=1
	s_or_b32 exec_lo, exec_lo, s20
	s_and_saveexec_b32 s0, s1
	s_cbranch_execnz .LBB33_121
.LBB33_106:                             ;   in Loop: Header=BB33_4 Depth=1
	s_or_b32 exec_lo, exec_lo, s0
	s_and_saveexec_b32 s0, s2
	s_cbranch_execnz .LBB33_122
.LBB33_107:                             ;   in Loop: Header=BB33_4 Depth=1
	s_or_b32 exec_lo, exec_lo, s0
	s_and_saveexec_b32 s0, s3
	s_cbranch_execnz .LBB33_123
.LBB33_108:                             ;   in Loop: Header=BB33_4 Depth=1
	s_or_b32 exec_lo, exec_lo, s0
	s_and_saveexec_b32 s0, s4
	s_cbranch_execnz .LBB33_124
.LBB33_109:                             ;   in Loop: Header=BB33_4 Depth=1
	s_or_b32 exec_lo, exec_lo, s0
	s_and_saveexec_b32 s0, s5
	s_cbranch_execnz .LBB33_125
.LBB33_110:                             ;   in Loop: Header=BB33_4 Depth=1
	s_or_b32 exec_lo, exec_lo, s0
	s_and_saveexec_b32 s0, s6
	s_cbranch_execnz .LBB33_126
.LBB33_111:                             ;   in Loop: Header=BB33_4 Depth=1
	s_or_b32 exec_lo, exec_lo, s0
	s_and_saveexec_b32 s0, s7
	s_cbranch_execnz .LBB33_127
.LBB33_112:                             ;   in Loop: Header=BB33_4 Depth=1
	s_or_b32 exec_lo, exec_lo, s0
	s_and_saveexec_b32 s0, s8
	s_cbranch_execnz .LBB33_128
.LBB33_113:                             ;   in Loop: Header=BB33_4 Depth=1
	s_or_b32 exec_lo, exec_lo, s0
	s_and_saveexec_b32 s0, s9
	s_cbranch_execnz .LBB33_129
.LBB33_114:                             ;   in Loop: Header=BB33_4 Depth=1
	s_or_b32 exec_lo, exec_lo, s0
	s_and_saveexec_b32 s0, s10
	s_cbranch_execnz .LBB33_130
.LBB33_115:                             ;   in Loop: Header=BB33_4 Depth=1
	s_or_b32 exec_lo, exec_lo, s0
	s_and_saveexec_b32 s0, s11
	s_cbranch_execnz .LBB33_131
.LBB33_116:                             ;   in Loop: Header=BB33_4 Depth=1
	s_or_b32 exec_lo, exec_lo, s0
	s_and_saveexec_b32 s0, s12
	s_cbranch_execnz .LBB33_132
.LBB33_117:                             ;   in Loop: Header=BB33_4 Depth=1
	s_or_b32 exec_lo, exec_lo, s0
	s_and_saveexec_b32 s0, s13
	s_cbranch_execnz .LBB33_133
.LBB33_118:                             ;   in Loop: Header=BB33_4 Depth=1
	s_or_b32 exec_lo, exec_lo, s0
	s_and_saveexec_b32 s0, s14
	s_cbranch_execnz .LBB33_134
.LBB33_119:                             ;   in Loop: Header=BB33_4 Depth=1
	s_or_b32 exec_lo, exec_lo, s0
	s_and_saveexec_b32 s0, s15
	s_cbranch_execz .LBB33_3
	s_branch .LBB33_135
.LBB33_120:                             ;   in Loop: Header=BB33_4 Depth=1
	v_lshlrev_b64 v[33:34], 2, v[49:50]
	s_delay_alu instid0(VALU_DEP_1) | instskip(NEXT) | instid1(VALU_DEP_2)
	v_add_co_u32 v33, vcc_lo, s30, v33
	v_add_co_ci_u32_e32 v34, vcc_lo, s31, v34, vcc_lo
	s_waitcnt vmcnt(0)
	global_store_b32 v[33:34], v1, off
	s_or_b32 exec_lo, exec_lo, s20
	s_and_saveexec_b32 s0, s1
	s_cbranch_execz .LBB33_106
.LBB33_121:                             ;   in Loop: Header=BB33_4 Depth=1
	v_lshlrev_b64 v[33:34], 2, v[51:52]
	s_delay_alu instid0(VALU_DEP_1) | instskip(NEXT) | instid1(VALU_DEP_2)
	v_add_co_u32 v33, vcc_lo, s30, v33
	v_add_co_ci_u32_e32 v34, vcc_lo, s31, v34, vcc_lo
	s_waitcnt vmcnt(0)
	global_store_b32 v[33:34], v2, off
	s_or_b32 exec_lo, exec_lo, s0
	s_and_saveexec_b32 s0, s2
	s_cbranch_execz .LBB33_107
.LBB33_122:                             ;   in Loop: Header=BB33_4 Depth=1
	v_lshlrev_b64 v[33:34], 2, v[53:54]
	s_delay_alu instid0(VALU_DEP_1) | instskip(NEXT) | instid1(VALU_DEP_2)
	v_add_co_u32 v33, vcc_lo, s30, v33
	v_add_co_ci_u32_e32 v34, vcc_lo, s31, v34, vcc_lo
	s_waitcnt vmcnt(0)
	global_store_b32 v[33:34], v3, off
	s_or_b32 exec_lo, exec_lo, s0
	s_and_saveexec_b32 s0, s3
	s_cbranch_execz .LBB33_108
.LBB33_123:                             ;   in Loop: Header=BB33_4 Depth=1
	v_lshlrev_b64 v[33:34], 2, v[55:56]
	s_delay_alu instid0(VALU_DEP_1) | instskip(NEXT) | instid1(VALU_DEP_2)
	v_add_co_u32 v33, vcc_lo, s30, v33
	v_add_co_ci_u32_e32 v34, vcc_lo, s31, v34, vcc_lo
	s_waitcnt vmcnt(0)
	global_store_b32 v[33:34], v4, off
	s_or_b32 exec_lo, exec_lo, s0
	s_and_saveexec_b32 s0, s4
	s_cbranch_execz .LBB33_109
.LBB33_124:                             ;   in Loop: Header=BB33_4 Depth=1
	v_lshlrev_b64 v[33:34], 2, v[57:58]
	s_delay_alu instid0(VALU_DEP_1) | instskip(NEXT) | instid1(VALU_DEP_2)
	v_add_co_u32 v33, vcc_lo, s30, v33
	v_add_co_ci_u32_e32 v34, vcc_lo, s31, v34, vcc_lo
	s_waitcnt vmcnt(0)
	global_store_b32 v[33:34], v5, off
	s_or_b32 exec_lo, exec_lo, s0
	s_and_saveexec_b32 s0, s5
	s_cbranch_execz .LBB33_110
.LBB33_125:                             ;   in Loop: Header=BB33_4 Depth=1
	v_lshlrev_b64 v[33:34], 2, v[59:60]
	s_delay_alu instid0(VALU_DEP_1) | instskip(NEXT) | instid1(VALU_DEP_2)
	v_add_co_u32 v33, vcc_lo, s30, v33
	v_add_co_ci_u32_e32 v34, vcc_lo, s31, v34, vcc_lo
	s_waitcnt vmcnt(0)
	global_store_b32 v[33:34], v6, off
	s_or_b32 exec_lo, exec_lo, s0
	s_and_saveexec_b32 s0, s6
	s_cbranch_execz .LBB33_111
.LBB33_126:                             ;   in Loop: Header=BB33_4 Depth=1
	v_lshlrev_b64 v[33:34], 2, v[61:62]
	s_delay_alu instid0(VALU_DEP_1) | instskip(NEXT) | instid1(VALU_DEP_2)
	v_add_co_u32 v33, vcc_lo, s30, v33
	v_add_co_ci_u32_e32 v34, vcc_lo, s31, v34, vcc_lo
	s_waitcnt vmcnt(0)
	global_store_b32 v[33:34], v7, off
	s_or_b32 exec_lo, exec_lo, s0
	s_and_saveexec_b32 s0, s7
	s_cbranch_execz .LBB33_112
.LBB33_127:                             ;   in Loop: Header=BB33_4 Depth=1
	v_lshlrev_b64 v[33:34], 2, v[63:64]
	s_delay_alu instid0(VALU_DEP_1) | instskip(NEXT) | instid1(VALU_DEP_2)
	v_add_co_u32 v33, vcc_lo, s30, v33
	v_add_co_ci_u32_e32 v34, vcc_lo, s31, v34, vcc_lo
	s_waitcnt vmcnt(0)
	global_store_b32 v[33:34], v8, off
	s_or_b32 exec_lo, exec_lo, s0
	s_and_saveexec_b32 s0, s8
	s_cbranch_execz .LBB33_113
.LBB33_128:                             ;   in Loop: Header=BB33_4 Depth=1
	v_lshlrev_b64 v[33:34], 2, v[65:66]
	s_delay_alu instid0(VALU_DEP_1) | instskip(NEXT) | instid1(VALU_DEP_2)
	v_add_co_u32 v33, vcc_lo, s30, v33
	v_add_co_ci_u32_e32 v34, vcc_lo, s31, v34, vcc_lo
	s_waitcnt vmcnt(0)
	global_store_b32 v[33:34], v9, off
	s_or_b32 exec_lo, exec_lo, s0
	s_and_saveexec_b32 s0, s9
	s_cbranch_execz .LBB33_114
.LBB33_129:                             ;   in Loop: Header=BB33_4 Depth=1
	v_lshlrev_b64 v[33:34], 2, v[67:68]
	s_delay_alu instid0(VALU_DEP_1) | instskip(NEXT) | instid1(VALU_DEP_2)
	v_add_co_u32 v33, vcc_lo, s30, v33
	v_add_co_ci_u32_e32 v34, vcc_lo, s31, v34, vcc_lo
	s_waitcnt vmcnt(0)
	global_store_b32 v[33:34], v10, off
	s_or_b32 exec_lo, exec_lo, s0
	s_and_saveexec_b32 s0, s10
	s_cbranch_execz .LBB33_115
.LBB33_130:                             ;   in Loop: Header=BB33_4 Depth=1
	v_lshlrev_b64 v[33:34], 2, v[69:70]
	s_delay_alu instid0(VALU_DEP_1) | instskip(NEXT) | instid1(VALU_DEP_2)
	v_add_co_u32 v33, vcc_lo, s30, v33
	v_add_co_ci_u32_e32 v34, vcc_lo, s31, v34, vcc_lo
	s_waitcnt vmcnt(0)
	global_store_b32 v[33:34], v11, off
	s_or_b32 exec_lo, exec_lo, s0
	s_and_saveexec_b32 s0, s11
	s_cbranch_execz .LBB33_116
.LBB33_131:                             ;   in Loop: Header=BB33_4 Depth=1
	v_lshlrev_b64 v[33:34], 2, v[71:72]
	s_delay_alu instid0(VALU_DEP_1) | instskip(NEXT) | instid1(VALU_DEP_2)
	v_add_co_u32 v33, vcc_lo, s30, v33
	v_add_co_ci_u32_e32 v34, vcc_lo, s31, v34, vcc_lo
	s_waitcnt vmcnt(0)
	global_store_b32 v[33:34], v12, off
	s_or_b32 exec_lo, exec_lo, s0
	s_and_saveexec_b32 s0, s12
	s_cbranch_execz .LBB33_117
.LBB33_132:                             ;   in Loop: Header=BB33_4 Depth=1
	v_lshlrev_b64 v[33:34], 2, v[73:74]
	s_delay_alu instid0(VALU_DEP_1) | instskip(NEXT) | instid1(VALU_DEP_2)
	v_add_co_u32 v33, vcc_lo, s30, v33
	v_add_co_ci_u32_e32 v34, vcc_lo, s31, v34, vcc_lo
	s_waitcnt vmcnt(0)
	global_store_b32 v[33:34], v13, off
	s_or_b32 exec_lo, exec_lo, s0
	s_and_saveexec_b32 s0, s13
	s_cbranch_execz .LBB33_118
.LBB33_133:                             ;   in Loop: Header=BB33_4 Depth=1
	v_lshlrev_b64 v[33:34], 2, v[75:76]
	s_delay_alu instid0(VALU_DEP_1) | instskip(NEXT) | instid1(VALU_DEP_2)
	v_add_co_u32 v33, vcc_lo, s30, v33
	v_add_co_ci_u32_e32 v34, vcc_lo, s31, v34, vcc_lo
	s_waitcnt vmcnt(0)
	global_store_b32 v[33:34], v14, off
	s_or_b32 exec_lo, exec_lo, s0
	s_and_saveexec_b32 s0, s14
	s_cbranch_execz .LBB33_119
.LBB33_134:                             ;   in Loop: Header=BB33_4 Depth=1
	v_lshlrev_b64 v[33:34], 2, v[77:78]
	s_delay_alu instid0(VALU_DEP_1) | instskip(NEXT) | instid1(VALU_DEP_2)
	v_add_co_u32 v33, vcc_lo, s30, v33
	v_add_co_ci_u32_e32 v34, vcc_lo, s31, v34, vcc_lo
	s_waitcnt vmcnt(0)
	global_store_b32 v[33:34], v15, off
	s_or_b32 exec_lo, exec_lo, s0
	s_and_saveexec_b32 s0, s15
	s_cbranch_execz .LBB33_3
.LBB33_135:                             ;   in Loop: Header=BB33_4 Depth=1
	v_lshlrev_b64 v[33:34], 2, v[79:80]
	s_delay_alu instid0(VALU_DEP_1) | instskip(NEXT) | instid1(VALU_DEP_2)
	v_add_co_u32 v33, vcc_lo, s30, v33
	v_add_co_ci_u32_e32 v34, vcc_lo, s31, v34, vcc_lo
	s_waitcnt vmcnt(0)
	global_store_b32 v[33:34], v16, off
	s_branch .LBB33_3
.LBB33_136:
	s_nop 0
	s_sendmsg sendmsg(MSG_DEALLOC_VGPRS)
	s_endpgm
	.section	.rodata,"a",@progbits
	.p2align	6, 0x0
	.amdhsa_kernel _ZN9rocsolver6v33100L24stedc_mergeRotate_kernelIfEEviiPT_iilS3_Pi
		.amdhsa_group_segment_fixed_size 0
		.amdhsa_private_segment_fixed_size 0
		.amdhsa_kernarg_size 304
		.amdhsa_user_sgpr_count 14
		.amdhsa_user_sgpr_dispatch_ptr 0
		.amdhsa_user_sgpr_queue_ptr 0
		.amdhsa_user_sgpr_kernarg_segment_ptr 1
		.amdhsa_user_sgpr_dispatch_id 0
		.amdhsa_user_sgpr_private_segment_size 0
		.amdhsa_wavefront_size32 1
		.amdhsa_uses_dynamic_stack 0
		.amdhsa_enable_private_segment 0
		.amdhsa_system_sgpr_workgroup_id_x 1
		.amdhsa_system_sgpr_workgroup_id_y 1
		.amdhsa_system_sgpr_workgroup_id_z 0
		.amdhsa_system_sgpr_workgroup_info 0
		.amdhsa_system_vgpr_workitem_id 0
		.amdhsa_next_free_vgpr 118
		.amdhsa_next_free_sgpr 41
		.amdhsa_reserve_vcc 1
		.amdhsa_float_round_mode_32 0
		.amdhsa_float_round_mode_16_64 0
		.amdhsa_float_denorm_mode_32 3
		.amdhsa_float_denorm_mode_16_64 3
		.amdhsa_dx10_clamp 1
		.amdhsa_ieee_mode 1
		.amdhsa_fp16_overflow 0
		.amdhsa_workgroup_processor_mode 1
		.amdhsa_memory_ordered 1
		.amdhsa_forward_progress 0
		.amdhsa_shared_vgpr_count 0
		.amdhsa_exception_fp_ieee_invalid_op 0
		.amdhsa_exception_fp_denorm_src 0
		.amdhsa_exception_fp_ieee_div_zero 0
		.amdhsa_exception_fp_ieee_overflow 0
		.amdhsa_exception_fp_ieee_underflow 0
		.amdhsa_exception_fp_ieee_inexact 0
		.amdhsa_exception_int_div_zero 0
	.end_amdhsa_kernel
	.section	.text._ZN9rocsolver6v33100L24stedc_mergeRotate_kernelIfEEviiPT_iilS3_Pi,"axG",@progbits,_ZN9rocsolver6v33100L24stedc_mergeRotate_kernelIfEEviiPT_iilS3_Pi,comdat
.Lfunc_end33:
	.size	_ZN9rocsolver6v33100L24stedc_mergeRotate_kernelIfEEviiPT_iilS3_Pi, .Lfunc_end33-_ZN9rocsolver6v33100L24stedc_mergeRotate_kernelIfEEviiPT_iilS3_Pi
                                        ; -- End function
	.section	.AMDGPU.csdata,"",@progbits
; Kernel info:
; codeLenInByte = 4604
; NumSgprs: 43
; NumVgprs: 118
; ScratchSize: 0
; MemoryBound: 0
; FloatMode: 240
; IeeeMode: 1
; LDSByteSize: 0 bytes/workgroup (compile time only)
; SGPRBlocks: 5
; VGPRBlocks: 14
; NumSGPRsForWavesPerEU: 43
; NumVGPRsForWavesPerEU: 118
; Occupancy: 12
; WaveLimiterHint : 1
; COMPUTE_PGM_RSRC2:SCRATCH_EN: 0
; COMPUTE_PGM_RSRC2:USER_SGPR: 14
; COMPUTE_PGM_RSRC2:TRAP_HANDLER: 0
; COMPUTE_PGM_RSRC2:TGID_X_EN: 1
; COMPUTE_PGM_RSRC2:TGID_Y_EN: 1
; COMPUTE_PGM_RSRC2:TGID_Z_EN: 0
; COMPUTE_PGM_RSRC2:TIDIG_COMP_CNT: 0
	.section	.text._ZN9rocsolver6v33100L31stedc_mergeValues_SortDZ_kernelIfEEviiPT_lS3_Pi,"axG",@progbits,_ZN9rocsolver6v33100L31stedc_mergeValues_SortDZ_kernelIfEEviiPT_lS3_Pi,comdat
	.globl	_ZN9rocsolver6v33100L31stedc_mergeValues_SortDZ_kernelIfEEviiPT_lS3_Pi ; -- Begin function _ZN9rocsolver6v33100L31stedc_mergeValues_SortDZ_kernelIfEEviiPT_lS3_Pi
	.p2align	8
	.type	_ZN9rocsolver6v33100L31stedc_mergeValues_SortDZ_kernelIfEEviiPT_lS3_Pi,@function
_ZN9rocsolver6v33100L31stedc_mergeValues_SortDZ_kernelIfEEviiPT_lS3_Pi: ; @_ZN9rocsolver6v33100L31stedc_mergeValues_SortDZ_kernelIfEEviiPT_lS3_Pi
; %bb.0:
	s_clause 0x1
	s_load_b32 s12, s[0:1], 0x4
	s_load_b256 s[4:11], s[0:1], 0x8
	s_ashr_i32 s2, s15, 31
	s_load_b32 s30, s[0:1], 0x34
	v_mov_b32_e32 v18, 0
	s_waitcnt lgkmcnt(0)
	s_ashr_i32 s13, s12, 31
	s_mul_i32 s3, s15, s7
	s_mul_hi_u32 s7, s15, s6
	s_mul_i32 s16, s2, s6
	s_add_i32 s3, s7, s3
	s_mul_i32 s2, s15, s6
	s_add_i32 s3, s3, s16
	s_mul_i32 s15, s12, s15
	s_lshl_b64 s[2:3], s[2:3], 2
	s_mul_i32 s6, s15, 13
	s_add_u32 s27, s4, s2
	s_addc_u32 s28, s5, s3
	s_ashr_i32 s7, s6, 31
	s_delay_alu instid0(SALU_CYCLE_1) | instskip(SKIP_4) | instid1(SALU_CYCLE_1)
	s_lshl_b64 s[2:3], s[6:7], 2
	s_mul_hi_i32 s6, s12, 0xffffffec
	s_add_u32 s4, s10, s2
	s_addc_u32 s5, s11, s3
	s_lshl_b32 s2, s12, 3
	s_ashr_i32 s3, s2, 31
	s_delay_alu instid0(SALU_CYCLE_1) | instskip(NEXT) | instid1(SALU_CYCLE_1)
	s_lshl_b64 s[2:3], s[2:3], 2
	s_add_u32 s31, s4, s2
	s_addc_u32 s33, s5, s3
	s_lshl_b64 s[2:3], s[12:13], 3
	s_mul_i32 s4, s12, 0xffffffec
	s_add_u32 s18, s31, s2
	s_addc_u32 s19, s33, s3
	s_add_u32 s7, s18, s4
	s_addc_u32 s26, s19, s6
	s_lshl_b64 s[10:11], s[12:13], 2
	s_mul_i32 s2, s15, 10
	s_add_u32 s22, s7, s10
	s_addc_u32 s23, s26, s11
	s_ashr_i32 s3, s2, 31
	s_mul_i32 s4, s12, 7
	s_lshl_b64 s[2:3], s[2:3], 2
	s_ashr_i32 s5, s4, 31
	s_add_u32 s6, s8, s2
	s_addc_u32 s29, s9, s3
	s_lshl_b64 s[2:3], s[4:5], 2
	s_delay_alu instid0(SALU_CYCLE_1)
	s_add_u32 s16, s6, s2
	s_addc_u32 s17, s29, s3
	s_add_u32 s20, s16, s10
	s_addc_u32 s21, s17, s11
	s_add_u32 s24, s20, s10
	s_addc_u32 s25, s21, s11
	s_ashr_i32 s15, s14, 31
	s_delay_alu instid0(SALU_CYCLE_1) | instskip(NEXT) | instid1(SALU_CYCLE_1)
	s_lshl_b64 s[8:9], s[14:15], 2
	s_add_u32 s0, s24, s8
	s_addc_u32 s1, s25, s9
	s_add_u32 s2, s27, s8
	s_addc_u32 s3, s28, s9
	;; [unrolled: 2-line block ×5, first 2 shown]
	s_and_b32 s30, s30, 0xffff
	s_clause 0x1
	s_load_b32 s35, s[6:7], 0x0
	s_load_b32 s29, s[36:37], 0x0
	s_lshl_b32 s34, s30, 3
	s_load_b32 s0, s[0:1], 0x0
	v_cvt_f32_u32_e32 v1, s34
	s_load_b32 s15, s[2:3], 0x0
	s_sub_i32 s2, 0, s34
	s_load_b32 s26, s[4:5], 0x0
	s_delay_alu instid0(VALU_DEP_1) | instskip(SKIP_4) | instid1(SALU_CYCLE_1)
	v_rcp_iflag_f32_e32 v1, v1
	s_waitcnt_depctr 0xfff
	v_mul_f32_e32 v1, 0x4f7ffffe, v1
	s_waitcnt lgkmcnt(0)
	s_add_i32 s3, s35, -1
	s_abs_i32 s6, s3
	v_cmp_lt_f32_e64 s0, s0, 0
	v_cvt_u32_f32_e32 v1, v1
	s_ashr_i32 s3, s3, 31
	s_delay_alu instid0(VALU_DEP_2) | instskip(NEXT) | instid1(VALU_DEP_2)
	v_cndmask_b32_e64 v19, 1.0, -1.0, s0
	v_readfirstlane_b32 s1, v1
	v_mov_b32_e32 v1, 0
	s_delay_alu instid0(VALU_DEP_3) | instskip(NEXT) | instid1(VALU_DEP_3)
	v_mul_f32_e32 v17, s15, v19
	s_mul_i32 s2, s2, s1
	s_delay_alu instid0(SALU_CYCLE_1) | instskip(NEXT) | instid1(SALU_CYCLE_1)
	s_mul_hi_u32 s2, s1, s2
	s_add_i32 s1, s1, s2
	s_delay_alu instid0(SALU_CYCLE_1) | instskip(NEXT) | instid1(SALU_CYCLE_1)
	s_mul_hi_u32 s1, s6, s1
	s_mul_i32 s2, s1, s34
	s_add_i32 s4, s1, 1
	s_sub_i32 s2, s6, s2
	s_delay_alu instid0(SALU_CYCLE_1)
	s_sub_i32 s5, s2, s34
	s_cmp_ge_u32 s2, s34
	s_cselect_b32 s0, s4, s1
	s_cselect_b32 s1, s5, s2
	s_add_i32 s2, s0, 1
	s_cmp_ge_u32 s1, s34
	s_cselect_b32 s0, s2, s0
	s_delay_alu instid0(SALU_CYCLE_1) | instskip(NEXT) | instid1(SALU_CYCLE_1)
	s_xor_b32 s0, s0, s3
	s_sub_i32 s1, s0, s3
	s_mov_b32 s0, -1
	s_cmp_lt_i32 s1, 0
	s_cbranch_scc1 .LBB34_68
; %bb.1:
	s_add_u32 s2, s31, s8
	s_addc_u32 s3, s33, s9
	s_add_i32 s37, s1, 1
	s_load_b32 s36, s[2:3], 0x0
	s_lshl_b32 s0, s30, 1
	s_mul_i32 s1, s30, 3
	s_add_i32 s38, s29, s0
	s_add_i32 s39, s29, s1
	s_lshl_b32 s0, s30, 2
	s_mul_i32 s1, s30, 5
	v_dual_mov_b32 v20, 0 :: v_dual_mov_b32 v21, v0
	v_dual_mov_b32 v22, 0 :: v_dual_mov_b32 v23, 0
	v_mov_b32_e32 v18, 0
	s_add_i32 s40, s29, s0
	s_add_i32 s41, s29, s1
	s_mul_i32 s0, s30, 6
	s_mul_i32 s1, s30, 7
	s_add_i32 s42, s29, s0
	s_add_i32 s43, s29, s1
	;; [unrolled: 1-line block ×3, first 2 shown]
                                        ; implicit-def: $vgpr1_vgpr2_vgpr3_vgpr4_vgpr5_vgpr6_vgpr7_vgpr8
                                        ; implicit-def: $vgpr9_vgpr10_vgpr11_vgpr12_vgpr13_vgpr14_vgpr15_vgpr16
	s_branch .LBB34_4
.LBB34_2:                               ;   in Loop: Header=BB34_4 Depth=1
	s_or_b32 exec_lo, exec_lo, s3
	v_cmp_u_f32_e32 vcc_lo, v8, v8
	v_cndmask_b32_e64 v24, 0, 1, s2
	v_cndmask_b32_e64 v25, 0, 1, s0
	v_add_co_ci_u32_e32 v20, vcc_lo, 0, v20, vcc_lo
	v_cmp_lt_i32_e32 vcc_lo, 0, v16
	s_delay_alu instid0(VALU_DEP_4) | instskip(NEXT) | instid1(VALU_DEP_4)
	v_add_nc_u32_e32 v22, v22, v24
	v_add_nc_u32_e32 v23, v23, v25
	v_add_co_ci_u32_e32 v18, vcc_lo, 0, v18, vcc_lo
.LBB34_3:                               ;   in Loop: Header=BB34_4 Depth=1
	s_or_b32 exec_lo, exec_lo, s1
	v_add_nc_u32_e32 v21, s34, v21
	s_add_i32 s37, s37, -1
	s_delay_alu instid0(SALU_CYCLE_1)
	s_cmp_eq_u32 s37, 0
	s_cbranch_scc1 .LBB34_67
.LBB34_4:                               ; =>This Inner Loop Header: Depth=1
	s_delay_alu instid0(VALU_DEP_1) | instskip(NEXT) | instid1(VALU_DEP_1)
	v_cmp_gt_i32_e64 s6, s35, v21
	s_and_saveexec_b32 s0, s6
	s_cbranch_execz .LBB34_6
; %bb.5:                                ;   in Loop: Header=BB34_4 Depth=1
	v_add_nc_u32_e32 v24, s29, v21
	s_delay_alu instid0(VALU_DEP_1) | instskip(NEXT) | instid1(VALU_DEP_1)
	v_ashrrev_i32_e32 v25, 31, v24
	v_lshlrev_b64 v[24:25], 2, v[24:25]
	s_delay_alu instid0(VALU_DEP_1) | instskip(NEXT) | instid1(VALU_DEP_2)
	v_add_co_u32 v26, vcc_lo, s27, v24
	v_add_co_ci_u32_e32 v27, vcc_lo, s28, v25, vcc_lo
	v_add_co_u32 v24, vcc_lo, s31, v24
	v_add_co_ci_u32_e32 v25, vcc_lo, s33, v25, vcc_lo
	global_load_b32 v1, v[26:27], off
	global_load_b32 v9, v[24:25], off
	s_waitcnt vmcnt(1)
	v_mul_f32_e32 v1, v19, v1
.LBB34_6:                               ;   in Loop: Header=BB34_4 Depth=1
	s_or_b32 exec_lo, exec_lo, s0
	v_add_nc_u32_e32 v24, s30, v21
	s_delay_alu instid0(VALU_DEP_1) | instskip(NEXT) | instid1(VALU_DEP_1)
	v_cmp_gt_i32_e64 s5, s35, v24
	s_and_saveexec_b32 s0, s5
	s_cbranch_execz .LBB34_8
; %bb.7:                                ;   in Loop: Header=BB34_4 Depth=1
	v_add_nc_u32_e32 v25, s44, v21
	s_delay_alu instid0(VALU_DEP_1) | instskip(NEXT) | instid1(VALU_DEP_1)
	v_ashrrev_i32_e32 v26, 31, v25
	v_lshlrev_b64 v[25:26], 2, v[25:26]
	s_delay_alu instid0(VALU_DEP_1) | instskip(NEXT) | instid1(VALU_DEP_2)
	v_add_co_u32 v27, vcc_lo, s27, v25
	v_add_co_ci_u32_e32 v28, vcc_lo, s28, v26, vcc_lo
	v_add_co_u32 v25, vcc_lo, s31, v25
	v_add_co_ci_u32_e32 v26, vcc_lo, s33, v26, vcc_lo
	global_load_b32 v2, v[27:28], off
	global_load_b32 v10, v[25:26], off
	s_waitcnt vmcnt(1)
	v_mul_f32_e32 v2, v19, v2
.LBB34_8:                               ;   in Loop: Header=BB34_4 Depth=1
	s_or_b32 exec_lo, exec_lo, s0
	v_add_nc_u32_e32 v24, s30, v24
	s_delay_alu instid0(VALU_DEP_1) | instskip(NEXT) | instid1(VALU_DEP_1)
	v_cmp_gt_i32_e64 s4, s35, v24
	s_and_saveexec_b32 s0, s4
	s_cbranch_execz .LBB34_10
; %bb.9:                                ;   in Loop: Header=BB34_4 Depth=1
	v_add_nc_u32_e32 v25, s38, v21
	s_delay_alu instid0(VALU_DEP_1) | instskip(NEXT) | instid1(VALU_DEP_1)
	v_ashrrev_i32_e32 v26, 31, v25
	v_lshlrev_b64 v[25:26], 2, v[25:26]
	s_delay_alu instid0(VALU_DEP_1) | instskip(NEXT) | instid1(VALU_DEP_2)
	v_add_co_u32 v27, vcc_lo, s27, v25
	v_add_co_ci_u32_e32 v28, vcc_lo, s28, v26, vcc_lo
	v_add_co_u32 v25, vcc_lo, s31, v25
	v_add_co_ci_u32_e32 v26, vcc_lo, s33, v26, vcc_lo
	global_load_b32 v3, v[27:28], off
	global_load_b32 v11, v[25:26], off
	s_waitcnt vmcnt(1)
	v_mul_f32_e32 v3, v19, v3
.LBB34_10:                              ;   in Loop: Header=BB34_4 Depth=1
	s_or_b32 exec_lo, exec_lo, s0
	v_add_nc_u32_e32 v24, s30, v24
	s_delay_alu instid0(VALU_DEP_1) | instskip(NEXT) | instid1(VALU_DEP_1)
	v_cmp_gt_i32_e64 s3, s35, v24
	s_and_saveexec_b32 s0, s3
	s_cbranch_execz .LBB34_12
; %bb.11:                               ;   in Loop: Header=BB34_4 Depth=1
	v_add_nc_u32_e32 v25, s39, v21
	s_delay_alu instid0(VALU_DEP_1) | instskip(NEXT) | instid1(VALU_DEP_1)
	v_ashrrev_i32_e32 v26, 31, v25
	v_lshlrev_b64 v[25:26], 2, v[25:26]
	s_delay_alu instid0(VALU_DEP_1) | instskip(NEXT) | instid1(VALU_DEP_2)
	v_add_co_u32 v27, vcc_lo, s27, v25
	v_add_co_ci_u32_e32 v28, vcc_lo, s28, v26, vcc_lo
	v_add_co_u32 v25, vcc_lo, s31, v25
	v_add_co_ci_u32_e32 v26, vcc_lo, s33, v26, vcc_lo
	global_load_b32 v4, v[27:28], off
	global_load_b32 v12, v[25:26], off
	s_waitcnt vmcnt(1)
	v_mul_f32_e32 v4, v19, v4
.LBB34_12:                              ;   in Loop: Header=BB34_4 Depth=1
	s_or_b32 exec_lo, exec_lo, s0
	v_add_nc_u32_e32 v24, s30, v24
	s_delay_alu instid0(VALU_DEP_1) | instskip(NEXT) | instid1(VALU_DEP_1)
	v_cmp_gt_i32_e64 s2, s35, v24
	s_and_saveexec_b32 s0, s2
	s_cbranch_execz .LBB34_14
; %bb.13:                               ;   in Loop: Header=BB34_4 Depth=1
	v_add_nc_u32_e32 v25, s40, v21
	s_delay_alu instid0(VALU_DEP_1) | instskip(NEXT) | instid1(VALU_DEP_1)
	v_ashrrev_i32_e32 v26, 31, v25
	v_lshlrev_b64 v[25:26], 2, v[25:26]
	s_delay_alu instid0(VALU_DEP_1) | instskip(NEXT) | instid1(VALU_DEP_2)
	v_add_co_u32 v27, vcc_lo, s27, v25
	v_add_co_ci_u32_e32 v28, vcc_lo, s28, v26, vcc_lo
	v_add_co_u32 v25, vcc_lo, s31, v25
	v_add_co_ci_u32_e32 v26, vcc_lo, s33, v26, vcc_lo
	global_load_b32 v5, v[27:28], off
	global_load_b32 v13, v[25:26], off
	s_waitcnt vmcnt(1)
	v_mul_f32_e32 v5, v19, v5
.LBB34_14:                              ;   in Loop: Header=BB34_4 Depth=1
	;; [unrolled: 21-line block ×4, first 2 shown]
	s_or_b32 exec_lo, exec_lo, s7
	v_add_nc_u32_e32 v24, s30, v24
	s_delay_alu instid0(VALU_DEP_1)
	v_cmp_gt_i32_e32 vcc_lo, s35, v24
	s_and_saveexec_b32 s45, vcc_lo
	s_cbranch_execnz .LBB34_27
; %bb.19:                               ;   in Loop: Header=BB34_4 Depth=1
	s_or_b32 exec_lo, exec_lo, s45
	s_and_saveexec_b32 s45, s6
	s_cbranch_execnz .LBB34_28
.LBB34_20:                              ;   in Loop: Header=BB34_4 Depth=1
	s_or_b32 exec_lo, exec_lo, s45
	s_and_saveexec_b32 s7, s5
	s_cbranch_execnz .LBB34_33
.LBB34_21:                              ;   in Loop: Header=BB34_4 Depth=1
	s_or_b32 exec_lo, exec_lo, s7
	s_and_saveexec_b32 s6, s4
	s_cbranch_execnz .LBB34_38
.LBB34_22:                              ;   in Loop: Header=BB34_4 Depth=1
	s_or_b32 exec_lo, exec_lo, s6
	s_and_saveexec_b32 s5, s3
	s_cbranch_execnz .LBB34_43
.LBB34_23:                              ;   in Loop: Header=BB34_4 Depth=1
	s_or_b32 exec_lo, exec_lo, s5
	s_and_saveexec_b32 s4, s2
	s_cbranch_execnz .LBB34_48
.LBB34_24:                              ;   in Loop: Header=BB34_4 Depth=1
	s_or_b32 exec_lo, exec_lo, s4
	s_and_saveexec_b32 s3, s1
	s_cbranch_execnz .LBB34_53
.LBB34_25:                              ;   in Loop: Header=BB34_4 Depth=1
	s_or_b32 exec_lo, exec_lo, s3
	s_and_saveexec_b32 s2, s0
	s_cbranch_execnz .LBB34_58
.LBB34_26:                              ;   in Loop: Header=BB34_4 Depth=1
	s_or_b32 exec_lo, exec_lo, s2
	s_and_saveexec_b32 s1, vcc_lo
	s_cbranch_execz .LBB34_3
	s_branch .LBB34_63
.LBB34_27:                              ;   in Loop: Header=BB34_4 Depth=1
	v_add_nc_u32_e32 v24, s43, v21
	s_delay_alu instid0(VALU_DEP_1) | instskip(NEXT) | instid1(VALU_DEP_1)
	v_ashrrev_i32_e32 v25, 31, v24
	v_lshlrev_b64 v[24:25], 2, v[24:25]
	s_delay_alu instid0(VALU_DEP_1) | instskip(NEXT) | instid1(VALU_DEP_1)
	v_add_co_u32 v26, s7, s27, v24
	v_add_co_ci_u32_e64 v27, s7, s28, v25, s7
	v_add_co_u32 v24, s7, s31, v24
	s_delay_alu instid0(VALU_DEP_1)
	v_add_co_ci_u32_e64 v25, s7, s33, v25, s7
	global_load_b32 v8, v[26:27], off
	global_load_b32 v16, v[24:25], off
	s_waitcnt vmcnt(1)
	v_mul_f32_e32 v8, v19, v8
	s_or_b32 exec_lo, exec_lo, s45
	s_and_saveexec_b32 s45, s6
	s_cbranch_execz .LBB34_20
.LBB34_28:                              ;   in Loop: Header=BB34_4 Depth=1
	s_mov_b32 s46, -1
	s_mov_b32 s47, exec_lo
	s_waitcnt vmcnt(0) lgkmcnt(0)
	v_cmpx_ge_i32_e64 s36, v9
; %bb.29:                               ;   in Loop: Header=BB34_4 Depth=1
	v_cmp_eq_u32_e64 s6, s36, v9
	v_cmp_lt_f32_e64 s7, v1, v17
	s_delay_alu instid0(VALU_DEP_1) | instskip(NEXT) | instid1(SALU_CYCLE_1)
	s_and_b32 s6, s6, s7
	s_or_not1_b32 s46, s6, exec_lo
; %bb.30:                               ;   in Loop: Header=BB34_4 Depth=1
	s_or_b32 exec_lo, exec_lo, s47
	v_cmp_eq_u32_e64 s6, s36, v9
	v_cmp_eq_f32_e64 s7, v1, v17
	s_delay_alu instid0(VALU_DEP_1)
	s_and_b32 s6, s6, s7
	s_mov_b32 s7, 0
	s_and_saveexec_b32 s47, s6
; %bb.31:                               ;   in Loop: Header=BB34_4 Depth=1
	v_add_nc_u32_e32 v24, s29, v21
	s_delay_alu instid0(VALU_DEP_1) | instskip(NEXT) | instid1(VALU_DEP_1)
	v_cmp_gt_i32_e64 s6, s14, v24
	s_and_b32 s7, s6, exec_lo
; %bb.32:                               ;   in Loop: Header=BB34_4 Depth=1
	s_or_b32 exec_lo, exec_lo, s47
	v_cmp_u_f32_e64 s6, v1, v1
	v_cndmask_b32_e64 v24, 0, 1, s46
	v_cndmask_b32_e64 v25, 0, 1, s7
	s_delay_alu instid0(VALU_DEP_3) | instskip(SKIP_1) | instid1(VALU_DEP_4)
	v_add_co_ci_u32_e64 v20, s6, 0, v20, s6
	v_cmp_lt_i32_e64 s6, 0, v9
	v_add_nc_u32_e32 v22, v22, v24
	s_delay_alu instid0(VALU_DEP_4) | instskip(NEXT) | instid1(VALU_DEP_3)
	v_add_nc_u32_e32 v23, v23, v25
	v_add_co_ci_u32_e64 v18, s6, 0, v18, s6
	s_or_b32 exec_lo, exec_lo, s45
	s_and_saveexec_b32 s7, s5
	s_cbranch_execz .LBB34_21
.LBB34_33:                              ;   in Loop: Header=BB34_4 Depth=1
	s_mov_b32 s45, -1
	s_mov_b32 s46, exec_lo
	s_waitcnt vmcnt(0) lgkmcnt(0)
	v_cmpx_ge_i32_e64 s36, v10
; %bb.34:                               ;   in Loop: Header=BB34_4 Depth=1
	v_cmp_eq_u32_e64 s5, s36, v10
	v_cmp_lt_f32_e64 s6, v2, v17
	s_delay_alu instid0(VALU_DEP_1) | instskip(NEXT) | instid1(SALU_CYCLE_1)
	s_and_b32 s5, s5, s6
	s_or_not1_b32 s45, s5, exec_lo
; %bb.35:                               ;   in Loop: Header=BB34_4 Depth=1
	s_or_b32 exec_lo, exec_lo, s46
	v_cmp_eq_u32_e64 s5, s36, v10
	v_cmp_eq_f32_e64 s6, v2, v17
	s_delay_alu instid0(VALU_DEP_1)
	s_and_b32 s5, s5, s6
	s_mov_b32 s6, 0
	s_and_saveexec_b32 s46, s5
; %bb.36:                               ;   in Loop: Header=BB34_4 Depth=1
	v_add_nc_u32_e32 v24, s44, v21
	s_delay_alu instid0(VALU_DEP_1) | instskip(NEXT) | instid1(VALU_DEP_1)
	v_cmp_gt_i32_e64 s5, s14, v24
	s_and_b32 s6, s5, exec_lo
; %bb.37:                               ;   in Loop: Header=BB34_4 Depth=1
	s_or_b32 exec_lo, exec_lo, s46
	v_cmp_u_f32_e64 s5, v2, v2
	v_cndmask_b32_e64 v24, 0, 1, s45
	v_cndmask_b32_e64 v25, 0, 1, s6
	s_delay_alu instid0(VALU_DEP_3) | instskip(SKIP_1) | instid1(VALU_DEP_4)
	v_add_co_ci_u32_e64 v20, s5, 0, v20, s5
	v_cmp_lt_i32_e64 s5, 0, v10
	v_add_nc_u32_e32 v22, v22, v24
	s_delay_alu instid0(VALU_DEP_4) | instskip(NEXT) | instid1(VALU_DEP_3)
	v_add_nc_u32_e32 v23, v23, v25
	v_add_co_ci_u32_e64 v18, s5, 0, v18, s5
	s_or_b32 exec_lo, exec_lo, s7
	s_and_saveexec_b32 s6, s4
	s_cbranch_execz .LBB34_22
.LBB34_38:                              ;   in Loop: Header=BB34_4 Depth=1
	s_mov_b32 s7, -1
	s_mov_b32 s45, exec_lo
	s_waitcnt vmcnt(0) lgkmcnt(0)
	v_cmpx_ge_i32_e64 s36, v11
; %bb.39:                               ;   in Loop: Header=BB34_4 Depth=1
	v_cmp_eq_u32_e64 s4, s36, v11
	v_cmp_lt_f32_e64 s5, v3, v17
	s_delay_alu instid0(VALU_DEP_1) | instskip(NEXT) | instid1(SALU_CYCLE_1)
	s_and_b32 s4, s4, s5
	s_or_not1_b32 s7, s4, exec_lo
; %bb.40:                               ;   in Loop: Header=BB34_4 Depth=1
	s_or_b32 exec_lo, exec_lo, s45
	v_cmp_eq_u32_e64 s4, s36, v11
	v_cmp_eq_f32_e64 s5, v3, v17
	s_delay_alu instid0(VALU_DEP_1)
	s_and_b32 s4, s4, s5
	s_mov_b32 s5, 0
	s_and_saveexec_b32 s45, s4
; %bb.41:                               ;   in Loop: Header=BB34_4 Depth=1
	v_add_nc_u32_e32 v24, s38, v21
	s_delay_alu instid0(VALU_DEP_1) | instskip(NEXT) | instid1(VALU_DEP_1)
	v_cmp_gt_i32_e64 s4, s14, v24
	s_and_b32 s5, s4, exec_lo
; %bb.42:                               ;   in Loop: Header=BB34_4 Depth=1
	s_or_b32 exec_lo, exec_lo, s45
	v_cmp_u_f32_e64 s4, v3, v3
	v_cndmask_b32_e64 v24, 0, 1, s7
	v_cndmask_b32_e64 v25, 0, 1, s5
	s_delay_alu instid0(VALU_DEP_3) | instskip(SKIP_1) | instid1(VALU_DEP_4)
	v_add_co_ci_u32_e64 v20, s4, 0, v20, s4
	v_cmp_lt_i32_e64 s4, 0, v11
	v_add_nc_u32_e32 v22, v22, v24
	s_delay_alu instid0(VALU_DEP_4) | instskip(NEXT) | instid1(VALU_DEP_3)
	v_add_nc_u32_e32 v23, v23, v25
	v_add_co_ci_u32_e64 v18, s4, 0, v18, s4
	s_or_b32 exec_lo, exec_lo, s6
	s_and_saveexec_b32 s5, s3
	s_cbranch_execz .LBB34_23
.LBB34_43:                              ;   in Loop: Header=BB34_4 Depth=1
	s_mov_b32 s6, -1
	s_mov_b32 s7, exec_lo
	s_waitcnt vmcnt(0) lgkmcnt(0)
	v_cmpx_ge_i32_e64 s36, v12
; %bb.44:                               ;   in Loop: Header=BB34_4 Depth=1
	v_cmp_eq_u32_e64 s3, s36, v12
	v_cmp_lt_f32_e64 s4, v4, v17
	s_delay_alu instid0(VALU_DEP_1) | instskip(NEXT) | instid1(SALU_CYCLE_1)
	s_and_b32 s3, s3, s4
	s_or_not1_b32 s6, s3, exec_lo
; %bb.45:                               ;   in Loop: Header=BB34_4 Depth=1
	s_or_b32 exec_lo, exec_lo, s7
	v_cmp_eq_u32_e64 s3, s36, v12
	v_cmp_eq_f32_e64 s4, v4, v17
	s_delay_alu instid0(VALU_DEP_1)
	s_and_b32 s3, s3, s4
	s_mov_b32 s4, 0
	s_and_saveexec_b32 s7, s3
; %bb.46:                               ;   in Loop: Header=BB34_4 Depth=1
	v_add_nc_u32_e32 v24, s39, v21
	s_delay_alu instid0(VALU_DEP_1) | instskip(NEXT) | instid1(VALU_DEP_1)
	v_cmp_gt_i32_e64 s3, s14, v24
	s_and_b32 s4, s3, exec_lo
; %bb.47:                               ;   in Loop: Header=BB34_4 Depth=1
	s_or_b32 exec_lo, exec_lo, s7
	v_cmp_u_f32_e64 s3, v4, v4
	v_cndmask_b32_e64 v24, 0, 1, s6
	v_cndmask_b32_e64 v25, 0, 1, s4
	s_delay_alu instid0(VALU_DEP_3) | instskip(SKIP_1) | instid1(VALU_DEP_4)
	v_add_co_ci_u32_e64 v20, s3, 0, v20, s3
	v_cmp_lt_i32_e64 s3, 0, v12
	v_add_nc_u32_e32 v22, v22, v24
	s_delay_alu instid0(VALU_DEP_4) | instskip(NEXT) | instid1(VALU_DEP_3)
	v_add_nc_u32_e32 v23, v23, v25
	v_add_co_ci_u32_e64 v18, s3, 0, v18, s3
	s_or_b32 exec_lo, exec_lo, s5
	s_and_saveexec_b32 s4, s2
	s_cbranch_execz .LBB34_24
.LBB34_48:                              ;   in Loop: Header=BB34_4 Depth=1
	s_mov_b32 s5, -1
	s_mov_b32 s6, exec_lo
	s_waitcnt vmcnt(0) lgkmcnt(0)
	v_cmpx_ge_i32_e64 s36, v13
; %bb.49:                               ;   in Loop: Header=BB34_4 Depth=1
	v_cmp_eq_u32_e64 s2, s36, v13
	v_cmp_lt_f32_e64 s3, v5, v17
	s_delay_alu instid0(VALU_DEP_1) | instskip(NEXT) | instid1(SALU_CYCLE_1)
	s_and_b32 s2, s2, s3
	s_or_not1_b32 s5, s2, exec_lo
; %bb.50:                               ;   in Loop: Header=BB34_4 Depth=1
	s_or_b32 exec_lo, exec_lo, s6
	v_cmp_eq_u32_e64 s2, s36, v13
	v_cmp_eq_f32_e64 s3, v5, v17
	s_delay_alu instid0(VALU_DEP_1)
	s_and_b32 s2, s2, s3
	s_mov_b32 s3, 0
	s_and_saveexec_b32 s6, s2
; %bb.51:                               ;   in Loop: Header=BB34_4 Depth=1
	v_add_nc_u32_e32 v24, s40, v21
	s_delay_alu instid0(VALU_DEP_1) | instskip(NEXT) | instid1(VALU_DEP_1)
	v_cmp_gt_i32_e64 s2, s14, v24
	s_and_b32 s3, s2, exec_lo
; %bb.52:                               ;   in Loop: Header=BB34_4 Depth=1
	s_or_b32 exec_lo, exec_lo, s6
	v_cmp_u_f32_e64 s2, v5, v5
	v_cndmask_b32_e64 v24, 0, 1, s5
	v_cndmask_b32_e64 v25, 0, 1, s3
	s_delay_alu instid0(VALU_DEP_3) | instskip(SKIP_1) | instid1(VALU_DEP_4)
	v_add_co_ci_u32_e64 v20, s2, 0, v20, s2
	v_cmp_lt_i32_e64 s2, 0, v13
	v_add_nc_u32_e32 v22, v22, v24
	s_delay_alu instid0(VALU_DEP_4) | instskip(NEXT) | instid1(VALU_DEP_3)
	v_add_nc_u32_e32 v23, v23, v25
	v_add_co_ci_u32_e64 v18, s2, 0, v18, s2
	s_or_b32 exec_lo, exec_lo, s4
	s_and_saveexec_b32 s3, s1
	s_cbranch_execz .LBB34_25
.LBB34_53:                              ;   in Loop: Header=BB34_4 Depth=1
	s_mov_b32 s4, -1
	s_mov_b32 s5, exec_lo
	s_waitcnt vmcnt(0) lgkmcnt(0)
	v_cmpx_ge_i32_e64 s36, v14
; %bb.54:                               ;   in Loop: Header=BB34_4 Depth=1
	v_cmp_eq_u32_e64 s1, s36, v14
	v_cmp_lt_f32_e64 s2, v6, v17
	s_delay_alu instid0(VALU_DEP_1) | instskip(NEXT) | instid1(SALU_CYCLE_1)
	s_and_b32 s1, s1, s2
	s_or_not1_b32 s4, s1, exec_lo
; %bb.55:                               ;   in Loop: Header=BB34_4 Depth=1
	s_or_b32 exec_lo, exec_lo, s5
	v_cmp_eq_u32_e64 s1, s36, v14
	v_cmp_eq_f32_e64 s2, v6, v17
	s_delay_alu instid0(VALU_DEP_1)
	s_and_b32 s1, s1, s2
	s_mov_b32 s2, 0
	s_and_saveexec_b32 s5, s1
; %bb.56:                               ;   in Loop: Header=BB34_4 Depth=1
	v_add_nc_u32_e32 v24, s41, v21
	s_delay_alu instid0(VALU_DEP_1) | instskip(NEXT) | instid1(VALU_DEP_1)
	v_cmp_gt_i32_e64 s1, s14, v24
	s_and_b32 s2, s1, exec_lo
; %bb.57:                               ;   in Loop: Header=BB34_4 Depth=1
	s_or_b32 exec_lo, exec_lo, s5
	v_cmp_u_f32_e64 s1, v6, v6
	v_cndmask_b32_e64 v24, 0, 1, s4
	v_cndmask_b32_e64 v25, 0, 1, s2
	s_delay_alu instid0(VALU_DEP_3) | instskip(SKIP_1) | instid1(VALU_DEP_4)
	v_add_co_ci_u32_e64 v20, s1, 0, v20, s1
	v_cmp_lt_i32_e64 s1, 0, v14
	v_add_nc_u32_e32 v22, v22, v24
	s_delay_alu instid0(VALU_DEP_4) | instskip(NEXT) | instid1(VALU_DEP_3)
	v_add_nc_u32_e32 v23, v23, v25
	v_add_co_ci_u32_e64 v18, s1, 0, v18, s1
	s_or_b32 exec_lo, exec_lo, s3
	s_and_saveexec_b32 s2, s0
	s_cbranch_execz .LBB34_26
.LBB34_58:                              ;   in Loop: Header=BB34_4 Depth=1
	s_mov_b32 s3, -1
	s_mov_b32 s4, exec_lo
	s_waitcnt vmcnt(0) lgkmcnt(0)
	v_cmpx_ge_i32_e64 s36, v15
; %bb.59:                               ;   in Loop: Header=BB34_4 Depth=1
	v_cmp_eq_u32_e64 s0, s36, v15
	v_cmp_lt_f32_e64 s1, v7, v17
	s_delay_alu instid0(VALU_DEP_1) | instskip(NEXT) | instid1(SALU_CYCLE_1)
	s_and_b32 s0, s0, s1
	s_or_not1_b32 s3, s0, exec_lo
; %bb.60:                               ;   in Loop: Header=BB34_4 Depth=1
	s_or_b32 exec_lo, exec_lo, s4
	v_cmp_eq_u32_e64 s0, s36, v15
	v_cmp_eq_f32_e64 s1, v7, v17
	s_delay_alu instid0(VALU_DEP_1)
	s_and_b32 s0, s0, s1
	s_mov_b32 s1, 0
	s_and_saveexec_b32 s4, s0
; %bb.61:                               ;   in Loop: Header=BB34_4 Depth=1
	v_add_nc_u32_e32 v24, s42, v21
	s_delay_alu instid0(VALU_DEP_1) | instskip(NEXT) | instid1(VALU_DEP_1)
	v_cmp_gt_i32_e64 s0, s14, v24
	s_and_b32 s1, s0, exec_lo
; %bb.62:                               ;   in Loop: Header=BB34_4 Depth=1
	s_or_b32 exec_lo, exec_lo, s4
	v_cmp_u_f32_e64 s0, v7, v7
	v_cndmask_b32_e64 v24, 0, 1, s3
	v_cndmask_b32_e64 v25, 0, 1, s1
	s_delay_alu instid0(VALU_DEP_3) | instskip(SKIP_1) | instid1(VALU_DEP_4)
	v_add_co_ci_u32_e64 v20, s0, 0, v20, s0
	v_cmp_lt_i32_e64 s0, 0, v15
	v_add_nc_u32_e32 v22, v22, v24
	s_delay_alu instid0(VALU_DEP_4) | instskip(NEXT) | instid1(VALU_DEP_3)
	v_add_nc_u32_e32 v23, v23, v25
	v_add_co_ci_u32_e64 v18, s0, 0, v18, s0
	s_or_b32 exec_lo, exec_lo, s2
	s_and_saveexec_b32 s1, vcc_lo
	s_cbranch_execz .LBB34_3
.LBB34_63:                              ;   in Loop: Header=BB34_4 Depth=1
	s_mov_b32 s2, -1
	s_mov_b32 s3, exec_lo
	s_waitcnt vmcnt(0) lgkmcnt(0)
	v_cmpx_ge_i32_e64 s36, v16
; %bb.64:                               ;   in Loop: Header=BB34_4 Depth=1
	v_cmp_eq_u32_e32 vcc_lo, s36, v16
	v_cmp_lt_f32_e64 s0, v8, v17
	s_delay_alu instid0(VALU_DEP_1) | instskip(NEXT) | instid1(SALU_CYCLE_1)
	s_and_b32 s0, vcc_lo, s0
	s_or_not1_b32 s2, s0, exec_lo
; %bb.65:                               ;   in Loop: Header=BB34_4 Depth=1
	s_or_b32 exec_lo, exec_lo, s3
	v_cmp_eq_u32_e32 vcc_lo, s36, v16
	v_cmp_eq_f32_e64 s0, v8, v17
	s_delay_alu instid0(VALU_DEP_1)
	s_and_b32 s4, vcc_lo, s0
	s_mov_b32 s0, 0
	s_and_saveexec_b32 s3, s4
	s_cbranch_execz .LBB34_2
; %bb.66:                               ;   in Loop: Header=BB34_4 Depth=1
	v_add_nc_u32_e32 v24, s43, v21
	s_delay_alu instid0(VALU_DEP_1)
	v_cmp_gt_i32_e32 vcc_lo, s14, v24
	s_and_b32 s0, vcc_lo, exec_lo
	s_branch .LBB34_2
.LBB34_67:
	v_add_nc_u32_e32 v1, v22, v23
	v_cmp_eq_u32_e64 s0, 0, v20
.LBB34_68:
	v_lshlrev_b32_e32 v2, 2, v0
	s_cmp_lt_u32 s30, 2
	ds_store_2addr_stride64_b32 v2, v18, v1 offset1:8
	s_waitcnt vmcnt(0) lgkmcnt(0)
	s_barrier
	buffer_gl0_inv
	s_cbranch_scc1 .LBB34_73
; %bb.69:
	v_or_b32_e32 v3, 0x800, v2
	s_lshr_b32 s1, s30, 1
	s_mov_b32 s2, exec_lo
	v_cmpx_gt_u32_e64 s1, v0
	s_cbranch_execz .LBB34_71
	.p2align	6
.LBB34_70:
	s_lshl_b32 s3, s1, 2
	s_delay_alu instid0(SALU_CYCLE_1)
	v_add_nc_u32_e32 v4, s3, v3
	v_add_nc_u32_e32 v5, s3, v2
	ds_load_b32 v4, v4
	ds_load_b32 v5, v5
	s_waitcnt lgkmcnt(1)
	v_add_nc_u32_e32 v1, v4, v1
	s_waitcnt lgkmcnt(0)
	v_add_nc_u32_e32 v18, v5, v18
	ds_store_b32 v3, v1
	ds_store_b32 v2, v18
.LBB34_71:                              ; =>This Inner Loop Header: Depth=1
	s_or_b32 exec_lo, exec_lo, s2
	s_cmp_gt_u32 s30, 3
	s_waitcnt lgkmcnt(0)
	s_barrier
	buffer_gl0_inv
	s_cbranch_scc0 .LBB34_73
; %bb.72:                               ;   in Loop: Header=BB34_71 Depth=1
	s_mov_b32 s30, s1
	s_delay_alu instid0(SALU_CYCLE_1)
	s_lshr_b32 s1, s30, 1
	s_mov_b32 s2, exec_lo
	v_cmpx_gt_u32_e64 s1, v0
	s_cbranch_execnz .LBB34_70
	s_branch .LBB34_71
.LBB34_73:
	s_xor_b32 s0, s0, -1
	s_mov_b32 s1, exec_lo
	v_cmpx_eq_u32_e32 0, v0
	s_cbranch_execz .LBB34_75
; %bb.74:
	v_dual_mov_b32 v11, s26 :: v_dual_add_nc_u32 v0, s29, v1
	s_add_u32 s4, s22, s10
	s_addc_u32 s5, s23, s11
	s_lshl_b64 s[2:3], s[12:13], 5
	s_delay_alu instid0(VALU_DEP_1)
	v_ashrrev_i32_e32 v1, 31, v0
	s_sub_u32 s2, s24, s2
	v_mov_b32_e32 v10, s14
	s_subb_u32 s3, s25, s3
	v_mov_b32_e32 v12, s15
	v_lshlrev_b64 v[0:1], 2, v[0:1]
	s_delay_alu instid0(VALU_DEP_1) | instskip(NEXT) | instid1(VALU_DEP_2)
	v_add_co_u32 v2, vcc_lo, s4, v0
	v_add_co_ci_u32_e32 v3, vcc_lo, s5, v1, vcc_lo
	v_add_co_u32 v4, vcc_lo, s18, v0
	v_add_co_ci_u32_e32 v5, vcc_lo, s19, v1, vcc_lo
	;; [unrolled: 2-line block ×5, first 2 shown]
	global_store_b32 v[2:3], v18, off
	global_store_b32 v[4:5], v10, off
	s_clause 0x2
	global_store_b32 v[6:7], v17, off
	global_store_b32 v[8:9], v11, off
	;; [unrolled: 1-line block ×3, first 2 shown]
.LBB34_75:
	s_or_b32 exec_lo, exec_lo, s1
	s_waitcnt_vscnt null, 0x0
	s_barrier
	buffer_gl0_inv
	s_and_saveexec_b32 s1, s0
	s_cbranch_execz .LBB34_77
; %bb.76:
	v_dual_mov_b32 v0, 0 :: v_dual_mov_b32 v1, 0x7fc00000
	s_add_u32 s0, s16, s8
	s_addc_u32 s1, s17, s9
	global_store_b32 v0, v1, s[0:1]
.LBB34_77:
	s_nop 0
	s_sendmsg sendmsg(MSG_DEALLOC_VGPRS)
	s_endpgm
	.section	.rodata,"a",@progbits
	.p2align	6, 0x0
	.amdhsa_kernel _ZN9rocsolver6v33100L31stedc_mergeValues_SortDZ_kernelIfEEviiPT_lS3_Pi
		.amdhsa_group_segment_fixed_size 4096
		.amdhsa_private_segment_fixed_size 0
		.amdhsa_kernarg_size 296
		.amdhsa_user_sgpr_count 14
		.amdhsa_user_sgpr_dispatch_ptr 0
		.amdhsa_user_sgpr_queue_ptr 0
		.amdhsa_user_sgpr_kernarg_segment_ptr 1
		.amdhsa_user_sgpr_dispatch_id 0
		.amdhsa_user_sgpr_private_segment_size 0
		.amdhsa_wavefront_size32 1
		.amdhsa_uses_dynamic_stack 0
		.amdhsa_enable_private_segment 0
		.amdhsa_system_sgpr_workgroup_id_x 1
		.amdhsa_system_sgpr_workgroup_id_y 1
		.amdhsa_system_sgpr_workgroup_id_z 0
		.amdhsa_system_sgpr_workgroup_info 0
		.amdhsa_system_vgpr_workitem_id 0
		.amdhsa_next_free_vgpr 29
		.amdhsa_next_free_sgpr 48
		.amdhsa_reserve_vcc 1
		.amdhsa_float_round_mode_32 0
		.amdhsa_float_round_mode_16_64 0
		.amdhsa_float_denorm_mode_32 3
		.amdhsa_float_denorm_mode_16_64 3
		.amdhsa_dx10_clamp 1
		.amdhsa_ieee_mode 1
		.amdhsa_fp16_overflow 0
		.amdhsa_workgroup_processor_mode 1
		.amdhsa_memory_ordered 1
		.amdhsa_forward_progress 0
		.amdhsa_shared_vgpr_count 0
		.amdhsa_exception_fp_ieee_invalid_op 0
		.amdhsa_exception_fp_denorm_src 0
		.amdhsa_exception_fp_ieee_div_zero 0
		.amdhsa_exception_fp_ieee_overflow 0
		.amdhsa_exception_fp_ieee_underflow 0
		.amdhsa_exception_fp_ieee_inexact 0
		.amdhsa_exception_int_div_zero 0
	.end_amdhsa_kernel
	.section	.text._ZN9rocsolver6v33100L31stedc_mergeValues_SortDZ_kernelIfEEviiPT_lS3_Pi,"axG",@progbits,_ZN9rocsolver6v33100L31stedc_mergeValues_SortDZ_kernelIfEEviiPT_lS3_Pi,comdat
.Lfunc_end34:
	.size	_ZN9rocsolver6v33100L31stedc_mergeValues_SortDZ_kernelIfEEviiPT_lS3_Pi, .Lfunc_end34-_ZN9rocsolver6v33100L31stedc_mergeValues_SortDZ_kernelIfEEviiPT_lS3_Pi
                                        ; -- End function
	.section	.AMDGPU.csdata,"",@progbits
; Kernel info:
; codeLenInByte = 3436
; NumSgprs: 50
; NumVgprs: 29
; ScratchSize: 0
; MemoryBound: 0
; FloatMode: 240
; IeeeMode: 1
; LDSByteSize: 4096 bytes/workgroup (compile time only)
; SGPRBlocks: 6
; VGPRBlocks: 3
; NumSGPRsForWavesPerEU: 50
; NumVGPRsForWavesPerEU: 29
; Occupancy: 16
; WaveLimiterHint : 1
; COMPUTE_PGM_RSRC2:SCRATCH_EN: 0
; COMPUTE_PGM_RSRC2:USER_SGPR: 14
; COMPUTE_PGM_RSRC2:TRAP_HANDLER: 0
; COMPUTE_PGM_RSRC2:TGID_X_EN: 1
; COMPUTE_PGM_RSRC2:TGID_Y_EN: 1
; COMPUTE_PGM_RSRC2:TGID_Z_EN: 0
; COMPUTE_PGM_RSRC2:TIDIG_COMP_CNT: 0
	.section	.text._ZN9rocsolver6v33100L30stedc_mergeValues_copyD_kernelIfEEviiPT_lS3_S3_Pi,"axG",@progbits,_ZN9rocsolver6v33100L30stedc_mergeValues_copyD_kernelIfEEviiPT_lS3_S3_Pi,comdat
	.globl	_ZN9rocsolver6v33100L30stedc_mergeValues_copyD_kernelIfEEviiPT_lS3_S3_Pi ; -- Begin function _ZN9rocsolver6v33100L30stedc_mergeValues_copyD_kernelIfEEviiPT_lS3_S3_Pi
	.p2align	8
	.type	_ZN9rocsolver6v33100L30stedc_mergeValues_copyD_kernelIfEEviiPT_lS3_S3_Pi,@function
_ZN9rocsolver6v33100L30stedc_mergeValues_copyD_kernelIfEEviiPT_lS3_S3_Pi: ; @_ZN9rocsolver6v33100L30stedc_mergeValues_copyD_kernelIfEEviiPT_lS3_S3_Pi
; %bb.0:
	s_clause 0x3
	s_load_b32 s12, s[0:1], 0x4
	s_load_b64 s[18:19], s[0:1], 0x28
	s_load_b256 s[4:11], s[0:1], 0x8
	s_load_b32 s17, s[0:1], 0x3c
	s_mov_b32 s2, s15
	s_waitcnt lgkmcnt(0)
	s_mul_i32 s16, s15, s12
	s_delay_alu instid0(SALU_CYCLE_1) | instskip(NEXT) | instid1(SALU_CYCLE_1)
	s_mul_i32 s20, s16, 13
	s_ashr_i32 s21, s20, 31
	s_delay_alu instid0(SALU_CYCLE_1)
	s_lshl_b64 s[0:1], s[20:21], 2
	s_mul_i32 s20, s12, 7
	s_add_u32 s3, s18, s0
	s_addc_u32 s13, s19, s1
	s_ashr_i32 s21, s20, 31
	s_mul_i32 s18, s16, 10
	s_lshl_b64 s[0:1], s[20:21], 2
	s_delay_alu instid0(SALU_CYCLE_1)
	s_add_u32 s22, s3, s0
	s_addc_u32 s23, s13, s1
	s_ashr_i32 s19, s18, 31
	s_ashr_i32 s13, s12, 31
	s_lshl_b64 s[18:19], s[18:19], 2
	s_lshl_b64 s[20:21], s[12:13], 2
	s_add_u32 s3, s8, s18
	s_addc_u32 s8, s9, s19
	s_add_u32 s3, s3, s0
	s_addc_u32 s8, s8, s1
	s_ashr_i32 s15, s14, 31
	s_delay_alu instid0(SALU_CYCLE_1) | instskip(NEXT) | instid1(SALU_CYCLE_1)
	s_lshl_b64 s[0:1], s[14:15], 2
	s_add_u32 s0, s22, s0
	s_addc_u32 s1, s23, s1
	s_sub_u32 s18, s0, s20
	s_subb_u32 s19, s1, s21
	s_clause 0x1
	s_load_b32 s9, s[0:1], 0x0
	s_load_b32 s13, s[18:19], 0x0
	s_and_b32 s15, s17, 0xffff
	s_mov_b32 s0, exec_lo
	v_mad_u64_u32 v[1:2], null, s14, s15, v[0:1]
	s_delay_alu instid0(VALU_DEP_1)
	v_cmpx_gt_i32_e64 s12, v1
	s_cbranch_execz .LBB35_2
; %bb.1:
	v_ashrrev_i32_e32 v2, 31, v1
	s_mul_i32 s1, s12, 0xffffffe8
	s_mul_hi_i32 s17, s12, 0xffffffe8
	s_add_u32 s1, s3, s1
	s_addc_u32 s17, s8, s17
	v_lshlrev_b64 v[1:2], 2, v[1:2]
	s_delay_alu instid0(VALU_DEP_1) | instskip(NEXT) | instid1(VALU_DEP_2)
	v_add_co_u32 v3, vcc_lo, s1, v1
	v_add_co_ci_u32_e32 v4, vcc_lo, s17, v2, vcc_lo
	s_mul_i32 s1, s2, s7
	s_mul_hi_u32 s7, s2, s6
	s_ashr_i32 s17, s2, 31
	global_load_b32 v3, v[3:4], off
	s_add_i32 s1, s7, s1
	s_mul_i32 s17, s17, s6
	s_mul_i32 s6, s2, s6
	s_add_i32 s7, s1, s17
	s_delay_alu instid0(SALU_CYCLE_1) | instskip(NEXT) | instid1(SALU_CYCLE_1)
	s_lshl_b64 s[6:7], s[6:7], 2
	s_add_u32 s1, s4, s6
	s_addc_u32 s2, s5, s7
	v_add_co_u32 v1, vcc_lo, s1, v1
	v_add_co_ci_u32_e32 v2, vcc_lo, s2, v2, vcc_lo
	s_waitcnt vmcnt(0)
	global_store_b32 v[1:2], v3, off
.LBB35_2:
	s_or_b32 exec_lo, exec_lo, s0
	s_delay_alu instid0(SALU_CYCLE_1)
	s_mov_b32 s0, exec_lo
	s_waitcnt lgkmcnt(0)
	v_cmpx_gt_i32_e64 s9, v0
	s_cbranch_execz .LBB35_5
; %bb.3:
	s_mul_i32 s16, s16, s12
	s_mul_i32 s0, s12, s12
	s_lshl_b32 s4, s16, 1
	s_mov_b32 s1, 0
	s_ashr_i32 s5, s4, 31
	s_delay_alu instid0(SALU_CYCLE_1) | instskip(NEXT) | instid1(SALU_CYCLE_1)
	s_lshl_b64 s[4:5], s[4:5], 2
	s_add_u32 s2, s10, s4
	s_addc_u32 s6, s11, s5
	s_lshl_b64 s[4:5], s[0:1], 2
	s_delay_alu instid0(SALU_CYCLE_1)
	s_add_u32 s2, s2, s4
	s_addc_u32 s4, s6, s5
	s_mul_i32 s5, s14, s12
	.p2align	6
.LBB35_4:                               ; =>This Inner Loop Header: Depth=1
	v_add_nc_u32_e32 v1, s13, v0
	s_delay_alu instid0(VALU_DEP_1) | instskip(NEXT) | instid1(VALU_DEP_1)
	v_ashrrev_i32_e32 v2, 31, v1
	v_lshlrev_b64 v[1:2], 2, v[1:2]
	s_delay_alu instid0(VALU_DEP_1) | instskip(NEXT) | instid1(VALU_DEP_2)
	v_add_co_u32 v1, vcc_lo, s3, v1
	v_add_co_ci_u32_e32 v2, vcc_lo, s8, v2, vcc_lo
	global_load_b32 v3, v[1:2], off
	v_add_nc_u32_e32 v1, s5, v0
	v_add_nc_u32_e32 v0, s15, v0
	s_delay_alu instid0(VALU_DEP_2) | instskip(NEXT) | instid1(VALU_DEP_2)
	v_ashrrev_i32_e32 v2, 31, v1
	v_cmp_le_i32_e32 vcc_lo, s9, v0
	s_delay_alu instid0(VALU_DEP_2) | instskip(SKIP_1) | instid1(VALU_DEP_1)
	v_lshlrev_b64 v[1:2], 2, v[1:2]
	s_or_b32 s1, vcc_lo, s1
	v_add_co_u32 v1, s0, s2, v1
	s_delay_alu instid0(VALU_DEP_1)
	v_add_co_ci_u32_e64 v2, s0, s4, v2, s0
	s_waitcnt vmcnt(0)
	global_store_b32 v[1:2], v3, off
	s_and_not1_b32 exec_lo, exec_lo, s1
	s_cbranch_execnz .LBB35_4
.LBB35_5:
	s_nop 0
	s_sendmsg sendmsg(MSG_DEALLOC_VGPRS)
	s_endpgm
	.section	.rodata,"a",@progbits
	.p2align	6, 0x0
	.amdhsa_kernel _ZN9rocsolver6v33100L30stedc_mergeValues_copyD_kernelIfEEviiPT_lS3_S3_Pi
		.amdhsa_group_segment_fixed_size 0
		.amdhsa_private_segment_fixed_size 0
		.amdhsa_kernarg_size 304
		.amdhsa_user_sgpr_count 14
		.amdhsa_user_sgpr_dispatch_ptr 0
		.amdhsa_user_sgpr_queue_ptr 0
		.amdhsa_user_sgpr_kernarg_segment_ptr 1
		.amdhsa_user_sgpr_dispatch_id 0
		.amdhsa_user_sgpr_private_segment_size 0
		.amdhsa_wavefront_size32 1
		.amdhsa_uses_dynamic_stack 0
		.amdhsa_enable_private_segment 0
		.amdhsa_system_sgpr_workgroup_id_x 1
		.amdhsa_system_sgpr_workgroup_id_y 1
		.amdhsa_system_sgpr_workgroup_id_z 0
		.amdhsa_system_sgpr_workgroup_info 0
		.amdhsa_system_vgpr_workitem_id 0
		.amdhsa_next_free_vgpr 5
		.amdhsa_next_free_sgpr 24
		.amdhsa_reserve_vcc 1
		.amdhsa_float_round_mode_32 0
		.amdhsa_float_round_mode_16_64 0
		.amdhsa_float_denorm_mode_32 3
		.amdhsa_float_denorm_mode_16_64 3
		.amdhsa_dx10_clamp 1
		.amdhsa_ieee_mode 1
		.amdhsa_fp16_overflow 0
		.amdhsa_workgroup_processor_mode 1
		.amdhsa_memory_ordered 1
		.amdhsa_forward_progress 0
		.amdhsa_shared_vgpr_count 0
		.amdhsa_exception_fp_ieee_invalid_op 0
		.amdhsa_exception_fp_denorm_src 0
		.amdhsa_exception_fp_ieee_div_zero 0
		.amdhsa_exception_fp_ieee_overflow 0
		.amdhsa_exception_fp_ieee_underflow 0
		.amdhsa_exception_fp_ieee_inexact 0
		.amdhsa_exception_int_div_zero 0
	.end_amdhsa_kernel
	.section	.text._ZN9rocsolver6v33100L30stedc_mergeValues_copyD_kernelIfEEviiPT_lS3_S3_Pi,"axG",@progbits,_ZN9rocsolver6v33100L30stedc_mergeValues_copyD_kernelIfEEviiPT_lS3_S3_Pi,comdat
.Lfunc_end35:
	.size	_ZN9rocsolver6v33100L30stedc_mergeValues_copyD_kernelIfEEviiPT_lS3_S3_Pi, .Lfunc_end35-_ZN9rocsolver6v33100L30stedc_mergeValues_copyD_kernelIfEEviiPT_lS3_S3_Pi
                                        ; -- End function
	.section	.AMDGPU.csdata,"",@progbits
; Kernel info:
; codeLenInByte = 564
; NumSgprs: 26
; NumVgprs: 5
; ScratchSize: 0
; MemoryBound: 0
; FloatMode: 240
; IeeeMode: 1
; LDSByteSize: 0 bytes/workgroup (compile time only)
; SGPRBlocks: 3
; VGPRBlocks: 0
; NumSGPRsForWavesPerEU: 26
; NumVGPRsForWavesPerEU: 5
; Occupancy: 16
; WaveLimiterHint : 1
; COMPUTE_PGM_RSRC2:SCRATCH_EN: 0
; COMPUTE_PGM_RSRC2:USER_SGPR: 14
; COMPUTE_PGM_RSRC2:TRAP_HANDLER: 0
; COMPUTE_PGM_RSRC2:TGID_X_EN: 1
; COMPUTE_PGM_RSRC2:TGID_Y_EN: 1
; COMPUTE_PGM_RSRC2:TGID_Z_EN: 0
; COMPUTE_PGM_RSRC2:TIDIG_COMP_CNT: 0
	.section	.text._ZN9rocsolver6v33100L11stedc_copyCIfPfS2_EEviT0_iilT1_iil,"axG",@progbits,_ZN9rocsolver6v33100L11stedc_copyCIfPfS2_EEviT0_iilT1_iil,comdat
	.globl	_ZN9rocsolver6v33100L11stedc_copyCIfPfS2_EEviT0_iilT1_iil ; -- Begin function _ZN9rocsolver6v33100L11stedc_copyCIfPfS2_EEviT0_iilT1_iil
	.p2align	8
	.type	_ZN9rocsolver6v33100L11stedc_copyCIfPfS2_EEviT0_iilT1_iil,@function
_ZN9rocsolver6v33100L11stedc_copyCIfPfS2_EEviT0_iilT1_iil: ; @_ZN9rocsolver6v33100L11stedc_copyCIfPfS2_EEviT0_iilT1_iil
; %bb.0:
	s_clause 0x1
	s_load_b32 s2, s[0:1], 0x44
	s_load_b32 s18, s[0:1], 0x0
	s_waitcnt lgkmcnt(0)
	s_and_b32 s16, s2, 0xffff
	s_add_i32 s4, s18, -1
	s_lshl_b32 s17, s16, 4
	s_abs_i32 s5, s4
	v_cvt_f32_u32_e32 v1, s17
	s_sub_i32 s3, 0, s17
	s_ashr_i32 s4, s4, 31
	s_delay_alu instid0(VALU_DEP_1) | instskip(SKIP_2) | instid1(VALU_DEP_1)
	v_rcp_iflag_f32_e32 v1, v1
	s_waitcnt_depctr 0xfff
	v_mul_f32_e32 v1, 0x4f7ffffe, v1
	v_cvt_u32_f32_e32 v1, v1
	s_delay_alu instid0(VALU_DEP_1) | instskip(NEXT) | instid1(VALU_DEP_1)
	v_readfirstlane_b32 s2, v1
	s_mul_i32 s3, s3, s2
	s_delay_alu instid0(SALU_CYCLE_1) | instskip(NEXT) | instid1(SALU_CYCLE_1)
	s_mul_hi_u32 s3, s2, s3
	s_add_i32 s2, s2, s3
	s_delay_alu instid0(SALU_CYCLE_1) | instskip(NEXT) | instid1(SALU_CYCLE_1)
	s_mul_hi_u32 s2, s5, s2
	s_mul_i32 s3, s2, s17
	s_delay_alu instid0(SALU_CYCLE_1)
	s_sub_i32 s3, s5, s3
	s_add_i32 s5, s2, 1
	s_sub_i32 s6, s3, s17
	s_cmp_ge_u32 s3, s17
	s_cselect_b32 s2, s5, s2
	s_cselect_b32 s3, s6, s3
	s_add_i32 s5, s2, 1
	s_cmp_ge_u32 s3, s17
	s_cselect_b32 s2, s5, s2
	s_delay_alu instid0(SALU_CYCLE_1) | instskip(NEXT) | instid1(SALU_CYCLE_1)
	s_xor_b32 s2, s2, s4
	s_sub_i32 s12, s2, s4
	s_delay_alu instid0(SALU_CYCLE_1)
	s_cmp_lt_i32 s12, 0
	s_cbranch_scc1 .LBB36_67
; %bb.1:
	s_clause 0x1
	s_load_b256 s[4:11], s[0:1], 0x8
	s_load_b128 s[0:3], s[0:1], 0x28
	s_ashr_i32 s13, s15, 31
	s_mul_i32 s19, s16, 3
	s_mul_i32 s20, s16, 5
	;; [unrolled: 1-line block ×10, first 2 shown]
                                        ; implicit-def: $vgpr2_vgpr3_vgpr4_vgpr5_vgpr6_vgpr7_vgpr8_vgpr9_vgpr10_vgpr11_vgpr12_vgpr13_vgpr14_vgpr15_vgpr16_vgpr17
	s_waitcnt lgkmcnt(0)
	s_ashr_i32 s25, s6, 31
	s_mov_b32 s24, s6
	s_mul_i32 s6, s15, s9
	s_mul_hi_u32 s9, s15, s8
	s_mul_i32 s26, s13, s8
	s_add_i32 s6, s9, s6
	s_mul_i32 s8, s15, s8
	s_add_i32 s9, s6, s26
	s_mul_i32 s3, s15, s3
	s_lshl_b64 s[8:9], s[8:9], 2
	s_mul_hi_u32 s6, s15, s2
	s_add_u32 s8, s4, s8
	s_addc_u32 s9, s5, s9
	s_lshl_b64 s[4:5], s[24:25], 2
	s_mul_i32 s13, s13, s2
	s_add_u32 s8, s8, s4
	s_addc_u32 s9, s9, s5
	s_add_i32 s3, s6, s3
	s_mul_i32 s2, s15, s2
	s_add_i32 s3, s3, s13
	s_mov_b32 s4, s0
	s_lshl_b64 s[2:3], s[2:3], 2
	s_ashr_i32 s5, s0, 31
	s_add_u32 s0, s10, s2
	s_addc_u32 s6, s11, s3
	s_lshl_b64 s[2:3], s[4:5], 2
	s_mul_i32 s4, s14, s7
	s_add_u32 s7, s0, s2
	s_addc_u32 s6, s6, s3
	s_ashr_i32 s5, s4, 31
	s_mul_i32 s0, s14, s1
	s_lshl_b64 s[2:3], s[4:5], 2
	s_mul_i32 s24, s16, 10
	s_add_u32 s25, s8, s2
	s_addc_u32 s26, s9, s3
	s_ashr_i32 s1, s0, 31
	s_delay_alu instid0(SALU_CYCLE_1) | instskip(NEXT) | instid1(SALU_CYCLE_1)
	s_lshl_b64 s[0:1], s[0:1], 2
	s_add_u32 s29, s7, s0
	s_addc_u32 s30, s6, s1
	s_add_i32 s31, s12, 1
	s_lshl_b32 s33, s16, 1
	s_lshl_b32 s34, s16, 2
	;; [unrolled: 1-line block ×3, first 2 shown]
	s_branch .LBB36_3
.LBB36_2:                               ;   in Loop: Header=BB36_3 Depth=1
	s_or_b32 exec_lo, exec_lo, s0
	v_add_nc_u32_e32 v0, s17, v0
	s_add_i32 s31, s31, -1
	s_delay_alu instid0(SALU_CYCLE_1)
	s_cmp_eq_u32 s31, 0
	s_cbranch_scc1 .LBB36_67
.LBB36_3:                               ; =>This Inner Loop Header: Depth=1
	s_delay_alu instid0(VALU_DEP_1)
	v_cmp_gt_i32_e32 vcc_lo, s18, v0
	v_ashrrev_i32_e32 v1, 31, v0
	s_and_saveexec_b32 s1, vcc_lo
	s_cbranch_execz .LBB36_5
; %bb.4:                                ;   in Loop: Header=BB36_3 Depth=1
	s_delay_alu instid0(VALU_DEP_1) | instskip(NEXT) | instid1(VALU_DEP_1)
	v_lshlrev_b64 v[18:19], 2, v[0:1]
	v_add_co_u32 v18, s0, s25, v18
	s_delay_alu instid0(VALU_DEP_1)
	v_add_co_ci_u32_e64 v19, s0, s26, v19, s0
	global_load_b32 v2, v[18:19], off
.LBB36_5:                               ;   in Loop: Header=BB36_3 Depth=1
	s_or_b32 exec_lo, exec_lo, s1
	v_add_nc_u32_e32 v18, s16, v0
	s_delay_alu instid0(VALU_DEP_1) | instskip(SKIP_1) | instid1(VALU_DEP_2)
	v_cmp_gt_i32_e64 s0, s18, v18
	v_ashrrev_i32_e32 v19, 31, v18
	s_and_saveexec_b32 s2, s0
	s_cbranch_execz .LBB36_7
; %bb.6:                                ;   in Loop: Header=BB36_3 Depth=1
	s_delay_alu instid0(VALU_DEP_1) | instskip(NEXT) | instid1(VALU_DEP_1)
	v_lshlrev_b64 v[20:21], 2, v[18:19]
	v_add_co_u32 v20, s1, s25, v20
	s_delay_alu instid0(VALU_DEP_1)
	v_add_co_ci_u32_e64 v21, s1, s26, v21, s1
	global_load_b32 v3, v[20:21], off
.LBB36_7:                               ;   in Loop: Header=BB36_3 Depth=1
	s_or_b32 exec_lo, exec_lo, s2
	v_add_nc_u32_e32 v22, s16, v18
	v_add_nc_u32_e32 v20, s33, v0
	s_delay_alu instid0(VALU_DEP_2) | instskip(NEXT) | instid1(VALU_DEP_2)
	v_cmp_gt_i32_e64 s1, s18, v22
	v_ashrrev_i32_e32 v21, 31, v20
	s_delay_alu instid0(VALU_DEP_2)
	s_and_saveexec_b32 s3, s1
	s_cbranch_execz .LBB36_9
; %bb.8:                                ;   in Loop: Header=BB36_3 Depth=1
	s_delay_alu instid0(VALU_DEP_1) | instskip(NEXT) | instid1(VALU_DEP_1)
	v_lshlrev_b64 v[23:24], 2, v[20:21]
	v_add_co_u32 v23, s2, s25, v23
	s_delay_alu instid0(VALU_DEP_1)
	v_add_co_ci_u32_e64 v24, s2, s26, v24, s2
	global_load_b32 v4, v[23:24], off
.LBB36_9:                               ;   in Loop: Header=BB36_3 Depth=1
	s_or_b32 exec_lo, exec_lo, s3
	v_add_nc_u32_e32 v24, s16, v22
	v_add_nc_u32_e32 v22, s19, v0
	s_delay_alu instid0(VALU_DEP_2) | instskip(NEXT) | instid1(VALU_DEP_2)
	v_cmp_gt_i32_e64 s2, s18, v24
	v_ashrrev_i32_e32 v23, 31, v22
	s_delay_alu instid0(VALU_DEP_2)
	s_and_saveexec_b32 s4, s2
	s_cbranch_execz .LBB36_11
; %bb.10:                               ;   in Loop: Header=BB36_3 Depth=1
	s_delay_alu instid0(VALU_DEP_1) | instskip(NEXT) | instid1(VALU_DEP_1)
	v_lshlrev_b64 v[25:26], 2, v[22:23]
	v_add_co_u32 v25, s3, s25, v25
	s_delay_alu instid0(VALU_DEP_1)
	v_add_co_ci_u32_e64 v26, s3, s26, v26, s3
	global_load_b32 v5, v[25:26], off
.LBB36_11:                              ;   in Loop: Header=BB36_3 Depth=1
	s_or_b32 exec_lo, exec_lo, s4
	v_add_nc_u32_e32 v26, s16, v24
	v_add_nc_u32_e32 v24, s34, v0
	s_delay_alu instid0(VALU_DEP_2) | instskip(NEXT) | instid1(VALU_DEP_2)
	v_cmp_gt_i32_e64 s3, s18, v26
	v_ashrrev_i32_e32 v25, 31, v24
	s_delay_alu instid0(VALU_DEP_2)
	s_and_saveexec_b32 s5, s3
	s_cbranch_execz .LBB36_13
; %bb.12:                               ;   in Loop: Header=BB36_3 Depth=1
	s_delay_alu instid0(VALU_DEP_1) | instskip(NEXT) | instid1(VALU_DEP_1)
	v_lshlrev_b64 v[27:28], 2, v[24:25]
	v_add_co_u32 v27, s4, s25, v27
	s_delay_alu instid0(VALU_DEP_1)
	v_add_co_ci_u32_e64 v28, s4, s26, v28, s4
	global_load_b32 v6, v[27:28], off
.LBB36_13:                              ;   in Loop: Header=BB36_3 Depth=1
	;; [unrolled: 17-line block ×12, first 2 shown]
	s_or_b32 exec_lo, exec_lo, s15
	v_add_nc_u32_e32 v47, s16, v46
	v_add_nc_u32_e32 v46, s38, v0
	s_delay_alu instid0(VALU_DEP_2) | instskip(NEXT) | instid1(VALU_DEP_2)
	v_cmp_gt_i32_e64 s14, s18, v47
	v_ashrrev_i32_e32 v47, 31, v46
	s_delay_alu instid0(VALU_DEP_2)
	s_and_saveexec_b32 s39, s14
	s_cbranch_execnz .LBB36_50
; %bb.34:                               ;   in Loop: Header=BB36_3 Depth=1
	s_or_b32 exec_lo, exec_lo, s39
	s_and_saveexec_b32 s15, vcc_lo
	s_cbranch_execnz .LBB36_51
.LBB36_35:                              ;   in Loop: Header=BB36_3 Depth=1
	s_or_b32 exec_lo, exec_lo, s15
	s_and_saveexec_b32 s15, s0
	s_cbranch_execnz .LBB36_52
.LBB36_36:                              ;   in Loop: Header=BB36_3 Depth=1
	s_or_b32 exec_lo, exec_lo, s15
	s_and_saveexec_b32 s0, s1
	s_cbranch_execnz .LBB36_53
.LBB36_37:                              ;   in Loop: Header=BB36_3 Depth=1
	s_or_b32 exec_lo, exec_lo, s0
	s_and_saveexec_b32 s0, s2
	s_cbranch_execnz .LBB36_54
.LBB36_38:                              ;   in Loop: Header=BB36_3 Depth=1
	s_or_b32 exec_lo, exec_lo, s0
	s_and_saveexec_b32 s0, s3
	s_cbranch_execnz .LBB36_55
.LBB36_39:                              ;   in Loop: Header=BB36_3 Depth=1
	s_or_b32 exec_lo, exec_lo, s0
	s_and_saveexec_b32 s0, s4
	s_cbranch_execnz .LBB36_56
.LBB36_40:                              ;   in Loop: Header=BB36_3 Depth=1
	s_or_b32 exec_lo, exec_lo, s0
	s_and_saveexec_b32 s0, s5
	s_cbranch_execnz .LBB36_57
.LBB36_41:                              ;   in Loop: Header=BB36_3 Depth=1
	s_or_b32 exec_lo, exec_lo, s0
	s_and_saveexec_b32 s0, s6
	s_cbranch_execnz .LBB36_58
.LBB36_42:                              ;   in Loop: Header=BB36_3 Depth=1
	s_or_b32 exec_lo, exec_lo, s0
	s_and_saveexec_b32 s0, s7
	s_cbranch_execnz .LBB36_59
.LBB36_43:                              ;   in Loop: Header=BB36_3 Depth=1
	s_or_b32 exec_lo, exec_lo, s0
	s_and_saveexec_b32 s0, s8
	s_cbranch_execnz .LBB36_60
.LBB36_44:                              ;   in Loop: Header=BB36_3 Depth=1
	s_or_b32 exec_lo, exec_lo, s0
	s_and_saveexec_b32 s0, s9
	s_cbranch_execnz .LBB36_61
.LBB36_45:                              ;   in Loop: Header=BB36_3 Depth=1
	s_or_b32 exec_lo, exec_lo, s0
	s_and_saveexec_b32 s0, s10
	s_cbranch_execnz .LBB36_62
.LBB36_46:                              ;   in Loop: Header=BB36_3 Depth=1
	s_or_b32 exec_lo, exec_lo, s0
	s_and_saveexec_b32 s0, s11
	s_cbranch_execnz .LBB36_63
.LBB36_47:                              ;   in Loop: Header=BB36_3 Depth=1
	s_or_b32 exec_lo, exec_lo, s0
	s_and_saveexec_b32 s0, s12
	s_cbranch_execnz .LBB36_64
.LBB36_48:                              ;   in Loop: Header=BB36_3 Depth=1
	s_or_b32 exec_lo, exec_lo, s0
	s_and_saveexec_b32 s0, s13
	s_cbranch_execnz .LBB36_65
.LBB36_49:                              ;   in Loop: Header=BB36_3 Depth=1
	s_or_b32 exec_lo, exec_lo, s0
	s_and_saveexec_b32 s0, s14
	s_cbranch_execz .LBB36_2
	s_branch .LBB36_66
.LBB36_50:                              ;   in Loop: Header=BB36_3 Depth=1
	s_delay_alu instid0(VALU_DEP_1) | instskip(NEXT) | instid1(VALU_DEP_1)
	v_lshlrev_b64 v[48:49], 2, v[46:47]
	v_add_co_u32 v48, s15, s25, v48
	s_delay_alu instid0(VALU_DEP_1)
	v_add_co_ci_u32_e64 v49, s15, s26, v49, s15
	global_load_b32 v17, v[48:49], off
	s_or_b32 exec_lo, exec_lo, s39
	s_and_saveexec_b32 s15, vcc_lo
	s_cbranch_execz .LBB36_35
.LBB36_51:                              ;   in Loop: Header=BB36_3 Depth=1
	v_lshlrev_b64 v[48:49], 2, v[0:1]
	s_delay_alu instid0(VALU_DEP_1) | instskip(NEXT) | instid1(VALU_DEP_2)
	v_add_co_u32 v48, vcc_lo, s29, v48
	v_add_co_ci_u32_e32 v49, vcc_lo, s30, v49, vcc_lo
	s_waitcnt vmcnt(0)
	global_store_b32 v[48:49], v2, off
	s_or_b32 exec_lo, exec_lo, s15
	s_and_saveexec_b32 s15, s0
	s_cbranch_execz .LBB36_36
.LBB36_52:                              ;   in Loop: Header=BB36_3 Depth=1
	v_lshlrev_b64 v[18:19], 2, v[18:19]
	s_delay_alu instid0(VALU_DEP_1) | instskip(NEXT) | instid1(VALU_DEP_2)
	v_add_co_u32 v18, vcc_lo, s29, v18
	v_add_co_ci_u32_e32 v19, vcc_lo, s30, v19, vcc_lo
	s_waitcnt vmcnt(0)
	global_store_b32 v[18:19], v3, off
	s_or_b32 exec_lo, exec_lo, s15
	s_and_saveexec_b32 s0, s1
	s_cbranch_execz .LBB36_37
.LBB36_53:                              ;   in Loop: Header=BB36_3 Depth=1
	v_lshlrev_b64 v[18:19], 2, v[20:21]
	s_delay_alu instid0(VALU_DEP_1) | instskip(NEXT) | instid1(VALU_DEP_2)
	v_add_co_u32 v18, vcc_lo, s29, v18
	v_add_co_ci_u32_e32 v19, vcc_lo, s30, v19, vcc_lo
	s_waitcnt vmcnt(0)
	global_store_b32 v[18:19], v4, off
	s_or_b32 exec_lo, exec_lo, s0
	s_and_saveexec_b32 s0, s2
	s_cbranch_execz .LBB36_38
.LBB36_54:                              ;   in Loop: Header=BB36_3 Depth=1
	v_lshlrev_b64 v[18:19], 2, v[22:23]
	s_delay_alu instid0(VALU_DEP_1) | instskip(NEXT) | instid1(VALU_DEP_2)
	v_add_co_u32 v18, vcc_lo, s29, v18
	v_add_co_ci_u32_e32 v19, vcc_lo, s30, v19, vcc_lo
	s_waitcnt vmcnt(0)
	global_store_b32 v[18:19], v5, off
	s_or_b32 exec_lo, exec_lo, s0
	s_and_saveexec_b32 s0, s3
	s_cbranch_execz .LBB36_39
.LBB36_55:                              ;   in Loop: Header=BB36_3 Depth=1
	v_lshlrev_b64 v[18:19], 2, v[24:25]
	s_delay_alu instid0(VALU_DEP_1) | instskip(NEXT) | instid1(VALU_DEP_2)
	v_add_co_u32 v18, vcc_lo, s29, v18
	v_add_co_ci_u32_e32 v19, vcc_lo, s30, v19, vcc_lo
	s_waitcnt vmcnt(0)
	global_store_b32 v[18:19], v6, off
	s_or_b32 exec_lo, exec_lo, s0
	s_and_saveexec_b32 s0, s4
	s_cbranch_execz .LBB36_40
.LBB36_56:                              ;   in Loop: Header=BB36_3 Depth=1
	v_lshlrev_b64 v[18:19], 2, v[26:27]
	s_delay_alu instid0(VALU_DEP_1) | instskip(NEXT) | instid1(VALU_DEP_2)
	v_add_co_u32 v18, vcc_lo, s29, v18
	v_add_co_ci_u32_e32 v19, vcc_lo, s30, v19, vcc_lo
	s_waitcnt vmcnt(0)
	global_store_b32 v[18:19], v7, off
	s_or_b32 exec_lo, exec_lo, s0
	s_and_saveexec_b32 s0, s5
	s_cbranch_execz .LBB36_41
.LBB36_57:                              ;   in Loop: Header=BB36_3 Depth=1
	v_lshlrev_b64 v[18:19], 2, v[28:29]
	s_delay_alu instid0(VALU_DEP_1) | instskip(NEXT) | instid1(VALU_DEP_2)
	v_add_co_u32 v18, vcc_lo, s29, v18
	v_add_co_ci_u32_e32 v19, vcc_lo, s30, v19, vcc_lo
	s_waitcnt vmcnt(0)
	global_store_b32 v[18:19], v8, off
	s_or_b32 exec_lo, exec_lo, s0
	s_and_saveexec_b32 s0, s6
	s_cbranch_execz .LBB36_42
.LBB36_58:                              ;   in Loop: Header=BB36_3 Depth=1
	v_lshlrev_b64 v[18:19], 2, v[30:31]
	s_delay_alu instid0(VALU_DEP_1) | instskip(NEXT) | instid1(VALU_DEP_2)
	v_add_co_u32 v18, vcc_lo, s29, v18
	v_add_co_ci_u32_e32 v19, vcc_lo, s30, v19, vcc_lo
	s_waitcnt vmcnt(0)
	global_store_b32 v[18:19], v9, off
	s_or_b32 exec_lo, exec_lo, s0
	s_and_saveexec_b32 s0, s7
	s_cbranch_execz .LBB36_43
.LBB36_59:                              ;   in Loop: Header=BB36_3 Depth=1
	v_lshlrev_b64 v[18:19], 2, v[32:33]
	s_delay_alu instid0(VALU_DEP_1) | instskip(NEXT) | instid1(VALU_DEP_2)
	v_add_co_u32 v18, vcc_lo, s29, v18
	v_add_co_ci_u32_e32 v19, vcc_lo, s30, v19, vcc_lo
	s_waitcnt vmcnt(0)
	global_store_b32 v[18:19], v10, off
	s_or_b32 exec_lo, exec_lo, s0
	s_and_saveexec_b32 s0, s8
	s_cbranch_execz .LBB36_44
.LBB36_60:                              ;   in Loop: Header=BB36_3 Depth=1
	v_lshlrev_b64 v[18:19], 2, v[34:35]
	s_delay_alu instid0(VALU_DEP_1) | instskip(NEXT) | instid1(VALU_DEP_2)
	v_add_co_u32 v18, vcc_lo, s29, v18
	v_add_co_ci_u32_e32 v19, vcc_lo, s30, v19, vcc_lo
	s_waitcnt vmcnt(0)
	global_store_b32 v[18:19], v11, off
	s_or_b32 exec_lo, exec_lo, s0
	s_and_saveexec_b32 s0, s9
	s_cbranch_execz .LBB36_45
.LBB36_61:                              ;   in Loop: Header=BB36_3 Depth=1
	v_lshlrev_b64 v[18:19], 2, v[36:37]
	s_delay_alu instid0(VALU_DEP_1) | instskip(NEXT) | instid1(VALU_DEP_2)
	v_add_co_u32 v18, vcc_lo, s29, v18
	v_add_co_ci_u32_e32 v19, vcc_lo, s30, v19, vcc_lo
	s_waitcnt vmcnt(0)
	global_store_b32 v[18:19], v12, off
	s_or_b32 exec_lo, exec_lo, s0
	s_and_saveexec_b32 s0, s10
	s_cbranch_execz .LBB36_46
.LBB36_62:                              ;   in Loop: Header=BB36_3 Depth=1
	v_lshlrev_b64 v[18:19], 2, v[38:39]
	s_delay_alu instid0(VALU_DEP_1) | instskip(NEXT) | instid1(VALU_DEP_2)
	v_add_co_u32 v18, vcc_lo, s29, v18
	v_add_co_ci_u32_e32 v19, vcc_lo, s30, v19, vcc_lo
	s_waitcnt vmcnt(0)
	global_store_b32 v[18:19], v13, off
	s_or_b32 exec_lo, exec_lo, s0
	s_and_saveexec_b32 s0, s11
	s_cbranch_execz .LBB36_47
.LBB36_63:                              ;   in Loop: Header=BB36_3 Depth=1
	v_lshlrev_b64 v[18:19], 2, v[40:41]
	s_delay_alu instid0(VALU_DEP_1) | instskip(NEXT) | instid1(VALU_DEP_2)
	v_add_co_u32 v18, vcc_lo, s29, v18
	v_add_co_ci_u32_e32 v19, vcc_lo, s30, v19, vcc_lo
	s_waitcnt vmcnt(0)
	global_store_b32 v[18:19], v14, off
	s_or_b32 exec_lo, exec_lo, s0
	s_and_saveexec_b32 s0, s12
	s_cbranch_execz .LBB36_48
.LBB36_64:                              ;   in Loop: Header=BB36_3 Depth=1
	v_lshlrev_b64 v[18:19], 2, v[42:43]
	s_delay_alu instid0(VALU_DEP_1) | instskip(NEXT) | instid1(VALU_DEP_2)
	v_add_co_u32 v18, vcc_lo, s29, v18
	v_add_co_ci_u32_e32 v19, vcc_lo, s30, v19, vcc_lo
	s_waitcnt vmcnt(0)
	global_store_b32 v[18:19], v15, off
	s_or_b32 exec_lo, exec_lo, s0
	s_and_saveexec_b32 s0, s13
	s_cbranch_execz .LBB36_49
.LBB36_65:                              ;   in Loop: Header=BB36_3 Depth=1
	v_lshlrev_b64 v[18:19], 2, v[44:45]
	s_delay_alu instid0(VALU_DEP_1) | instskip(NEXT) | instid1(VALU_DEP_2)
	v_add_co_u32 v18, vcc_lo, s29, v18
	v_add_co_ci_u32_e32 v19, vcc_lo, s30, v19, vcc_lo
	s_waitcnt vmcnt(0)
	global_store_b32 v[18:19], v16, off
	s_or_b32 exec_lo, exec_lo, s0
	s_and_saveexec_b32 s0, s14
	s_cbranch_execz .LBB36_2
.LBB36_66:                              ;   in Loop: Header=BB36_3 Depth=1
	v_lshlrev_b64 v[18:19], 2, v[46:47]
	s_delay_alu instid0(VALU_DEP_1) | instskip(NEXT) | instid1(VALU_DEP_2)
	v_add_co_u32 v18, vcc_lo, s29, v18
	v_add_co_ci_u32_e32 v19, vcc_lo, s30, v19, vcc_lo
	s_waitcnt vmcnt(0)
	global_store_b32 v[18:19], v17, off
	s_branch .LBB36_2
.LBB36_67:
	s_nop 0
	s_sendmsg sendmsg(MSG_DEALLOC_VGPRS)
	s_endpgm
	.section	.rodata,"a",@progbits
	.p2align	6, 0x0
	.amdhsa_kernel _ZN9rocsolver6v33100L11stedc_copyCIfPfS2_EEviT0_iilT1_iil
		.amdhsa_group_segment_fixed_size 0
		.amdhsa_private_segment_fixed_size 0
		.amdhsa_kernarg_size 312
		.amdhsa_user_sgpr_count 14
		.amdhsa_user_sgpr_dispatch_ptr 0
		.amdhsa_user_sgpr_queue_ptr 0
		.amdhsa_user_sgpr_kernarg_segment_ptr 1
		.amdhsa_user_sgpr_dispatch_id 0
		.amdhsa_user_sgpr_private_segment_size 0
		.amdhsa_wavefront_size32 1
		.amdhsa_uses_dynamic_stack 0
		.amdhsa_enable_private_segment 0
		.amdhsa_system_sgpr_workgroup_id_x 1
		.amdhsa_system_sgpr_workgroup_id_y 1
		.amdhsa_system_sgpr_workgroup_id_z 0
		.amdhsa_system_sgpr_workgroup_info 0
		.amdhsa_system_vgpr_workitem_id 0
		.amdhsa_next_free_vgpr 50
		.amdhsa_next_free_sgpr 40
		.amdhsa_reserve_vcc 1
		.amdhsa_float_round_mode_32 0
		.amdhsa_float_round_mode_16_64 0
		.amdhsa_float_denorm_mode_32 3
		.amdhsa_float_denorm_mode_16_64 3
		.amdhsa_dx10_clamp 1
		.amdhsa_ieee_mode 1
		.amdhsa_fp16_overflow 0
		.amdhsa_workgroup_processor_mode 1
		.amdhsa_memory_ordered 1
		.amdhsa_forward_progress 0
		.amdhsa_shared_vgpr_count 0
		.amdhsa_exception_fp_ieee_invalid_op 0
		.amdhsa_exception_fp_denorm_src 0
		.amdhsa_exception_fp_ieee_div_zero 0
		.amdhsa_exception_fp_ieee_overflow 0
		.amdhsa_exception_fp_ieee_underflow 0
		.amdhsa_exception_fp_ieee_inexact 0
		.amdhsa_exception_int_div_zero 0
	.end_amdhsa_kernel
	.section	.text._ZN9rocsolver6v33100L11stedc_copyCIfPfS2_EEviT0_iilT1_iil,"axG",@progbits,_ZN9rocsolver6v33100L11stedc_copyCIfPfS2_EEviT0_iilT1_iil,comdat
.Lfunc_end36:
	.size	_ZN9rocsolver6v33100L11stedc_copyCIfPfS2_EEviT0_iilT1_iil, .Lfunc_end36-_ZN9rocsolver6v33100L11stedc_copyCIfPfS2_EEviT0_iilT1_iil
                                        ; -- End function
	.section	.AMDGPU.csdata,"",@progbits
; Kernel info:
; codeLenInByte = 2684
; NumSgprs: 42
; NumVgprs: 50
; ScratchSize: 0
; MemoryBound: 0
; FloatMode: 240
; IeeeMode: 1
; LDSByteSize: 0 bytes/workgroup (compile time only)
; SGPRBlocks: 5
; VGPRBlocks: 6
; NumSGPRsForWavesPerEU: 42
; NumVGPRsForWavesPerEU: 50
; Occupancy: 16
; WaveLimiterHint : 0
; COMPUTE_PGM_RSRC2:SCRATCH_EN: 0
; COMPUTE_PGM_RSRC2:USER_SGPR: 14
; COMPUTE_PGM_RSRC2:TRAP_HANDLER: 0
; COMPUTE_PGM_RSRC2:TGID_X_EN: 1
; COMPUTE_PGM_RSRC2:TGID_Y_EN: 1
; COMPUTE_PGM_RSRC2:TGID_Z_EN: 0
; COMPUTE_PGM_RSRC2:TIDIG_COMP_CNT: 0
	.section	.text._ZN9rocsolver6v33100L16stedc_reshuffleCIfPfS2_EEviT0_iilT1_iilPi,"axG",@progbits,_ZN9rocsolver6v33100L16stedc_reshuffleCIfPfS2_EEviT0_iilT1_iilPi,comdat
	.globl	_ZN9rocsolver6v33100L16stedc_reshuffleCIfPfS2_EEviT0_iilT1_iilPi ; -- Begin function _ZN9rocsolver6v33100L16stedc_reshuffleCIfPfS2_EEviT0_iilT1_iilPi
	.p2align	8
	.type	_ZN9rocsolver6v33100L16stedc_reshuffleCIfPfS2_EEviT0_iilT1_iilPi,@function
_ZN9rocsolver6v33100L16stedc_reshuffleCIfPfS2_EEviT0_iilT1_iilPi: ; @_ZN9rocsolver6v33100L16stedc_reshuffleCIfPfS2_EEviT0_iilT1_iilPi
; %bb.0:
	s_clause 0x1
	s_load_b32 s2, s[0:1], 0x4c
	s_load_b32 s22, s[0:1], 0x0
	s_waitcnt lgkmcnt(0)
	s_and_b32 s20, s2, 0xffff
	s_add_i32 s4, s22, -1
	s_lshl_b32 s21, s20, 4
	s_abs_i32 s5, s4
	v_cvt_f32_u32_e32 v1, s21
	s_sub_i32 s3, 0, s21
	s_ashr_i32 s4, s4, 31
	s_delay_alu instid0(VALU_DEP_1) | instskip(SKIP_2) | instid1(VALU_DEP_1)
	v_rcp_iflag_f32_e32 v1, v1
	s_waitcnt_depctr 0xfff
	v_mul_f32_e32 v1, 0x4f7ffffe, v1
	v_cvt_u32_f32_e32 v1, v1
	s_delay_alu instid0(VALU_DEP_1) | instskip(NEXT) | instid1(VALU_DEP_1)
	v_readfirstlane_b32 s2, v1
	s_mul_i32 s3, s3, s2
	s_delay_alu instid0(SALU_CYCLE_1) | instskip(NEXT) | instid1(SALU_CYCLE_1)
	s_mul_hi_u32 s3, s2, s3
	s_add_i32 s2, s2, s3
	s_delay_alu instid0(SALU_CYCLE_1) | instskip(NEXT) | instid1(SALU_CYCLE_1)
	s_mul_hi_u32 s2, s5, s2
	s_mul_i32 s3, s2, s21
	s_delay_alu instid0(SALU_CYCLE_1)
	s_sub_i32 s3, s5, s3
	s_add_i32 s5, s2, 1
	s_sub_i32 s6, s3, s21
	s_cmp_ge_u32 s3, s21
	s_cselect_b32 s2, s5, s2
	s_cselect_b32 s3, s6, s3
	s_add_i32 s5, s2, 1
	s_cmp_ge_u32 s3, s21
	s_cselect_b32 s2, s5, s2
	s_delay_alu instid0(SALU_CYCLE_1) | instskip(NEXT) | instid1(SALU_CYCLE_1)
	s_xor_b32 s2, s2, s4
	s_sub_i32 s2, s2, s4
	s_delay_alu instid0(SALU_CYCLE_1)
	s_cmp_lt_i32 s2, 0
	s_cbranch_scc1 .LBB37_67
; %bb.1:
	s_clause 0x1
	s_load_b128 s[16:19], s[0:1], 0x30
	s_load_b256 s[4:11], s[0:1], 0x8
	s_mul_i32 s3, s15, s22
	s_mul_i32 s24, s22, 10
	;; [unrolled: 1-line block ×3, first 2 shown]
	s_mov_b32 s26, s15
	s_ashr_i32 s13, s12, 31
	s_load_b64 s[0:1], s[0:1], 0x28
	s_lshl_b64 s[12:13], s[12:13], 2
	s_mul_i32 s31, s20, 9
	s_mul_i32 s33, s20, 10
	;; [unrolled: 1-line block ×7, first 2 shown]
                                        ; implicit-def: $vgpr2_vgpr3_vgpr4_vgpr5_vgpr6_vgpr7_vgpr8_vgpr9_vgpr10_vgpr11_vgpr12_vgpr13_vgpr14_vgpr15_vgpr16_vgpr17
	s_waitcnt lgkmcnt(0)
	s_add_u32 s3, s18, s12
	s_addc_u32 s13, s19, s13
	s_ashr_i32 s25, s24, 31
	s_mul_i32 s9, s15, s9
	s_lshl_b64 s[18:19], s[24:25], 2
	s_mul_hi_u32 s23, s15, s8
	s_add_u32 s3, s3, s18
	s_addc_u32 s13, s13, s19
	s_ashr_i32 s15, s14, 31
	s_mul_i32 s18, s26, s8
	s_lshl_b64 s[24:25], s[14:15], 2
	s_mov_b32 s12, s6
	s_add_u32 s24, s3, s24
	s_addc_u32 s25, s13, s25
	s_ashr_i32 s3, s26, 31
	s_add_i32 s9, s23, s9
	s_load_b32 s23, s[24:25], 0x0
	s_mul_i32 s8, s3, s8
	s_ashr_i32 s13, s6, 31
	s_add_i32 s19, s9, s8
	s_mul_i32 s15, s26, s17
	s_lshl_b64 s[8:9], s[18:19], 2
	s_mul_hi_u32 s17, s26, s16
	s_add_u32 s6, s4, s8
	s_addc_u32 s8, s5, s9
	s_lshl_b64 s[4:5], s[12:13], 2
	s_mul_i32 s3, s3, s16
	s_add_u32 s6, s6, s4
	s_addc_u32 s12, s8, s5
	s_add_i32 s5, s17, s15
	s_mul_i32 s4, s26, s16
	s_add_i32 s5, s5, s3
	s_mov_b32 s8, s0
	s_lshl_b64 s[4:5], s[4:5], 2
	s_ashr_i32 s9, s0, 31
	s_add_u32 s0, s10, s4
	s_addc_u32 s3, s11, s5
	s_lshl_b64 s[4:5], s[8:9], 2
	s_mul_i32 s16, s20, 3
	s_add_u32 s8, s0, s4
	s_waitcnt lgkmcnt(0)
	s_mul_i32 s4, s23, s7
	s_addc_u32 s3, s3, s5
	s_ashr_i32 s5, s4, 31
	s_mul_i32 s0, s14, s1
	s_lshl_b64 s[4:5], s[4:5], 2
	s_mul_i32 s17, s20, 5
	s_add_u32 s18, s6, s4
	s_addc_u32 s19, s12, s5
	s_ashr_i32 s1, s0, 31
	s_mul_i32 s23, s20, 6
	s_lshl_b64 s[0:1], s[0:1], 2
	s_mul_i32 s24, s20, 7
	s_add_u32 s25, s8, s0
	s_addc_u32 s26, s3, s1
	s_add_i32 s27, s2, 1
	s_lshl_b32 s28, s20, 1
	s_lshl_b32 s29, s20, 2
	;; [unrolled: 1-line block ×3, first 2 shown]
	s_branch .LBB37_3
.LBB37_2:                               ;   in Loop: Header=BB37_3 Depth=1
	s_or_b32 exec_lo, exec_lo, s0
	v_add_nc_u32_e32 v0, s21, v0
	s_add_i32 s27, s27, -1
	s_delay_alu instid0(SALU_CYCLE_1)
	s_cmp_eq_u32 s27, 0
	s_cbranch_scc1 .LBB37_67
.LBB37_3:                               ; =>This Inner Loop Header: Depth=1
	s_delay_alu instid0(VALU_DEP_1)
	v_cmp_gt_i32_e32 vcc_lo, s22, v0
	v_ashrrev_i32_e32 v1, 31, v0
	s_and_saveexec_b32 s1, vcc_lo
	s_cbranch_execz .LBB37_5
; %bb.4:                                ;   in Loop: Header=BB37_3 Depth=1
	s_delay_alu instid0(VALU_DEP_1) | instskip(NEXT) | instid1(VALU_DEP_1)
	v_lshlrev_b64 v[18:19], 2, v[0:1]
	v_add_co_u32 v18, s0, s18, v18
	s_delay_alu instid0(VALU_DEP_1)
	v_add_co_ci_u32_e64 v19, s0, s19, v19, s0
	global_load_b32 v2, v[18:19], off
.LBB37_5:                               ;   in Loop: Header=BB37_3 Depth=1
	s_or_b32 exec_lo, exec_lo, s1
	v_add_nc_u32_e32 v18, s20, v0
	s_delay_alu instid0(VALU_DEP_1) | instskip(SKIP_1) | instid1(VALU_DEP_2)
	v_cmp_gt_i32_e64 s0, s22, v18
	v_ashrrev_i32_e32 v19, 31, v18
	s_and_saveexec_b32 s2, s0
	s_cbranch_execz .LBB37_7
; %bb.6:                                ;   in Loop: Header=BB37_3 Depth=1
	s_delay_alu instid0(VALU_DEP_1) | instskip(NEXT) | instid1(VALU_DEP_1)
	v_lshlrev_b64 v[20:21], 2, v[18:19]
	v_add_co_u32 v20, s1, s18, v20
	s_delay_alu instid0(VALU_DEP_1)
	v_add_co_ci_u32_e64 v21, s1, s19, v21, s1
	global_load_b32 v3, v[20:21], off
.LBB37_7:                               ;   in Loop: Header=BB37_3 Depth=1
	s_or_b32 exec_lo, exec_lo, s2
	v_add_nc_u32_e32 v22, s20, v18
	v_add_nc_u32_e32 v20, s28, v0
	s_delay_alu instid0(VALU_DEP_2) | instskip(NEXT) | instid1(VALU_DEP_2)
	v_cmp_gt_i32_e64 s1, s22, v22
	v_ashrrev_i32_e32 v21, 31, v20
	s_delay_alu instid0(VALU_DEP_2)
	s_and_saveexec_b32 s3, s1
	s_cbranch_execz .LBB37_9
; %bb.8:                                ;   in Loop: Header=BB37_3 Depth=1
	s_delay_alu instid0(VALU_DEP_1) | instskip(NEXT) | instid1(VALU_DEP_1)
	v_lshlrev_b64 v[23:24], 2, v[20:21]
	v_add_co_u32 v23, s2, s18, v23
	s_delay_alu instid0(VALU_DEP_1)
	v_add_co_ci_u32_e64 v24, s2, s19, v24, s2
	global_load_b32 v4, v[23:24], off
.LBB37_9:                               ;   in Loop: Header=BB37_3 Depth=1
	s_or_b32 exec_lo, exec_lo, s3
	v_add_nc_u32_e32 v24, s20, v22
	v_add_nc_u32_e32 v22, s16, v0
	s_delay_alu instid0(VALU_DEP_2) | instskip(NEXT) | instid1(VALU_DEP_2)
	v_cmp_gt_i32_e64 s2, s22, v24
	v_ashrrev_i32_e32 v23, 31, v22
	s_delay_alu instid0(VALU_DEP_2)
	s_and_saveexec_b32 s4, s2
	s_cbranch_execz .LBB37_11
; %bb.10:                               ;   in Loop: Header=BB37_3 Depth=1
	s_delay_alu instid0(VALU_DEP_1) | instskip(NEXT) | instid1(VALU_DEP_1)
	v_lshlrev_b64 v[25:26], 2, v[22:23]
	v_add_co_u32 v25, s3, s18, v25
	s_delay_alu instid0(VALU_DEP_1)
	v_add_co_ci_u32_e64 v26, s3, s19, v26, s3
	global_load_b32 v5, v[25:26], off
.LBB37_11:                              ;   in Loop: Header=BB37_3 Depth=1
	s_or_b32 exec_lo, exec_lo, s4
	v_add_nc_u32_e32 v26, s20, v24
	v_add_nc_u32_e32 v24, s29, v0
	s_delay_alu instid0(VALU_DEP_2) | instskip(NEXT) | instid1(VALU_DEP_2)
	v_cmp_gt_i32_e64 s3, s22, v26
	v_ashrrev_i32_e32 v25, 31, v24
	s_delay_alu instid0(VALU_DEP_2)
	s_and_saveexec_b32 s5, s3
	s_cbranch_execz .LBB37_13
; %bb.12:                               ;   in Loop: Header=BB37_3 Depth=1
	s_delay_alu instid0(VALU_DEP_1) | instskip(NEXT) | instid1(VALU_DEP_1)
	v_lshlrev_b64 v[27:28], 2, v[24:25]
	v_add_co_u32 v27, s4, s18, v27
	s_delay_alu instid0(VALU_DEP_1)
	v_add_co_ci_u32_e64 v28, s4, s19, v28, s4
	global_load_b32 v6, v[27:28], off
.LBB37_13:                              ;   in Loop: Header=BB37_3 Depth=1
	;; [unrolled: 17-line block ×12, first 2 shown]
	s_or_b32 exec_lo, exec_lo, s15
	v_add_nc_u32_e32 v47, s20, v46
	v_add_nc_u32_e32 v46, s38, v0
	s_delay_alu instid0(VALU_DEP_2) | instskip(NEXT) | instid1(VALU_DEP_2)
	v_cmp_gt_i32_e64 s14, s22, v47
	v_ashrrev_i32_e32 v47, 31, v46
	s_delay_alu instid0(VALU_DEP_2)
	s_and_saveexec_b32 s39, s14
	s_cbranch_execnz .LBB37_50
; %bb.34:                               ;   in Loop: Header=BB37_3 Depth=1
	s_or_b32 exec_lo, exec_lo, s39
	s_and_saveexec_b32 s15, vcc_lo
	s_cbranch_execnz .LBB37_51
.LBB37_35:                              ;   in Loop: Header=BB37_3 Depth=1
	s_or_b32 exec_lo, exec_lo, s15
	s_and_saveexec_b32 s15, s0
	s_cbranch_execnz .LBB37_52
.LBB37_36:                              ;   in Loop: Header=BB37_3 Depth=1
	s_or_b32 exec_lo, exec_lo, s15
	s_and_saveexec_b32 s0, s1
	s_cbranch_execnz .LBB37_53
.LBB37_37:                              ;   in Loop: Header=BB37_3 Depth=1
	s_or_b32 exec_lo, exec_lo, s0
	s_and_saveexec_b32 s0, s2
	s_cbranch_execnz .LBB37_54
.LBB37_38:                              ;   in Loop: Header=BB37_3 Depth=1
	s_or_b32 exec_lo, exec_lo, s0
	s_and_saveexec_b32 s0, s3
	s_cbranch_execnz .LBB37_55
.LBB37_39:                              ;   in Loop: Header=BB37_3 Depth=1
	s_or_b32 exec_lo, exec_lo, s0
	s_and_saveexec_b32 s0, s4
	s_cbranch_execnz .LBB37_56
.LBB37_40:                              ;   in Loop: Header=BB37_3 Depth=1
	s_or_b32 exec_lo, exec_lo, s0
	s_and_saveexec_b32 s0, s5
	s_cbranch_execnz .LBB37_57
.LBB37_41:                              ;   in Loop: Header=BB37_3 Depth=1
	s_or_b32 exec_lo, exec_lo, s0
	s_and_saveexec_b32 s0, s6
	s_cbranch_execnz .LBB37_58
.LBB37_42:                              ;   in Loop: Header=BB37_3 Depth=1
	s_or_b32 exec_lo, exec_lo, s0
	s_and_saveexec_b32 s0, s7
	s_cbranch_execnz .LBB37_59
.LBB37_43:                              ;   in Loop: Header=BB37_3 Depth=1
	s_or_b32 exec_lo, exec_lo, s0
	s_and_saveexec_b32 s0, s8
	s_cbranch_execnz .LBB37_60
.LBB37_44:                              ;   in Loop: Header=BB37_3 Depth=1
	s_or_b32 exec_lo, exec_lo, s0
	s_and_saveexec_b32 s0, s9
	s_cbranch_execnz .LBB37_61
.LBB37_45:                              ;   in Loop: Header=BB37_3 Depth=1
	s_or_b32 exec_lo, exec_lo, s0
	s_and_saveexec_b32 s0, s10
	s_cbranch_execnz .LBB37_62
.LBB37_46:                              ;   in Loop: Header=BB37_3 Depth=1
	s_or_b32 exec_lo, exec_lo, s0
	s_and_saveexec_b32 s0, s11
	s_cbranch_execnz .LBB37_63
.LBB37_47:                              ;   in Loop: Header=BB37_3 Depth=1
	s_or_b32 exec_lo, exec_lo, s0
	s_and_saveexec_b32 s0, s12
	s_cbranch_execnz .LBB37_64
.LBB37_48:                              ;   in Loop: Header=BB37_3 Depth=1
	s_or_b32 exec_lo, exec_lo, s0
	s_and_saveexec_b32 s0, s13
	s_cbranch_execnz .LBB37_65
.LBB37_49:                              ;   in Loop: Header=BB37_3 Depth=1
	s_or_b32 exec_lo, exec_lo, s0
	s_and_saveexec_b32 s0, s14
	s_cbranch_execz .LBB37_2
	s_branch .LBB37_66
.LBB37_50:                              ;   in Loop: Header=BB37_3 Depth=1
	s_delay_alu instid0(VALU_DEP_1) | instskip(NEXT) | instid1(VALU_DEP_1)
	v_lshlrev_b64 v[48:49], 2, v[46:47]
	v_add_co_u32 v48, s15, s18, v48
	s_delay_alu instid0(VALU_DEP_1)
	v_add_co_ci_u32_e64 v49, s15, s19, v49, s15
	global_load_b32 v17, v[48:49], off
	s_or_b32 exec_lo, exec_lo, s39
	s_and_saveexec_b32 s15, vcc_lo
	s_cbranch_execz .LBB37_35
.LBB37_51:                              ;   in Loop: Header=BB37_3 Depth=1
	v_lshlrev_b64 v[48:49], 2, v[0:1]
	s_delay_alu instid0(VALU_DEP_1) | instskip(NEXT) | instid1(VALU_DEP_2)
	v_add_co_u32 v48, vcc_lo, s25, v48
	v_add_co_ci_u32_e32 v49, vcc_lo, s26, v49, vcc_lo
	s_waitcnt vmcnt(0)
	global_store_b32 v[48:49], v2, off
	s_or_b32 exec_lo, exec_lo, s15
	s_and_saveexec_b32 s15, s0
	s_cbranch_execz .LBB37_36
.LBB37_52:                              ;   in Loop: Header=BB37_3 Depth=1
	v_lshlrev_b64 v[18:19], 2, v[18:19]
	s_delay_alu instid0(VALU_DEP_1) | instskip(NEXT) | instid1(VALU_DEP_2)
	v_add_co_u32 v18, vcc_lo, s25, v18
	v_add_co_ci_u32_e32 v19, vcc_lo, s26, v19, vcc_lo
	s_waitcnt vmcnt(0)
	global_store_b32 v[18:19], v3, off
	s_or_b32 exec_lo, exec_lo, s15
	s_and_saveexec_b32 s0, s1
	s_cbranch_execz .LBB37_37
.LBB37_53:                              ;   in Loop: Header=BB37_3 Depth=1
	v_lshlrev_b64 v[18:19], 2, v[20:21]
	s_delay_alu instid0(VALU_DEP_1) | instskip(NEXT) | instid1(VALU_DEP_2)
	v_add_co_u32 v18, vcc_lo, s25, v18
	v_add_co_ci_u32_e32 v19, vcc_lo, s26, v19, vcc_lo
	s_waitcnt vmcnt(0)
	global_store_b32 v[18:19], v4, off
	s_or_b32 exec_lo, exec_lo, s0
	s_and_saveexec_b32 s0, s2
	s_cbranch_execz .LBB37_38
.LBB37_54:                              ;   in Loop: Header=BB37_3 Depth=1
	v_lshlrev_b64 v[18:19], 2, v[22:23]
	s_delay_alu instid0(VALU_DEP_1) | instskip(NEXT) | instid1(VALU_DEP_2)
	v_add_co_u32 v18, vcc_lo, s25, v18
	v_add_co_ci_u32_e32 v19, vcc_lo, s26, v19, vcc_lo
	s_waitcnt vmcnt(0)
	global_store_b32 v[18:19], v5, off
	s_or_b32 exec_lo, exec_lo, s0
	s_and_saveexec_b32 s0, s3
	s_cbranch_execz .LBB37_39
.LBB37_55:                              ;   in Loop: Header=BB37_3 Depth=1
	v_lshlrev_b64 v[18:19], 2, v[24:25]
	s_delay_alu instid0(VALU_DEP_1) | instskip(NEXT) | instid1(VALU_DEP_2)
	v_add_co_u32 v18, vcc_lo, s25, v18
	v_add_co_ci_u32_e32 v19, vcc_lo, s26, v19, vcc_lo
	s_waitcnt vmcnt(0)
	global_store_b32 v[18:19], v6, off
	s_or_b32 exec_lo, exec_lo, s0
	s_and_saveexec_b32 s0, s4
	s_cbranch_execz .LBB37_40
.LBB37_56:                              ;   in Loop: Header=BB37_3 Depth=1
	v_lshlrev_b64 v[18:19], 2, v[26:27]
	s_delay_alu instid0(VALU_DEP_1) | instskip(NEXT) | instid1(VALU_DEP_2)
	v_add_co_u32 v18, vcc_lo, s25, v18
	v_add_co_ci_u32_e32 v19, vcc_lo, s26, v19, vcc_lo
	s_waitcnt vmcnt(0)
	global_store_b32 v[18:19], v7, off
	s_or_b32 exec_lo, exec_lo, s0
	s_and_saveexec_b32 s0, s5
	s_cbranch_execz .LBB37_41
.LBB37_57:                              ;   in Loop: Header=BB37_3 Depth=1
	v_lshlrev_b64 v[18:19], 2, v[28:29]
	s_delay_alu instid0(VALU_DEP_1) | instskip(NEXT) | instid1(VALU_DEP_2)
	v_add_co_u32 v18, vcc_lo, s25, v18
	v_add_co_ci_u32_e32 v19, vcc_lo, s26, v19, vcc_lo
	s_waitcnt vmcnt(0)
	global_store_b32 v[18:19], v8, off
	s_or_b32 exec_lo, exec_lo, s0
	s_and_saveexec_b32 s0, s6
	s_cbranch_execz .LBB37_42
.LBB37_58:                              ;   in Loop: Header=BB37_3 Depth=1
	v_lshlrev_b64 v[18:19], 2, v[30:31]
	s_delay_alu instid0(VALU_DEP_1) | instskip(NEXT) | instid1(VALU_DEP_2)
	v_add_co_u32 v18, vcc_lo, s25, v18
	v_add_co_ci_u32_e32 v19, vcc_lo, s26, v19, vcc_lo
	s_waitcnt vmcnt(0)
	global_store_b32 v[18:19], v9, off
	s_or_b32 exec_lo, exec_lo, s0
	s_and_saveexec_b32 s0, s7
	s_cbranch_execz .LBB37_43
.LBB37_59:                              ;   in Loop: Header=BB37_3 Depth=1
	v_lshlrev_b64 v[18:19], 2, v[32:33]
	s_delay_alu instid0(VALU_DEP_1) | instskip(NEXT) | instid1(VALU_DEP_2)
	v_add_co_u32 v18, vcc_lo, s25, v18
	v_add_co_ci_u32_e32 v19, vcc_lo, s26, v19, vcc_lo
	s_waitcnt vmcnt(0)
	global_store_b32 v[18:19], v10, off
	s_or_b32 exec_lo, exec_lo, s0
	s_and_saveexec_b32 s0, s8
	s_cbranch_execz .LBB37_44
.LBB37_60:                              ;   in Loop: Header=BB37_3 Depth=1
	v_lshlrev_b64 v[18:19], 2, v[34:35]
	s_delay_alu instid0(VALU_DEP_1) | instskip(NEXT) | instid1(VALU_DEP_2)
	v_add_co_u32 v18, vcc_lo, s25, v18
	v_add_co_ci_u32_e32 v19, vcc_lo, s26, v19, vcc_lo
	s_waitcnt vmcnt(0)
	global_store_b32 v[18:19], v11, off
	s_or_b32 exec_lo, exec_lo, s0
	s_and_saveexec_b32 s0, s9
	s_cbranch_execz .LBB37_45
.LBB37_61:                              ;   in Loop: Header=BB37_3 Depth=1
	v_lshlrev_b64 v[18:19], 2, v[36:37]
	s_delay_alu instid0(VALU_DEP_1) | instskip(NEXT) | instid1(VALU_DEP_2)
	v_add_co_u32 v18, vcc_lo, s25, v18
	v_add_co_ci_u32_e32 v19, vcc_lo, s26, v19, vcc_lo
	s_waitcnt vmcnt(0)
	global_store_b32 v[18:19], v12, off
	s_or_b32 exec_lo, exec_lo, s0
	s_and_saveexec_b32 s0, s10
	s_cbranch_execz .LBB37_46
.LBB37_62:                              ;   in Loop: Header=BB37_3 Depth=1
	v_lshlrev_b64 v[18:19], 2, v[38:39]
	s_delay_alu instid0(VALU_DEP_1) | instskip(NEXT) | instid1(VALU_DEP_2)
	v_add_co_u32 v18, vcc_lo, s25, v18
	v_add_co_ci_u32_e32 v19, vcc_lo, s26, v19, vcc_lo
	s_waitcnt vmcnt(0)
	global_store_b32 v[18:19], v13, off
	s_or_b32 exec_lo, exec_lo, s0
	s_and_saveexec_b32 s0, s11
	s_cbranch_execz .LBB37_47
.LBB37_63:                              ;   in Loop: Header=BB37_3 Depth=1
	v_lshlrev_b64 v[18:19], 2, v[40:41]
	s_delay_alu instid0(VALU_DEP_1) | instskip(NEXT) | instid1(VALU_DEP_2)
	v_add_co_u32 v18, vcc_lo, s25, v18
	v_add_co_ci_u32_e32 v19, vcc_lo, s26, v19, vcc_lo
	s_waitcnt vmcnt(0)
	global_store_b32 v[18:19], v14, off
	s_or_b32 exec_lo, exec_lo, s0
	s_and_saveexec_b32 s0, s12
	s_cbranch_execz .LBB37_48
.LBB37_64:                              ;   in Loop: Header=BB37_3 Depth=1
	v_lshlrev_b64 v[18:19], 2, v[42:43]
	s_delay_alu instid0(VALU_DEP_1) | instskip(NEXT) | instid1(VALU_DEP_2)
	v_add_co_u32 v18, vcc_lo, s25, v18
	v_add_co_ci_u32_e32 v19, vcc_lo, s26, v19, vcc_lo
	s_waitcnt vmcnt(0)
	global_store_b32 v[18:19], v15, off
	s_or_b32 exec_lo, exec_lo, s0
	s_and_saveexec_b32 s0, s13
	s_cbranch_execz .LBB37_49
.LBB37_65:                              ;   in Loop: Header=BB37_3 Depth=1
	v_lshlrev_b64 v[18:19], 2, v[44:45]
	s_delay_alu instid0(VALU_DEP_1) | instskip(NEXT) | instid1(VALU_DEP_2)
	v_add_co_u32 v18, vcc_lo, s25, v18
	v_add_co_ci_u32_e32 v19, vcc_lo, s26, v19, vcc_lo
	s_waitcnt vmcnt(0)
	global_store_b32 v[18:19], v16, off
	s_or_b32 exec_lo, exec_lo, s0
	s_and_saveexec_b32 s0, s14
	s_cbranch_execz .LBB37_2
.LBB37_66:                              ;   in Loop: Header=BB37_3 Depth=1
	v_lshlrev_b64 v[18:19], 2, v[46:47]
	s_delay_alu instid0(VALU_DEP_1) | instskip(NEXT) | instid1(VALU_DEP_2)
	v_add_co_u32 v18, vcc_lo, s25, v18
	v_add_co_ci_u32_e32 v19, vcc_lo, s26, v19, vcc_lo
	s_waitcnt vmcnt(0)
	global_store_b32 v[18:19], v17, off
	s_branch .LBB37_2
.LBB37_67:
	s_nop 0
	s_sendmsg sendmsg(MSG_DEALLOC_VGPRS)
	s_endpgm
	.section	.rodata,"a",@progbits
	.p2align	6, 0x0
	.amdhsa_kernel _ZN9rocsolver6v33100L16stedc_reshuffleCIfPfS2_EEviT0_iilT1_iilPi
		.amdhsa_group_segment_fixed_size 0
		.amdhsa_private_segment_fixed_size 0
		.amdhsa_kernarg_size 320
		.amdhsa_user_sgpr_count 14
		.amdhsa_user_sgpr_dispatch_ptr 0
		.amdhsa_user_sgpr_queue_ptr 0
		.amdhsa_user_sgpr_kernarg_segment_ptr 1
		.amdhsa_user_sgpr_dispatch_id 0
		.amdhsa_user_sgpr_private_segment_size 0
		.amdhsa_wavefront_size32 1
		.amdhsa_uses_dynamic_stack 0
		.amdhsa_enable_private_segment 0
		.amdhsa_system_sgpr_workgroup_id_x 1
		.amdhsa_system_sgpr_workgroup_id_y 1
		.amdhsa_system_sgpr_workgroup_id_z 0
		.amdhsa_system_sgpr_workgroup_info 0
		.amdhsa_system_vgpr_workitem_id 0
		.amdhsa_next_free_vgpr 50
		.amdhsa_next_free_sgpr 40
		.amdhsa_reserve_vcc 1
		.amdhsa_float_round_mode_32 0
		.amdhsa_float_round_mode_16_64 0
		.amdhsa_float_denorm_mode_32 3
		.amdhsa_float_denorm_mode_16_64 3
		.amdhsa_dx10_clamp 1
		.amdhsa_ieee_mode 1
		.amdhsa_fp16_overflow 0
		.amdhsa_workgroup_processor_mode 1
		.amdhsa_memory_ordered 1
		.amdhsa_forward_progress 0
		.amdhsa_shared_vgpr_count 0
		.amdhsa_exception_fp_ieee_invalid_op 0
		.amdhsa_exception_fp_denorm_src 0
		.amdhsa_exception_fp_ieee_div_zero 0
		.amdhsa_exception_fp_ieee_overflow 0
		.amdhsa_exception_fp_ieee_underflow 0
		.amdhsa_exception_fp_ieee_inexact 0
		.amdhsa_exception_int_div_zero 0
	.end_amdhsa_kernel
	.section	.text._ZN9rocsolver6v33100L16stedc_reshuffleCIfPfS2_EEviT0_iilT1_iilPi,"axG",@progbits,_ZN9rocsolver6v33100L16stedc_reshuffleCIfPfS2_EEviT0_iilT1_iilPi,comdat
.Lfunc_end37:
	.size	_ZN9rocsolver6v33100L16stedc_reshuffleCIfPfS2_EEviT0_iilT1_iilPi, .Lfunc_end37-_ZN9rocsolver6v33100L16stedc_reshuffleCIfPfS2_EEviT0_iilT1_iilPi
                                        ; -- End function
	.section	.AMDGPU.csdata,"",@progbits
; Kernel info:
; codeLenInByte = 2764
; NumSgprs: 42
; NumVgprs: 50
; ScratchSize: 0
; MemoryBound: 0
; FloatMode: 240
; IeeeMode: 1
; LDSByteSize: 0 bytes/workgroup (compile time only)
; SGPRBlocks: 5
; VGPRBlocks: 6
; NumSGPRsForWavesPerEU: 42
; NumVGPRsForWavesPerEU: 50
; Occupancy: 16
; WaveLimiterHint : 1
; COMPUTE_PGM_RSRC2:SCRATCH_EN: 0
; COMPUTE_PGM_RSRC2:USER_SGPR: 14
; COMPUTE_PGM_RSRC2:TRAP_HANDLER: 0
; COMPUTE_PGM_RSRC2:TGID_X_EN: 1
; COMPUTE_PGM_RSRC2:TGID_Y_EN: 1
; COMPUTE_PGM_RSRC2:TGID_Z_EN: 0
; COMPUTE_PGM_RSRC2:TIDIG_COMP_CNT: 0
	.section	.text._ZN9rocsolver6v33100L30stedc_mergeValues_Solve_kernelIfEEviiPT_lS3_lS3_S3_PiS2_S2_S2_,"axG",@progbits,_ZN9rocsolver6v33100L30stedc_mergeValues_Solve_kernelIfEEviiPT_lS3_lS3_S3_PiS2_S2_S2_,comdat
	.globl	_ZN9rocsolver6v33100L30stedc_mergeValues_Solve_kernelIfEEviiPT_lS3_lS3_S3_PiS2_S2_S2_ ; -- Begin function _ZN9rocsolver6v33100L30stedc_mergeValues_Solve_kernelIfEEviiPT_lS3_lS3_S3_PiS2_S2_S2_
	.p2align	8
	.type	_ZN9rocsolver6v33100L30stedc_mergeValues_Solve_kernelIfEEviiPT_lS3_lS3_S3_PiS2_S2_S2_,@function
_ZN9rocsolver6v33100L30stedc_mergeValues_Solve_kernelIfEEviiPT_lS3_lS3_S3_PiS2_S2_S2_: ; @_ZN9rocsolver6v33100L30stedc_mergeValues_Solve_kernelIfEEviiPT_lS3_lS3_S3_PiS2_S2_S2_
; %bb.0:
	s_clause 0x1
	s_load_b32 s3, s[0:1], 0x5c
	s_load_b32 s2, s[0:1], 0x4
	s_waitcnt lgkmcnt(0)
	s_and_b32 s3, s3, 0xffff
	s_delay_alu instid0(SALU_CYCLE_1) | instskip(SKIP_1) | instid1(VALU_DEP_1)
	v_mad_u64_u32 v[2:3], null, s14, s3, v[0:1]
	s_mov_b32 s3, exec_lo
	v_cmpx_gt_i32_e64 s2, v2
	s_cbranch_execz .LBB38_190
; %bb.1:
	s_load_b64 s[6:7], s[0:1], 0x38
	s_mul_i32 s4, s15, s2
	v_ashrrev_i32_e32 v3, 31, v2
	s_mul_i32 s8, s4, 13
	s_ashr_i32 s3, s2, 31
	s_ashr_i32 s9, s8, 31
	s_mul_i32 s10, s2, 6
	s_lshl_b64 s[8:9], s[8:9], 2
	v_lshlrev_b64 v[0:1], 2, v[2:3]
	s_waitcnt lgkmcnt(0)
	s_add_u32 s5, s6, s8
	s_addc_u32 s8, s7, s9
	s_ashr_i32 s11, s10, 31
	s_delay_alu instid0(SALU_CYCLE_1) | instskip(NEXT) | instid1(SALU_CYCLE_1)
	s_lshl_b64 s[6:7], s[10:11], 2
	s_add_u32 s5, s5, s6
	s_addc_u32 s8, s8, s7
	s_lshl_b64 s[6:7], s[2:3], 2
	v_add_co_u32 v3, vcc_lo, s5, v0
	s_add_u32 s6, s5, s6
	v_add_co_ci_u32_e32 v4, vcc_lo, s8, v1, vcc_lo
	s_addc_u32 s5, s8, s7
	v_add_co_u32 v7, vcc_lo, s6, v0
	v_add_co_ci_u32_e32 v8, vcc_lo, s5, v1, vcc_lo
	s_clause 0x1
	global_load_b32 v6, v[3:4], off
	global_load_b32 v14, v[7:8], off
	s_waitcnt vmcnt(1)
	v_sub_nc_u32_e32 v11, v2, v6
	s_waitcnt vmcnt(0)
	s_delay_alu instid0(VALU_DEP_1)
	v_cmp_lt_i32_e32 vcc_lo, v11, v14
	s_and_b32 exec_lo, exec_lo, vcc_lo
	s_cbranch_execz .LBB38_190
; %bb.2:
	s_load_b128 s[8:11], s[0:1], 0x28
	s_mul_i32 s6, s4, 10
	v_mul_lo_u32 v2, v2, s2
	s_ashr_i32 s7, s6, 31
	s_mul_i32 s16, s2, 0xffffffe4
	s_lshl_b64 s[12:13], s[6:7], 2
	s_load_b32 s7, s[0:1], 0x40
	s_mul_hi_i32 s5, s2, 0xffffffe4
	s_mul_i32 s4, s4, s2
	v_ashrrev_i32_e32 v12, 31, v11
	v_ashrrev_i32_e32 v3, 31, v2
                                        ; implicit-def: $vgpr35
	s_delay_alu instid0(VALU_DEP_2) | instskip(NEXT) | instid1(VALU_DEP_2)
	v_lshlrev_b64 v[12:13], 2, v[11:12]
	v_lshlrev_b64 v[20:21], 2, v[2:3]
	s_waitcnt lgkmcnt(0)
	s_add_u32 s6, s8, s12
	s_addc_u32 s17, s9, s13
	s_lshl_b32 s0, s2, 3
	s_delay_alu instid0(SALU_CYCLE_1) | instskip(NEXT) | instid1(SALU_CYCLE_1)
	s_ashr_i32 s1, s0, 31
	s_lshl_b64 s[14:15], s[0:1], 2
	s_mul_i32 s0, s2, s2
	s_add_u32 s6, s6, s14
	s_addc_u32 s22, s17, s15
	s_add_u32 s20, s6, s16
	s_addc_u32 s21, s22, s5
	s_lshl_b64 s[2:3], s[2:3], 5
	s_mov_b32 s1, 0
	s_add_u32 s5, s20, s2
	s_addc_u32 s23, s21, s3
	s_lshl_b32 s2, s4, 1
	s_delay_alu instid0(SALU_CYCLE_1) | instskip(NEXT) | instid1(SALU_CYCLE_1)
	s_ashr_i32 s3, s2, 31
	s_lshl_b64 s[18:19], s[2:3], 2
	s_delay_alu instid0(SALU_CYCLE_1) | instskip(SKIP_2) | instid1(SALU_CYCLE_1)
	s_add_u32 s2, s10, s18
	s_addc_u32 s3, s11, s19
	s_lshl_b64 s[16:17], s[0:1], 2
	s_add_u32 s0, s2, s16
	s_addc_u32 s1, s3, s17
	v_add_co_u32 v2, vcc_lo, s0, v20
	v_add_co_ci_u32_e32 v3, vcc_lo, s1, v21, vcc_lo
	v_add_co_u32 v7, vcc_lo, s5, v0
	v_add_co_ci_u32_e32 v8, vcc_lo, s23, v1, vcc_lo
	s_delay_alu instid0(VALU_DEP_4) | instskip(NEXT) | instid1(VALU_DEP_4)
	v_add_co_u32 v4, vcc_lo, v2, v12
	v_add_co_ci_u32_e32 v5, vcc_lo, v3, v13, vcc_lo
	global_load_b32 v26, v[7:8], off
	global_load_b32 v27, v[4:5], off
	v_ashrrev_i32_e32 v7, 31, v6
	v_add_nc_u32_e32 v8, -1, v14
	s_delay_alu instid0(VALU_DEP_2) | instskip(NEXT) | instid1(VALU_DEP_1)
	v_lshlrev_b64 v[18:19], 2, v[6:7]
	v_add_co_u32 v6, s0, s6, v18
	s_delay_alu instid0(VALU_DEP_1)
	v_add_co_ci_u32_e64 v7, s0, s22, v19, s0
	s_mov_b32 s0, exec_lo
	v_cmpx_ne_u32_e64 v11, v8
	s_xor_b32 s22, exec_lo, s0
	s_cbranch_execz .LBB38_118
; %bb.3:
	global_load_b32 v31, v[4:5], off offset:4
	s_mov_b32 s1, exec_lo
	s_waitcnt vmcnt(0)
	v_dual_mov_b32 v22, 0 :: v_dual_add_f32 v9, v27, v31
	s_delay_alu instid0(VALU_DEP_1)
	v_mul_f32_e32 v23, 0.5, v9
	v_cmpx_lt_i32_e32 0, v11
	s_cbranch_execz .LBB38_7
; %bb.4:
	v_mov_b32_e32 v10, v7
	v_dual_mov_b32 v22, 0 :: v_dual_mov_b32 v9, v6
	v_dual_mov_b32 v15, v3 :: v_dual_mov_b32 v14, v2
	v_mov_b32_e32 v16, v11
	s_mov_b32 s2, 0
	s_set_inst_prefetch_distance 0x1
	.p2align	6
.LBB38_5:                               ; =>This Inner Loop Header: Depth=1
	global_load_b32 v17, v[14:15], off
	global_load_b32 v24, v[9:10], off
	v_add_nc_u32_e32 v16, -1, v16
	s_delay_alu instid0(VALU_DEP_1) | instskip(NEXT) | instid1(VALU_DEP_1)
	v_cmp_eq_u32_e64 s0, 0, v16
	s_or_b32 s2, s0, s2
	s_waitcnt vmcnt(1)
	v_sub_f32_e32 v17, v17, v23
	s_waitcnt vmcnt(0)
	s_delay_alu instid0(VALU_DEP_1) | instskip(SKIP_1) | instid1(VALU_DEP_2)
	v_div_scale_f32 v25, null, v17, v17, v24
	v_div_scale_f32 v30, vcc_lo, v24, v17, v24
	v_rcp_f32_e32 v28, v25
	s_waitcnt_depctr 0xfff
	v_fma_f32 v29, -v25, v28, 1.0
	s_delay_alu instid0(VALU_DEP_1) | instskip(NEXT) | instid1(VALU_DEP_1)
	v_fmac_f32_e32 v28, v29, v28
	v_mul_f32_e32 v29, v30, v28
	s_delay_alu instid0(VALU_DEP_1) | instskip(NEXT) | instid1(VALU_DEP_1)
	v_fma_f32 v32, -v25, v29, v30
	v_fmac_f32_e32 v29, v32, v28
	s_delay_alu instid0(VALU_DEP_1) | instskip(NEXT) | instid1(VALU_DEP_1)
	v_fma_f32 v25, -v25, v29, v30
	v_div_fmas_f32 v25, v25, v28, v29
	v_add_co_u32 v14, vcc_lo, v14, 4
	v_add_co_ci_u32_e32 v15, vcc_lo, 0, v15, vcc_lo
	s_delay_alu instid0(VALU_DEP_3) | instskip(SKIP_2) | instid1(VALU_DEP_3)
	v_div_fixup_f32 v17, v25, v17, v24
	v_add_co_u32 v9, vcc_lo, v9, 4
	v_add_co_ci_u32_e32 v10, vcc_lo, 0, v10, vcc_lo
	v_fmac_f32_e32 v22, v24, v17
	s_and_not1_b32 exec_lo, exec_lo, s2
	s_cbranch_execnz .LBB38_5
; %bb.6:
	s_set_inst_prefetch_distance 0x2
	s_or_b32 exec_lo, exec_lo, s2
.LBB38_7:
	s_delay_alu instid0(SALU_CYCLE_1) | instskip(SKIP_4) | instid1(VALU_DEP_3)
	s_or_b32 exec_lo, exec_lo, s1
	v_add_nc_u32_e32 v10, 1, v11
	v_mov_b32_e32 v24, 0
	v_ashrrev_i32_e32 v9, 31, v8
	s_mov_b32 s1, exec_lo
	v_cmpx_gt_i32_e64 v8, v10
	s_cbranch_execz .LBB38_11
; %bb.8:
	s_add_u32 s0, s10, s16
	v_add_co_u32 v16, vcc_lo, s18, v20
	v_lshlrev_b64 v[14:15], 2, v[8:9]
	s_addc_u32 s2, s11, s17
	s_add_u32 s3, s14, s12
	v_add_co_ci_u32_e32 v17, vcc_lo, s19, v21, vcc_lo
	s_addc_u32 s4, s15, s13
	v_add_co_u32 v24, vcc_lo, s3, v18
	v_add_co_ci_u32_e32 v25, vcc_lo, s4, v19, vcc_lo
	v_add_co_u32 v16, vcc_lo, v16, v14
	v_add_co_ci_u32_e32 v17, vcc_lo, v17, v15, vcc_lo
	s_delay_alu instid0(VALU_DEP_4) | instskip(NEXT) | instid1(VALU_DEP_4)
	v_add_co_u32 v24, vcc_lo, v24, v14
	v_add_co_ci_u32_e32 v25, vcc_lo, v25, v15, vcc_lo
	s_delay_alu instid0(VALU_DEP_4) | instskip(NEXT) | instid1(VALU_DEP_4)
	;; [unrolled: 3-line block ×3, first 2 shown]
	v_add_co_u32 v16, vcc_lo, s8, v24
	v_add_co_ci_u32_e32 v17, vcc_lo, s9, v25, vcc_lo
	v_dual_mov_b32 v24, 0 :: v_dual_mov_b32 v25, v8
	s_mov_b32 s2, 0
	s_set_inst_prefetch_distance 0x1
	.p2align	6
.LBB38_9:                               ; =>This Inner Loop Header: Depth=1
	global_load_b32 v28, v[14:15], off
	global_load_b32 v29, v[16:17], off
	v_add_nc_u32_e32 v25, -1, v25
	s_delay_alu instid0(VALU_DEP_1) | instskip(NEXT) | instid1(VALU_DEP_1)
	v_cmp_le_i32_e64 s0, v25, v10
	s_or_b32 s2, s0, s2
	s_waitcnt vmcnt(1)
	v_sub_f32_e32 v28, v28, v23
	s_waitcnt vmcnt(0)
	s_delay_alu instid0(VALU_DEP_1) | instskip(SKIP_1) | instid1(VALU_DEP_2)
	v_div_scale_f32 v30, null, v28, v28, v29
	v_div_scale_f32 v34, vcc_lo, v29, v28, v29
	v_rcp_f32_e32 v32, v30
	s_waitcnt_depctr 0xfff
	v_fma_f32 v33, -v30, v32, 1.0
	s_delay_alu instid0(VALU_DEP_1) | instskip(NEXT) | instid1(VALU_DEP_1)
	v_fmac_f32_e32 v32, v33, v32
	v_mul_f32_e32 v33, v34, v32
	s_delay_alu instid0(VALU_DEP_1) | instskip(NEXT) | instid1(VALU_DEP_1)
	v_fma_f32 v35, -v30, v33, v34
	v_fmac_f32_e32 v33, v35, v32
	s_delay_alu instid0(VALU_DEP_1) | instskip(NEXT) | instid1(VALU_DEP_1)
	v_fma_f32 v30, -v30, v33, v34
	v_div_fmas_f32 v30, v30, v32, v33
	v_add_co_u32 v14, vcc_lo, v14, -4
	v_add_co_ci_u32_e32 v15, vcc_lo, -1, v15, vcc_lo
	s_delay_alu instid0(VALU_DEP_3) | instskip(SKIP_2) | instid1(VALU_DEP_3)
	v_div_fixup_f32 v28, v30, v28, v29
	v_add_co_u32 v16, vcc_lo, v16, -4
	v_add_co_ci_u32_e32 v17, vcc_lo, -1, v17, vcc_lo
	v_fmac_f32_e32 v24, v29, v28
	s_and_not1_b32 exec_lo, exec_lo, s2
	s_cbranch_execnz .LBB38_9
; %bb.10:
	s_set_inst_prefetch_distance 0x2
	s_or_b32 exec_lo, exec_lo, s2
.LBB38_11:
	s_delay_alu instid0(SALU_CYCLE_1)
	s_or_b32 exec_lo, exec_lo, s1
	v_add_co_u32 v12, vcc_lo, v6, v12
	v_add_co_ci_u32_e32 v13, vcc_lo, v7, v13, vcc_lo
                                        ; implicit-def: $sgpr2
	global_load_b64 v[15:16], v[12:13], off
	s_waitcnt vmcnt(0)
	v_dual_mul_f32 v15, v15, v15 :: v_dual_and_b32 v14, 0x7fffffff, v26
	s_delay_alu instid0(VALU_DEP_1) | instskip(SKIP_1) | instid1(VALU_DEP_3)
	v_div_scale_f32 v17, null, v14, v14, 1.0
	v_div_scale_f32 v14, vcc_lo, 1.0, v14, 1.0
	v_fma_f32 v23, v16, v16, -v15
	s_delay_alu instid0(VALU_DEP_3) | instskip(NEXT) | instid1(VALU_DEP_1)
	v_rcp_f32_e32 v25, v17
	v_dual_mul_f32 v16, v16, v16 :: v_dual_add_f32 v23, v23, v23
	s_waitcnt_depctr 0xfff
	v_fma_f32 v29, -v17, v25, 1.0
	s_delay_alu instid0(VALU_DEP_1) | instskip(NEXT) | instid1(VALU_DEP_1)
	v_dual_sub_f32 v28, v31, v27 :: v_dual_fmac_f32 v25, v29, v25
	v_div_scale_f32 v30, null, v28, v28, v23
	s_delay_alu instid0(VALU_DEP_2) | instskip(NEXT) | instid1(VALU_DEP_2)
	v_mul_f32_e32 v29, v14, v25
	v_rcp_f32_e32 v32, v30
	s_delay_alu instid0(VALU_DEP_1) | instskip(NEXT) | instid1(VALU_DEP_1)
	v_fma_f32 v34, -v17, v29, v14
	v_fmac_f32_e32 v29, v34, v25
	s_waitcnt_depctr 0xfff
	v_fma_f32 v33, -v30, v32, 1.0
	v_fma_f32 v14, -v17, v29, v14
	s_delay_alu instid0(VALU_DEP_2) | instskip(SKIP_1) | instid1(VALU_DEP_3)
	v_fmac_f32_e32 v32, v33, v32
	v_div_scale_f32 v35, s0, v23, v28, v23
	v_div_fmas_f32 v14, v14, v25, v29
	s_mov_b32 vcc_lo, s0
	s_delay_alu instid0(VALU_DEP_2) | instskip(NEXT) | instid1(VALU_DEP_2)
	v_mul_f32_e32 v33, v35, v32
	v_div_fixup_f32 v29, v14, |v26|, 1.0
	s_delay_alu instid0(VALU_DEP_2) | instskip(NEXT) | instid1(VALU_DEP_1)
	v_fma_f32 v17, -v30, v33, v35
	v_fmac_f32_e32 v33, v17, v32
	s_delay_alu instid0(VALU_DEP_3) | instskip(NEXT) | instid1(VALU_DEP_2)
	v_add_f32_e32 v17, v29, v22
	v_fma_f32 v14, -v30, v33, v35
                                        ; implicit-def: $vgpr35
	s_delay_alu instid0(VALU_DEP_1) | instskip(NEXT) | instid1(VALU_DEP_3)
	v_div_fmas_f32 v22, v14, v32, v33
	v_add_f32_e32 v14, v17, v24
                                        ; implicit-def: $vgpr33
                                        ; implicit-def: $vgpr32
	s_delay_alu instid0(VALU_DEP_2) | instskip(NEXT) | instid1(VALU_DEP_1)
	v_div_fixup_f32 v17, v22, v28, v23
	v_add_f32_e32 v17, v14, v17
	s_delay_alu instid0(VALU_DEP_1) | instskip(SKIP_2) | instid1(VALU_DEP_2)
	v_cmp_lt_f32_e64 s0, 0, v17
	v_cmp_nlt_f32_e64 s1, 0, v17
	v_mul_f32_e32 v17, v28, v14
	s_and_saveexec_b32 s3, s1
	s_delay_alu instid0(SALU_CYCLE_1)
	s_xor_b32 s3, exec_lo, s3
	s_cbranch_execz .LBB38_17
; %bb.12:
	v_mul_f32_e32 v11, v28, v16
	v_sub_f32_e32 v15, v17, v15
                                        ; implicit-def: $vgpr33
	s_delay_alu instid0(VALU_DEP_2) | instskip(NEXT) | instid1(VALU_DEP_1)
	v_mul_f32_e32 v17, 4.0, v11
	v_dual_sub_f32 v15, v15, v16 :: v_dual_mul_f32 v16, v14, v17
	s_delay_alu instid0(VALU_DEP_1) | instskip(NEXT) | instid1(VALU_DEP_1)
	v_fmac_f32_e32 v16, v15, v15
	v_mul_f32_e64 v17, 0x4f800000, |v16|
	v_cmp_gt_f32_e64 vcc_lo, 0xf800000, |v16|
	s_delay_alu instid0(VALU_DEP_1) | instskip(NEXT) | instid1(VALU_DEP_1)
	v_cndmask_b32_e64 v16, |v16|, v17, vcc_lo
	v_sqrt_f32_e32 v17, v16
	s_waitcnt_depctr 0xfff
	v_add_nc_u32_e32 v23, 1, v17
	v_add_nc_u32_e32 v22, -1, v17
	s_delay_alu instid0(VALU_DEP_2) | instskip(NEXT) | instid1(VALU_DEP_2)
	v_fma_f32 v25, -v23, v17, v16
	v_fma_f32 v24, -v22, v17, v16
	s_delay_alu instid0(VALU_DEP_1) | instskip(NEXT) | instid1(VALU_DEP_1)
	v_cmp_ge_f32_e64 s2, 0, v24
	v_cndmask_b32_e64 v17, v17, v22, s2
	s_delay_alu instid0(VALU_DEP_4) | instskip(NEXT) | instid1(VALU_DEP_1)
	v_cmp_lt_f32_e64 s2, 0, v25
	v_cndmask_b32_e64 v17, v17, v23, s2
	s_mov_b32 s2, exec_lo
	s_delay_alu instid0(VALU_DEP_1) | instskip(NEXT) | instid1(VALU_DEP_1)
	v_mul_f32_e32 v22, 0x37800000, v17
	v_cndmask_b32_e32 v17, v17, v22, vcc_lo
	v_cmp_class_f32_e64 vcc_lo, v16, 0x260
	s_delay_alu instid0(VALU_DEP_2)
	v_cndmask_b32_e32 v16, v17, v16, vcc_lo
	v_cmpx_ngt_f32_e32 0, v15
	s_xor_b32 s2, exec_lo, s2
	s_cbranch_execz .LBB38_14
; %bb.13:
	s_delay_alu instid0(VALU_DEP_2) | instskip(NEXT) | instid1(VALU_DEP_1)
	v_dual_add_f32 v11, v15, v16 :: v_dual_add_f32 v14, v14, v14
	v_div_scale_f32 v15, null, v14, v14, -v11
	s_delay_alu instid0(VALU_DEP_1) | instskip(SKIP_2) | instid1(VALU_DEP_1)
	v_rcp_f32_e32 v16, v15
	s_waitcnt_depctr 0xfff
	v_fma_f32 v17, -v15, v16, 1.0
	v_fmac_f32_e32 v16, v17, v16
	v_div_scale_f32 v17, vcc_lo, -v11, v14, -v11
	s_delay_alu instid0(VALU_DEP_1) | instskip(NEXT) | instid1(VALU_DEP_1)
	v_mul_f32_e32 v22, v17, v16
	v_fma_f32 v23, -v15, v22, v17
	s_delay_alu instid0(VALU_DEP_1) | instskip(NEXT) | instid1(VALU_DEP_1)
	v_fmac_f32_e32 v22, v23, v16
	v_fma_f32 v15, -v15, v22, v17
	s_delay_alu instid0(VALU_DEP_1) | instskip(NEXT) | instid1(VALU_DEP_1)
	v_div_fmas_f32 v15, v15, v16, v22
                                        ; implicit-def: $vgpr16
	v_div_fixup_f32 v33, v15, v14, -v11
                                        ; implicit-def: $vgpr11
                                        ; implicit-def: $vgpr15
.LBB38_14:
	s_and_not1_saveexec_b32 s2, s2
	s_cbranch_execz .LBB38_16
; %bb.15:
	v_add_f32_e32 v11, v11, v11
	v_sub_f32_e32 v14, v15, v16
	s_delay_alu instid0(VALU_DEP_1) | instskip(NEXT) | instid1(VALU_DEP_1)
	v_div_scale_f32 v15, null, v14, v14, v11
	v_rcp_f32_e32 v16, v15
	s_waitcnt_depctr 0xfff
	v_fma_f32 v17, -v15, v16, 1.0
	s_delay_alu instid0(VALU_DEP_1) | instskip(SKIP_1) | instid1(VALU_DEP_1)
	v_fmac_f32_e32 v16, v17, v16
	v_div_scale_f32 v17, vcc_lo, v11, v14, v11
	v_mul_f32_e32 v22, v17, v16
	s_delay_alu instid0(VALU_DEP_1) | instskip(NEXT) | instid1(VALU_DEP_1)
	v_fma_f32 v23, -v15, v22, v17
	v_fmac_f32_e32 v22, v23, v16
	s_delay_alu instid0(VALU_DEP_1) | instskip(NEXT) | instid1(VALU_DEP_1)
	v_fma_f32 v15, -v15, v22, v17
	v_div_fmas_f32 v15, v15, v16, v22
	s_delay_alu instid0(VALU_DEP_1)
	v_div_fixup_f32 v33, v15, v14, v11
.LBB38_16:
	s_or_b32 exec_lo, exec_lo, s2
	s_delay_alu instid0(VALU_DEP_1)
	v_dual_mul_f32 v32, -0.5, v28 :: v_dual_add_f32 v35, v31, v33
	s_mov_b32 s2, 0
                                        ; implicit-def: $vgpr17
                                        ; implicit-def: $vgpr15
                                        ; implicit-def: $vgpr16
                                        ; implicit-def: $vgpr14
                                        ; implicit-def: $vgpr11
.LBB38_17:
	s_or_saveexec_b32 s3, s3
	v_mov_b32_e32 v34, s2
	v_mov_b32_e32 v30, v31
	s_xor_b32 exec_lo, exec_lo, s3
	s_cbranch_execz .LBB38_23
; %bb.18:
	v_mul_f32_e32 v10, v28, v15
	v_add_f32_e32 v15, v17, v15
                                        ; implicit-def: $vgpr33
	s_delay_alu instid0(VALU_DEP_1) | instskip(NEXT) | instid1(VALU_DEP_3)
	v_add_f32_e32 v15, v15, v16
	v_mul_f32_e32 v17, -4.0, v10
	s_delay_alu instid0(VALU_DEP_1) | instskip(NEXT) | instid1(VALU_DEP_1)
	v_mul_f32_e32 v16, v14, v17
	v_fmac_f32_e32 v16, v15, v15
	s_delay_alu instid0(VALU_DEP_1) | instskip(SKIP_1) | instid1(VALU_DEP_1)
	v_mul_f32_e64 v17, 0x4f800000, |v16|
	v_cmp_gt_f32_e64 vcc_lo, 0xf800000, |v16|
	v_cndmask_b32_e64 v16, |v16|, v17, vcc_lo
	s_delay_alu instid0(VALU_DEP_1) | instskip(SKIP_3) | instid1(VALU_DEP_2)
	v_sqrt_f32_e32 v17, v16
	s_waitcnt_depctr 0xfff
	v_add_nc_u32_e32 v22, -1, v17
	v_add_nc_u32_e32 v23, 1, v17
	v_fma_f32 v24, -v22, v17, v16
	s_delay_alu instid0(VALU_DEP_2) | instskip(NEXT) | instid1(VALU_DEP_2)
	v_fma_f32 v25, -v23, v17, v16
	v_cmp_ge_f32_e64 s2, 0, v24
	s_delay_alu instid0(VALU_DEP_1) | instskip(NEXT) | instid1(VALU_DEP_3)
	v_cndmask_b32_e64 v17, v17, v22, s2
	v_cmp_lt_f32_e64 s2, 0, v25
	s_delay_alu instid0(VALU_DEP_1) | instskip(SKIP_1) | instid1(VALU_DEP_1)
	v_cndmask_b32_e64 v17, v17, v23, s2
	s_mov_b32 s2, exec_lo
	v_mul_f32_e32 v22, 0x37800000, v17
	s_delay_alu instid0(VALU_DEP_1) | instskip(SKIP_1) | instid1(VALU_DEP_2)
	v_cndmask_b32_e32 v17, v17, v22, vcc_lo
	v_cmp_class_f32_e64 vcc_lo, v16, 0x260
	v_cndmask_b32_e32 v16, v17, v16, vcc_lo
	v_cmpx_nlt_f32_e32 0, v15
	s_xor_b32 s2, exec_lo, s2
	s_cbranch_execz .LBB38_20
; %bb.19:
	s_delay_alu instid0(VALU_DEP_2) | instskip(SKIP_1) | instid1(VALU_DEP_1)
	v_sub_f32_e32 v10, v15, v16
	v_add_f32_e32 v14, v14, v14
	v_div_scale_f32 v15, null, v14, v14, v10
	s_delay_alu instid0(VALU_DEP_1) | instskip(SKIP_2) | instid1(VALU_DEP_1)
	v_rcp_f32_e32 v16, v15
	s_waitcnt_depctr 0xfff
	v_fma_f32 v17, -v15, v16, 1.0
	v_fmac_f32_e32 v16, v17, v16
	v_div_scale_f32 v17, vcc_lo, v10, v14, v10
	s_delay_alu instid0(VALU_DEP_1) | instskip(NEXT) | instid1(VALU_DEP_1)
	v_mul_f32_e32 v22, v17, v16
	v_fma_f32 v23, -v15, v22, v17
	s_delay_alu instid0(VALU_DEP_1) | instskip(NEXT) | instid1(VALU_DEP_1)
	v_fmac_f32_e32 v22, v23, v16
	v_fma_f32 v15, -v15, v22, v17
	s_delay_alu instid0(VALU_DEP_1) | instskip(NEXT) | instid1(VALU_DEP_1)
	v_div_fmas_f32 v15, v15, v16, v22
                                        ; implicit-def: $vgpr16
	v_div_fixup_f32 v33, v15, v14, v10
                                        ; implicit-def: $vgpr10
                                        ; implicit-def: $vgpr15
.LBB38_20:
	s_and_not1_saveexec_b32 s2, s2
	s_cbranch_execz .LBB38_22
; %bb.21:
	v_add_f32_e32 v10, v10, v10
	v_add_f32_e32 v14, v15, v16
	s_delay_alu instid0(VALU_DEP_1) | instskip(NEXT) | instid1(VALU_DEP_1)
	v_div_scale_f32 v15, null, v14, v14, v10
	v_rcp_f32_e32 v16, v15
	s_waitcnt_depctr 0xfff
	v_fma_f32 v17, -v15, v16, 1.0
	s_delay_alu instid0(VALU_DEP_1) | instskip(SKIP_1) | instid1(VALU_DEP_1)
	v_fmac_f32_e32 v16, v17, v16
	v_div_scale_f32 v17, vcc_lo, v10, v14, v10
	v_mul_f32_e32 v22, v17, v16
	s_delay_alu instid0(VALU_DEP_1) | instskip(NEXT) | instid1(VALU_DEP_1)
	v_fma_f32 v23, -v15, v22, v17
	v_fmac_f32_e32 v22, v23, v16
	s_delay_alu instid0(VALU_DEP_1) | instskip(NEXT) | instid1(VALU_DEP_1)
	v_fma_f32 v15, -v15, v22, v17
	v_div_fmas_f32 v15, v15, v16, v22
	s_delay_alu instid0(VALU_DEP_1)
	v_div_fixup_f32 v33, v15, v14, v10
.LBB38_22:
	s_or_b32 exec_lo, exec_lo, s2
	s_delay_alu instid0(VALU_DEP_1)
	v_dual_mul_f32 v34, 0.5, v28 :: v_dual_add_f32 v35, v27, v33
	v_mov_b32_e32 v32, 0
	v_mov_b32_e32 v10, v11
	;; [unrolled: 1-line block ×3, first 2 shown]
.LBB38_23:
	s_or_b32 exec_lo, exec_lo, s3
	s_delay_alu instid0(SALU_CYCLE_1) | instskip(NEXT) | instid1(VALU_DEP_2)
	s_mov_b32 s3, exec_lo
	v_cmpx_lt_i32_e32 -1, v10
	s_cbranch_execz .LBB38_26
; %bb.24:
	v_mov_b32_e32 v15, v3
	v_dual_mov_b32 v14, v2 :: v_dual_add_nc_u32 v11, 1, v10
	s_mov_b32 s4, 0
.LBB38_25:                              ; =>This Inner Loop Header: Depth=1
	global_load_b32 v16, v[14:15], off
	s_waitcnt vmcnt(0)
	v_dual_sub_f32 v16, v16, v30 :: v_dual_add_nc_u32 v11, -1, v11
	s_delay_alu instid0(VALU_DEP_1) | instskip(SKIP_2) | instid1(VALU_DEP_1)
	v_cmp_eq_u32_e32 vcc_lo, 0, v11
	global_store_b32 v[14:15], v16, off
	v_add_co_u32 v14, s2, v14, 4
	v_add_co_ci_u32_e64 v15, s2, 0, v15, s2
	s_or_b32 s4, vcc_lo, s4
	s_delay_alu instid0(SALU_CYCLE_1)
	s_and_not1_b32 exec_lo, exec_lo, s4
	s_cbranch_execnz .LBB38_25
.LBB38_26:
	s_or_b32 exec_lo, exec_lo, s3
	v_cmp_le_i32_e64 s4, v8, v10
	v_cmp_gt_i32_e64 s2, v8, v10
	s_delay_alu instid0(VALU_DEP_1)
	s_and_saveexec_b32 s5, s2
	s_cbranch_execz .LBB38_29
; %bb.27:
	v_lshlrev_b64 v[14:15], 2, v[8:9]
	v_add_co_u32 v11, vcc_lo, s18, v20
	v_add_co_ci_u32_e32 v16, vcc_lo, s19, v21, vcc_lo
	s_add_u32 s3, s10, s16
	s_delay_alu instid0(VALU_DEP_2) | instskip(NEXT) | instid1(VALU_DEP_2)
	v_add_co_u32 v11, vcc_lo, v11, v14
	v_add_co_ci_u32_e32 v15, vcc_lo, v16, v15, vcc_lo
	s_addc_u32 s6, s11, s17
	s_delay_alu instid0(VALU_DEP_2) | instskip(NEXT) | instid1(VALU_DEP_2)
	v_add_co_u32 v14, vcc_lo, s3, v11
	v_add_co_ci_u32_e32 v15, vcc_lo, s6, v15, vcc_lo
	v_mov_b32_e32 v11, v8
	s_mov_b32 s6, 0
.LBB38_28:                              ; =>This Inner Loop Header: Depth=1
	global_load_b32 v16, v[14:15], off
	s_waitcnt vmcnt(0)
	v_dual_sub_f32 v16, v16, v30 :: v_dual_add_nc_u32 v11, -1, v11
	s_delay_alu instid0(VALU_DEP_1) | instskip(SKIP_2) | instid1(VALU_DEP_1)
	v_cmp_le_i32_e32 vcc_lo, v11, v10
	global_store_b32 v[14:15], v16, off
	v_add_co_u32 v14, s3, v14, -4
	v_add_co_ci_u32_e64 v15, s3, -1, v15, s3
	s_or_b32 s6, vcc_lo, s6
	s_delay_alu instid0(SALU_CYCLE_1)
	s_and_not1_b32 exec_lo, exec_lo, s6
	s_cbranch_execnz .LBB38_28
.LBB38_29:
	s_or_b32 exec_lo, exec_lo, s5
	v_ashrrev_i32_e32 v11, 31, v10
	v_cmp_lt_i32_e64 s3, 0, v10
	v_mov_b32_e32 v36, 0
	s_mov_b32 s23, 0
	v_mov_b32_e32 v37, 0
	v_lshlrev_b64 v[16:17], 2, v[10:11]
	s_delay_alu instid0(VALU_DEP_1) | instskip(NEXT) | instid1(VALU_DEP_2)
	v_add_co_u32 v14, vcc_lo, v2, v16
	v_add_co_ci_u32_e32 v15, vcc_lo, v3, v17, vcc_lo
	global_load_b32 v11, v[14:15], off
	s_waitcnt vmcnt(0)
	v_dual_sub_f32 v22, v11, v33 :: v_dual_mov_b32 v11, 0
	global_store_b32 v[14:15], v22, off
	s_and_saveexec_b32 s6, s3
	s_cbranch_execz .LBB38_33
; %bb.30:
	v_dual_mov_b32 v36, 0 :: v_dual_mov_b32 v23, v7
	v_dual_mov_b32 v22, v6 :: v_dual_mov_b32 v25, v3
	;; [unrolled: 1-line block ×4, first 2 shown]
	s_set_inst_prefetch_distance 0x1
	.p2align	6
.LBB38_31:                              ; =>This Inner Loop Header: Depth=1
	global_load_b32 v39, v[24:25], off
	s_waitcnt vmcnt(0)
	v_dual_sub_f32 v39, v39, v33 :: v_dual_add_nc_u32 v38, -1, v38
	global_store_b32 v[24:25], v39, off
	global_load_b32 v40, v[22:23], off
	v_add_co_u32 v24, s5, v24, 4
	s_delay_alu instid0(VALU_DEP_1) | instskip(SKIP_1) | instid1(VALU_DEP_1)
	v_add_co_ci_u32_e64 v25, s5, 0, v25, s5
	v_add_co_u32 v22, s5, v22, 4
	v_add_co_ci_u32_e64 v23, s5, 0, v23, s5
	s_waitcnt vmcnt(0)
	v_div_scale_f32 v41, null, v39, v39, v40
	v_div_scale_f32 v44, vcc_lo, v40, v39, v40
	s_delay_alu instid0(VALU_DEP_2) | instskip(SKIP_2) | instid1(VALU_DEP_1)
	v_rcp_f32_e32 v42, v41
	s_waitcnt_depctr 0xfff
	v_fma_f32 v43, -v41, v42, 1.0
	v_fmac_f32_e32 v42, v43, v42
	s_delay_alu instid0(VALU_DEP_1) | instskip(NEXT) | instid1(VALU_DEP_1)
	v_mul_f32_e32 v43, v44, v42
	v_fma_f32 v45, -v41, v43, v44
	s_delay_alu instid0(VALU_DEP_1) | instskip(NEXT) | instid1(VALU_DEP_1)
	v_fmac_f32_e32 v43, v45, v42
	v_fma_f32 v41, -v41, v43, v44
	s_delay_alu instid0(VALU_DEP_1) | instskip(SKIP_1) | instid1(VALU_DEP_2)
	v_div_fmas_f32 v41, v41, v42, v43
	v_cmp_eq_u32_e32 vcc_lo, 0, v38
	v_div_fixup_f32 v39, v41, v39, v40
	s_or_b32 s23, vcc_lo, s23
	s_delay_alu instid0(VALU_DEP_1) | instskip(SKIP_1) | instid1(VALU_DEP_1)
	v_fmac_f32_e32 v36, v39, v39
	v_fmac_f32_e32 v37, v40, v39
	v_add_f32_e32 v11, v11, v37
	s_and_not1_b32 exec_lo, exec_lo, s23
	s_cbranch_execnz .LBB38_31
; %bb.32:
	s_set_inst_prefetch_distance 0x2
	s_or_b32 exec_lo, exec_lo, s23
.LBB38_33:
	s_delay_alu instid0(SALU_CYCLE_1)
	s_or_b32 exec_lo, exec_lo, s6
	v_dual_mov_b32 v39, 0 :: v_dual_and_b32 v38, 0x7fffffff, v11
	v_mov_b32_e32 v40, 0
	s_and_saveexec_b32 s6, s2
	s_cbranch_execz .LBB38_37
; %bb.34:
	s_add_u32 s5, s10, s16
	v_add_co_u32 v11, vcc_lo, s18, v20
	v_lshlrev_b64 v[22:23], 2, v[8:9]
	s_addc_u32 s23, s11, s17
	s_add_u32 s24, s14, s12
	v_add_co_ci_u32_e32 v24, vcc_lo, s19, v21, vcc_lo
	s_addc_u32 s25, s15, s13
	v_add_co_u32 v25, vcc_lo, s24, v18
	v_add_co_ci_u32_e32 v39, vcc_lo, s25, v19, vcc_lo
	v_add_co_u32 v11, vcc_lo, v11, v22
	v_add_co_ci_u32_e32 v24, vcc_lo, v24, v23, vcc_lo
	s_delay_alu instid0(VALU_DEP_4) | instskip(NEXT) | instid1(VALU_DEP_4)
	v_add_co_u32 v25, vcc_lo, v25, v22
	v_add_co_ci_u32_e32 v39, vcc_lo, v39, v23, vcc_lo
	s_delay_alu instid0(VALU_DEP_4) | instskip(NEXT) | instid1(VALU_DEP_4)
	;; [unrolled: 3-line block ×3, first 2 shown]
	v_add_co_u32 v24, vcc_lo, s8, v25
	v_add_co_ci_u32_e32 v25, vcc_lo, s9, v39, vcc_lo
	v_dual_mov_b32 v39, 0 :: v_dual_mov_b32 v40, 0
	v_mov_b32_e32 v11, v8
	s_mov_b32 s23, 0
	s_set_inst_prefetch_distance 0x1
	.p2align	6
.LBB38_35:                              ; =>This Inner Loop Header: Depth=1
	global_load_b32 v41, v[22:23], off
	v_add_nc_u32_e32 v11, -1, v11
	s_waitcnt vmcnt(0)
	v_sub_f32_e32 v41, v41, v33
	global_store_b32 v[22:23], v41, off
	global_load_b32 v42, v[24:25], off
	v_add_co_u32 v22, s5, v22, -4
	s_delay_alu instid0(VALU_DEP_1) | instskip(SKIP_1) | instid1(VALU_DEP_1)
	v_add_co_ci_u32_e64 v23, s5, -1, v23, s5
	v_add_co_u32 v24, s5, v24, -4
	v_add_co_ci_u32_e64 v25, s5, -1, v25, s5
	s_waitcnt vmcnt(0)
	v_div_scale_f32 v43, null, v41, v41, v42
	v_div_scale_f32 v46, vcc_lo, v42, v41, v42
	s_delay_alu instid0(VALU_DEP_2) | instskip(SKIP_2) | instid1(VALU_DEP_1)
	v_rcp_f32_e32 v44, v43
	s_waitcnt_depctr 0xfff
	v_fma_f32 v45, -v43, v44, 1.0
	v_fmac_f32_e32 v44, v45, v44
	s_delay_alu instid0(VALU_DEP_1) | instskip(NEXT) | instid1(VALU_DEP_1)
	v_mul_f32_e32 v45, v46, v44
	v_fma_f32 v47, -v43, v45, v46
	s_delay_alu instid0(VALU_DEP_1) | instskip(NEXT) | instid1(VALU_DEP_1)
	v_fmac_f32_e32 v45, v47, v44
	v_fma_f32 v43, -v43, v45, v46
	s_delay_alu instid0(VALU_DEP_1) | instskip(SKIP_1) | instid1(VALU_DEP_2)
	v_div_fmas_f32 v43, v43, v44, v45
	v_cmp_le_i32_e32 vcc_lo, v11, v10
	v_div_fixup_f32 v41, v43, v41, v42
	s_or_b32 s23, vcc_lo, s23
	s_delay_alu instid0(VALU_DEP_1) | instskip(NEXT) | instid1(VALU_DEP_1)
	v_fmac_f32_e32 v40, v42, v41
	v_dual_fmac_f32 v39, v41, v41 :: v_dual_add_f32 v38, v38, v40
	s_and_not1_b32 exec_lo, exec_lo, s23
	s_cbranch_execnz .LBB38_35
; %bb.36:
	s_set_inst_prefetch_distance 0x2
	s_or_b32 exec_lo, exec_lo, s23
.LBB38_37:
	s_delay_alu instid0(SALU_CYCLE_1)
	s_or_b32 exec_lo, exec_lo, s6
	v_add_co_u32 v16, vcc_lo, v6, v16
	v_add_co_ci_u32_e32 v17, vcc_lo, v7, v17, vcc_lo
	s_mov_b32 s23, exec_lo
	global_load_b32 v24, v[14:15], off
	global_load_b32 v22, v[16:17], off
	v_add_f32_e32 v36, v36, v39
	s_waitcnt vmcnt(0)
	v_div_scale_f32 v11, null, v24, v24, v22
	v_div_scale_f32 v41, vcc_lo, v22, v24, v22
	s_delay_alu instid0(VALU_DEP_2) | instskip(SKIP_2) | instid1(VALU_DEP_1)
	v_rcp_f32_e32 v23, v11
	s_waitcnt_depctr 0xfff
	v_fma_f32 v25, -v11, v23, 1.0
	v_fmac_f32_e32 v23, v25, v23
	s_delay_alu instid0(VALU_DEP_1) | instskip(NEXT) | instid1(VALU_DEP_1)
	v_mul_f32_e32 v25, v41, v23
	v_fma_f32 v42, -v11, v25, v41
	s_delay_alu instid0(VALU_DEP_1) | instskip(NEXT) | instid1(VALU_DEP_1)
	v_fmac_f32_e32 v25, v42, v23
	v_fma_f32 v11, -v11, v25, v41
	s_delay_alu instid0(VALU_DEP_1) | instskip(SKIP_2) | instid1(VALU_DEP_3)
	v_div_fmas_f32 v11, v11, v23, v25
	v_sub_f32_e32 v23, v40, v37
	v_add_f32_e32 v37, v29, v37
	v_div_fixup_f32 v41, v11, v24, v22
	v_add_f32_e32 v11, v29, v29
	s_delay_alu instid0(VALU_DEP_3) | instskip(NEXT) | instid1(VALU_DEP_3)
	v_add_f32_e32 v37, v37, v40
	v_mul_f32_e32 v39, v22, v41
	s_delay_alu instid0(VALU_DEP_3) | instskip(SKIP_1) | instid1(VALU_DEP_4)
	v_fmamk_f32 v23, v23, 0x41000000, v11
	v_fma_f32 v25, v41, v41, v36
	v_fmac_f32_e32 v37, v22, v41
	s_delay_alu instid0(VALU_DEP_3) | instskip(NEXT) | instid1(VALU_DEP_1)
	v_fma_f32 v23, 0x40400000, |v39|, v23
	v_fma_f32 v23, |v33|, v25, v23
	s_delay_alu instid0(VALU_DEP_1) | instskip(NEXT) | instid1(VALU_DEP_1)
	v_add_f32_e32 v23, v38, v23
	v_mul_f32_e32 v22, s7, v23
	s_delay_alu instid0(VALU_DEP_1)
	v_cmpx_nle_f32_e64 |v37|, v22
	s_cbranch_execz .LBB38_117
; %bb.38:
	v_cndmask_b32_e64 v22, 4, 0, s0
	v_sub_f32_e32 v27, v27, v31
	s_mov_b32 s5, exec_lo
	s_delay_alu instid0(VALU_DEP_2) | instskip(SKIP_1) | instid1(VALU_DEP_3)
	v_add_co_u32 v22, vcc_lo, v12, v22
	v_add_co_ci_u32_e32 v23, vcc_lo, 0, v13, vcc_lo
	v_cndmask_b32_e64 v31, v28, v27, s0
	global_load_b32 v35, v[22:23], off
	global_load_b64 v[22:23], v[4:5], off
	s_waitcnt vmcnt(1)
	v_mul_f32_e32 v31, v31, v35
	s_waitcnt vmcnt(0)
	v_cndmask_b32_e64 v38, v23, v22, s0
	s_delay_alu instid0(VALU_DEP_2) | instskip(NEXT) | instid1(VALU_DEP_1)
	v_mul_f32_e32 v31, v35, v31
	v_div_scale_f32 v35, null, v38, v38, v31
	v_div_scale_f32 v41, vcc_lo, v31, v38, v31
	s_delay_alu instid0(VALU_DEP_2) | instskip(SKIP_2) | instid1(VALU_DEP_1)
	v_rcp_f32_e32 v39, v35
	s_waitcnt_depctr 0xfff
	v_fma_f32 v40, -v35, v39, 1.0
	v_fmac_f32_e32 v39, v40, v39
	s_delay_alu instid0(VALU_DEP_1) | instskip(NEXT) | instid1(VALU_DEP_1)
	v_mul_f32_e32 v40, v41, v39
	v_fma_f32 v42, -v35, v40, v41
	s_delay_alu instid0(VALU_DEP_1) | instskip(NEXT) | instid1(VALU_DEP_1)
	v_fmac_f32_e32 v40, v42, v39
	v_fma_f32 v35, -v35, v40, v41
	s_delay_alu instid0(VALU_DEP_1) | instskip(NEXT) | instid1(VALU_DEP_1)
	v_div_fmas_f32 v35, v35, v39, v40
	v_div_fixup_f32 v31, v35, v38, v31
	s_delay_alu instid0(VALU_DEP_1) | instskip(NEXT) | instid1(VALU_DEP_1)
	v_div_scale_f32 v35, null, v38, v38, v31
	v_rcp_f32_e32 v39, v35
	s_waitcnt_depctr 0xfff
	v_fma_f32 v40, -v35, v39, 1.0
	s_delay_alu instid0(VALU_DEP_1) | instskip(SKIP_1) | instid1(VALU_DEP_1)
	v_fmac_f32_e32 v39, v40, v39
	v_div_scale_f32 v40, vcc_lo, v31, v38, v31
	v_mul_f32_e32 v41, v40, v39
	s_delay_alu instid0(VALU_DEP_1) | instskip(NEXT) | instid1(VALU_DEP_1)
	v_fma_f32 v42, -v35, v41, v40
	v_fmac_f32_e32 v41, v42, v39
	s_delay_alu instid0(VALU_DEP_1) | instskip(SKIP_1) | instid1(VALU_DEP_2)
	v_fma_f32 v35, -v35, v41, v40
	v_cndmask_b32_e64 v40, v22, v23, s0
	v_div_fmas_f32 v35, v35, v39, v41
	v_mul_f32_e32 v41, v22, v23
	s_delay_alu instid0(VALU_DEP_3) | instskip(NEXT) | instid1(VALU_DEP_3)
	v_fma_f32 v39, -v25, v40, v37
	v_div_fixup_f32 v31, v35, v38, v31
	s_delay_alu instid0(VALU_DEP_3) | instskip(NEXT) | instid1(VALU_DEP_2)
	v_dual_add_f32 v35, v22, v23 :: v_dual_mul_f32 v38, v25, v41
	v_sub_f32_e32 v39, v39, v31
	v_mul_f32_e32 v31, v37, v41
	s_delay_alu instid0(VALU_DEP_3) | instskip(NEXT) | instid1(VALU_DEP_3)
	v_fma_f32 v35, v37, v35, -v38
                                        ; implicit-def: $vgpr38
	v_cmpx_neq_f32_e32 0, v39
	s_xor_b32 s6, exec_lo, s5
	s_cbranch_execz .LBB38_44
; %bb.39:
	v_mul_f32_e32 v22, -4.0, v31
	s_delay_alu instid0(VALU_DEP_1) | instskip(NEXT) | instid1(VALU_DEP_1)
	v_mul_f32_e32 v22, v22, v39
	v_fmac_f32_e32 v22, v35, v35
	s_delay_alu instid0(VALU_DEP_1) | instskip(SKIP_1) | instid1(VALU_DEP_1)
	v_mul_f32_e64 v23, 0x4f800000, |v22|
	v_cmp_gt_f32_e64 vcc_lo, 0xf800000, |v22|
	v_cndmask_b32_e64 v22, |v22|, v23, vcc_lo
	s_delay_alu instid0(VALU_DEP_1) | instskip(SKIP_3) | instid1(VALU_DEP_2)
	v_sqrt_f32_e32 v23, v22
	s_waitcnt_depctr 0xfff
	v_add_nc_u32_e32 v36, -1, v23
	v_add_nc_u32_e32 v38, 1, v23
	v_fma_f32 v40, -v36, v23, v22
	s_delay_alu instid0(VALU_DEP_2) | instskip(NEXT) | instid1(VALU_DEP_2)
	v_fma_f32 v41, -v38, v23, v22
	v_cmp_ge_f32_e64 s5, 0, v40
	s_delay_alu instid0(VALU_DEP_1) | instskip(NEXT) | instid1(VALU_DEP_3)
	v_cndmask_b32_e64 v23, v23, v36, s5
	v_cmp_lt_f32_e64 s5, 0, v41
	s_delay_alu instid0(VALU_DEP_1) | instskip(SKIP_1) | instid1(VALU_DEP_1)
	v_cndmask_b32_e64 v23, v23, v38, s5
	s_mov_b32 s5, exec_lo
                                        ; implicit-def: $vgpr38
	v_mul_f32_e32 v36, 0x37800000, v23
	s_delay_alu instid0(VALU_DEP_1) | instskip(SKIP_1) | instid1(VALU_DEP_2)
	v_cndmask_b32_e32 v23, v23, v36, vcc_lo
	v_cmp_class_f32_e64 vcc_lo, v22, 0x260
	v_cndmask_b32_e32 v22, v23, v22, vcc_lo
	v_cmpx_ge_f32_e32 0, v35
	s_xor_b32 s5, exec_lo, s5
	s_cbranch_execz .LBB38_41
; %bb.40:
	s_delay_alu instid0(VALU_DEP_2) | instskip(SKIP_1) | instid1(VALU_DEP_1)
	v_sub_f32_e32 v22, v35, v22
	v_add_f32_e32 v23, v39, v39
	v_div_scale_f32 v31, null, v23, v23, v22
	s_delay_alu instid0(VALU_DEP_1) | instskip(SKIP_2) | instid1(VALU_DEP_1)
	v_rcp_f32_e32 v35, v31
	s_waitcnt_depctr 0xfff
	v_fma_f32 v36, -v31, v35, 1.0
	v_fmac_f32_e32 v35, v36, v35
	v_div_scale_f32 v36, vcc_lo, v22, v23, v22
	s_delay_alu instid0(VALU_DEP_1) | instskip(NEXT) | instid1(VALU_DEP_1)
	v_mul_f32_e32 v38, v36, v35
	v_fma_f32 v39, -v31, v38, v36
	s_delay_alu instid0(VALU_DEP_1) | instskip(NEXT) | instid1(VALU_DEP_1)
	v_fmac_f32_e32 v38, v39, v35
	v_fma_f32 v31, -v31, v38, v36
	s_delay_alu instid0(VALU_DEP_1) | instskip(NEXT) | instid1(VALU_DEP_1)
	v_div_fmas_f32 v31, v31, v35, v38
                                        ; implicit-def: $vgpr35
	v_div_fixup_f32 v38, v31, v23, v22
                                        ; implicit-def: $vgpr31
                                        ; implicit-def: $vgpr22
.LBB38_41:
	s_and_not1_saveexec_b32 s5, s5
	s_cbranch_execz .LBB38_43
; %bb.42:
	v_add_f32_e32 v23, v31, v31
	v_add_f32_e32 v22, v35, v22
	s_delay_alu instid0(VALU_DEP_1) | instskip(NEXT) | instid1(VALU_DEP_1)
	v_div_scale_f32 v31, null, v22, v22, v23
	v_rcp_f32_e32 v35, v31
	s_waitcnt_depctr 0xfff
	v_fma_f32 v36, -v31, v35, 1.0
	s_delay_alu instid0(VALU_DEP_1) | instskip(SKIP_1) | instid1(VALU_DEP_1)
	v_fmac_f32_e32 v35, v36, v35
	v_div_scale_f32 v36, vcc_lo, v23, v22, v23
	v_mul_f32_e32 v38, v36, v35
	s_delay_alu instid0(VALU_DEP_1) | instskip(NEXT) | instid1(VALU_DEP_1)
	v_fma_f32 v39, -v31, v38, v36
	v_fmac_f32_e32 v38, v39, v35
	s_delay_alu instid0(VALU_DEP_1) | instskip(NEXT) | instid1(VALU_DEP_1)
	v_fma_f32 v31, -v31, v38, v36
	v_div_fmas_f32 v31, v31, v35, v38
	s_delay_alu instid0(VALU_DEP_1)
	v_div_fixup_f32 v38, v31, v22, v23
.LBB38_43:
	s_or_b32 exec_lo, exec_lo, s5
                                        ; implicit-def: $vgpr35
                                        ; implicit-def: $vgpr31
                                        ; implicit-def: $vgpr22_vgpr23
                                        ; implicit-def: $vgpr36
.LBB38_44:
	s_and_not1_saveexec_b32 s5, s6
	s_cbranch_execz .LBB38_52
; %bb.45:
	s_mov_b32 s6, exec_lo
	v_cmpx_eq_f32_e32 0, v35
	s_cbranch_execz .LBB38_51
; %bb.46:
                                        ; implicit-def: $vgpr35
	s_and_saveexec_b32 s24, s1
	s_delay_alu instid0(SALU_CYCLE_1)
	s_xor_b32 s24, exec_lo, s24
	s_cbranch_execz .LBB38_48
; %bb.47:
	global_load_b32 v23, v[12:13], off offset:4
	s_waitcnt vmcnt(0)
	v_dual_mul_f32 v22, v22, v22 :: v_dual_mul_f32 v35, v23, v23
	s_delay_alu instid0(VALU_DEP_1)
	v_fmac_f32_e32 v35, v36, v22
                                        ; implicit-def: $vgpr22_vgpr23
                                        ; implicit-def: $vgpr36
.LBB38_48:
	s_and_not1_saveexec_b32 s24, s24
	s_cbranch_execz .LBB38_50
; %bb.49:
	global_load_b32 v22, v[12:13], off
	s_waitcnt vmcnt(0)
	v_dual_mul_f32 v35, v22, v22 :: v_dual_mul_f32 v22, v23, v23
	s_delay_alu instid0(VALU_DEP_1)
	v_fmac_f32_e32 v35, v36, v22
.LBB38_50:
	s_or_b32 exec_lo, exec_lo, s24
.LBB38_51:
	s_delay_alu instid0(SALU_CYCLE_1) | instskip(NEXT) | instid1(VALU_DEP_1)
	s_or_b32 exec_lo, exec_lo, s6
	v_div_scale_f32 v22, null, v35, v35, v31
	s_delay_alu instid0(VALU_DEP_1) | instskip(SKIP_2) | instid1(VALU_DEP_1)
	v_rcp_f32_e32 v23, v22
	s_waitcnt_depctr 0xfff
	v_fma_f32 v36, -v22, v23, 1.0
	v_fmac_f32_e32 v23, v36, v23
	v_div_scale_f32 v36, vcc_lo, v31, v35, v31
	s_delay_alu instid0(VALU_DEP_1) | instskip(NEXT) | instid1(VALU_DEP_1)
	v_mul_f32_e32 v38, v36, v23
	v_fma_f32 v39, -v22, v38, v36
	s_delay_alu instid0(VALU_DEP_1) | instskip(NEXT) | instid1(VALU_DEP_1)
	v_fmac_f32_e32 v38, v39, v23
	v_fma_f32 v22, -v22, v38, v36
	s_delay_alu instid0(VALU_DEP_1) | instskip(NEXT) | instid1(VALU_DEP_1)
	v_div_fmas_f32 v22, v22, v23, v38
	v_div_fixup_f32 v38, v22, v35, v31
.LBB38_52:
	s_or_b32 exec_lo, exec_lo, s5
	s_delay_alu instid0(VALU_DEP_1) | instskip(SKIP_1) | instid1(VALU_DEP_1)
	v_mul_f32_e32 v22, v37, v38
	s_mov_b32 s5, exec_lo
	v_cmpx_le_f32_e32 0, v22
; %bb.53:
	v_div_scale_f32 v22, null, v25, v25, -v37
	s_delay_alu instid0(VALU_DEP_1) | instskip(SKIP_2) | instid1(VALU_DEP_1)
	v_rcp_f32_e32 v23, v22
	s_waitcnt_depctr 0xfff
	v_fma_f32 v31, -v22, v23, 1.0
	v_fmac_f32_e32 v23, v31, v23
	v_div_scale_f32 v31, vcc_lo, -v37, v25, -v37
	s_delay_alu instid0(VALU_DEP_1) | instskip(NEXT) | instid1(VALU_DEP_1)
	v_mul_f32_e32 v35, v31, v23
	v_fma_f32 v36, -v22, v35, v31
	s_delay_alu instid0(VALU_DEP_1) | instskip(NEXT) | instid1(VALU_DEP_1)
	v_fmac_f32_e32 v35, v36, v23
	v_fma_f32 v22, -v22, v35, v31
	s_delay_alu instid0(VALU_DEP_1) | instskip(NEXT) | instid1(VALU_DEP_1)
	v_div_fmas_f32 v22, v22, v23, v35
	v_div_fixup_f32 v38, v22, v25, -v37
; %bb.54:
	s_or_b32 exec_lo, exec_lo, s5
	v_cmp_lt_f32_e32 vcc_lo, 0, v37
	v_cmp_lt_f32_e64 s5, v33, v34
	v_cmp_lt_f32_e64 s6, v32, v33
	s_delay_alu instid0(VALU_DEP_2) | instskip(NEXT) | instid1(VALU_DEP_1)
	s_and_b32 vcc_lo, vcc_lo, s5
	v_cndmask_b32_e64 v22, v32, v33, s6
	v_cndmask_b32_e32 v31, v34, v33, vcc_lo
	v_cmp_nge_f32_e32 vcc_lo, 0, v37
	s_delay_alu instid0(VALU_DEP_3) | instskip(NEXT) | instid1(VALU_DEP_1)
	v_dual_add_f32 v23, v33, v38 :: v_dual_cndmask_b32 v32, v22, v32
	v_cmp_gt_f32_e32 vcc_lo, v23, v31
	s_delay_alu instid0(VALU_DEP_2) | instskip(NEXT) | instid1(VALU_DEP_1)
	v_cmp_lt_f32_e64 s5, v23, v32
	s_or_b32 s6, vcc_lo, s5
	s_delay_alu instid0(SALU_CYCLE_1)
	s_and_saveexec_b32 s5, s6
	s_cbranch_execz .LBB38_60
; %bb.55:
	s_mov_b32 s6, exec_lo
                                        ; implicit-def: $vgpr38
	v_cmpx_ngt_f32_e32 0, v37
	s_xor_b32 s6, exec_lo, s6
; %bb.56:
	v_sub_f32_e32 v22, v32, v33
	s_delay_alu instid0(VALU_DEP_1)
	v_mul_f32_e32 v38, 0.5, v22
; %bb.57:
	s_and_not1_saveexec_b32 s6, s6
; %bb.58:
	v_sub_f32_e32 v22, v31, v33
	s_delay_alu instid0(VALU_DEP_1)
	v_mul_f32_e32 v38, 0.5, v22
; %bb.59:
	s_or_b32 exec_lo, exec_lo, s6
.LBB38_60:
	s_delay_alu instid0(SALU_CYCLE_1) | instskip(NEXT) | instid1(VALU_DEP_1)
	s_or_b32 exec_lo, exec_lo, s5
	v_dual_sub_f32 v22, v24, v38 :: v_dual_mov_b32 v35, 0
	v_dual_mov_b32 v34, 0 :: v_dual_mov_b32 v39, 0
	s_mov_b32 s24, 0
	global_store_b32 v[14:15], v22, off
	s_and_saveexec_b32 s6, s3
	s_cbranch_execz .LBB38_64
; %bb.61:
	v_dual_mov_b32 v34, 0 :: v_dual_mov_b32 v23, v7
	v_dual_mov_b32 v22, v6 :: v_dual_mov_b32 v25, v3
	v_dual_mov_b32 v24, v2 :: v_dual_mov_b32 v35, 0
	v_dual_mov_b32 v36, v10 :: v_dual_mov_b32 v39, 0
	s_set_inst_prefetch_distance 0x1
	.p2align	6
.LBB38_62:                              ; =>This Inner Loop Header: Depth=1
	global_load_b32 v40, v[24:25], off
	v_add_nc_u32_e32 v36, -1, v36
	s_waitcnt vmcnt(0)
	v_sub_f32_e32 v40, v40, v38
	global_store_b32 v[24:25], v40, off
	global_load_b32 v41, v[22:23], off
	v_add_co_u32 v24, s5, v24, 4
	s_delay_alu instid0(VALU_DEP_1) | instskip(SKIP_1) | instid1(VALU_DEP_1)
	v_add_co_ci_u32_e64 v25, s5, 0, v25, s5
	v_add_co_u32 v22, s5, v22, 4
	v_add_co_ci_u32_e64 v23, s5, 0, v23, s5
	s_waitcnt vmcnt(0)
	v_div_scale_f32 v42, null, v40, v40, v41
	v_div_scale_f32 v45, vcc_lo, v41, v40, v41
	s_delay_alu instid0(VALU_DEP_2) | instskip(SKIP_2) | instid1(VALU_DEP_1)
	v_rcp_f32_e32 v43, v42
	s_waitcnt_depctr 0xfff
	v_fma_f32 v44, -v42, v43, 1.0
	v_fmac_f32_e32 v43, v44, v43
	s_delay_alu instid0(VALU_DEP_1) | instskip(NEXT) | instid1(VALU_DEP_1)
	v_mul_f32_e32 v44, v45, v43
	v_fma_f32 v46, -v42, v44, v45
	s_delay_alu instid0(VALU_DEP_1) | instskip(NEXT) | instid1(VALU_DEP_1)
	v_fmac_f32_e32 v44, v46, v43
	v_fma_f32 v42, -v42, v44, v45
	s_delay_alu instid0(VALU_DEP_1) | instskip(SKIP_1) | instid1(VALU_DEP_2)
	v_div_fmas_f32 v42, v42, v43, v44
	v_cmp_eq_u32_e32 vcc_lo, 0, v36
	v_div_fixup_f32 v40, v42, v40, v41
	s_or_b32 s24, vcc_lo, s24
	s_delay_alu instid0(VALU_DEP_1) | instskip(NEXT) | instid1(VALU_DEP_1)
	v_fmac_f32_e32 v39, v41, v40
	v_dual_fmac_f32 v34, v40, v40 :: v_dual_add_f32 v35, v35, v39
	s_and_not1_b32 exec_lo, exec_lo, s24
	s_cbranch_execnz .LBB38_62
; %bb.63:
	s_set_inst_prefetch_distance 0x2
	s_or_b32 exec_lo, exec_lo, s24
.LBB38_64:
	s_delay_alu instid0(SALU_CYCLE_1) | instskip(SKIP_2) | instid1(SALU_CYCLE_1)
	s_or_b32 exec_lo, exec_lo, s6
	v_and_b32_e32 v40, 0x7fffffff, v35
                                        ; implicit-def: $sgpr6
                                        ; implicit-def: $vgpr24_vgpr25
                                        ; implicit-def: $vgpr22_vgpr23
	s_and_saveexec_b32 s5, s4
	s_xor_b32 s4, exec_lo, s5
	s_cbranch_execz .LBB38_66
; %bb.65:
	v_lshlrev_b64 v[22:23], 2, v[8:9]
	v_add_co_u32 v9, vcc_lo, s18, v20
	v_add_co_ci_u32_e32 v20, vcc_lo, s19, v21, vcc_lo
	s_add_u32 s5, s14, s12
	s_delay_alu instid0(VALU_DEP_2) | instskip(NEXT) | instid1(VALU_DEP_2)
	v_add_co_u32 v9, vcc_lo, v9, v22
	v_add_co_ci_u32_e32 v20, vcc_lo, v20, v23, vcc_lo
	s_addc_u32 s6, s15, s13
	v_add_co_u32 v18, vcc_lo, s5, v18
	v_add_co_ci_u32_e32 v19, vcc_lo, s6, v19, vcc_lo
	v_add_co_u32 v24, vcc_lo, v9, s16
	v_add_co_ci_u32_e32 v25, vcc_lo, s17, v20, vcc_lo
	s_delay_alu instid0(VALU_DEP_4) | instskip(NEXT) | instid1(VALU_DEP_4)
	v_add_co_u32 v22, vcc_lo, v18, v22
	v_add_co_ci_u32_e32 v23, vcc_lo, v19, v23, vcc_lo
	s_mov_b32 s6, 0
                                        ; implicit-def: $vgpr20_vgpr21
                                        ; implicit-def: $vgpr18_vgpr19
.LBB38_66:
	s_or_saveexec_b32 s5, s4
	v_dual_mov_b32 v36, s6 :: v_dual_mov_b32 v41, s6
	s_xor_b32 exec_lo, exec_lo, s5
	s_cbranch_execz .LBB38_70
; %bb.67:
	v_lshlrev_b64 v[22:23], 2, v[8:9]
	v_add_co_u32 v9, vcc_lo, s18, v20
	v_add_co_ci_u32_e32 v20, vcc_lo, s19, v21, vcc_lo
	s_add_u32 s4, s14, s12
	s_delay_alu instid0(VALU_DEP_2) | instskip(NEXT) | instid1(VALU_DEP_2)
	v_add_co_u32 v9, vcc_lo, v9, v22
	v_add_co_ci_u32_e32 v20, vcc_lo, v20, v23, vcc_lo
	s_addc_u32 s6, s15, s13
	v_add_co_u32 v18, vcc_lo, s4, v18
	v_add_co_ci_u32_e32 v19, vcc_lo, s6, v19, vcc_lo
	v_add_co_u32 v24, vcc_lo, v9, s16
	v_add_co_ci_u32_e32 v25, vcc_lo, s17, v20, vcc_lo
	s_delay_alu instid0(VALU_DEP_4) | instskip(NEXT) | instid1(VALU_DEP_4)
	v_add_co_u32 v22, vcc_lo, v18, v22
	v_add_co_ci_u32_e32 v23, vcc_lo, v19, v23, vcc_lo
	s_delay_alu instid0(VALU_DEP_4) | instskip(NEXT) | instid1(VALU_DEP_4)
	;; [unrolled: 3-line block ×3, first 2 shown]
	v_add_co_u32 v20, vcc_lo, s8, v22
	v_add_co_ci_u32_e32 v21, vcc_lo, s9, v23, vcc_lo
	v_dual_mov_b32 v36, 0 :: v_dual_mov_b32 v9, v8
	v_mov_b32_e32 v41, 0
	s_mov_b32 s6, 0
	s_set_inst_prefetch_distance 0x1
	.p2align	6
.LBB38_68:                              ; =>This Inner Loop Header: Depth=1
	global_load_b32 v35, v[18:19], off
	v_add_nc_u32_e32 v9, -1, v9
	s_waitcnt vmcnt(0)
	v_sub_f32_e32 v35, v35, v38
	global_store_b32 v[18:19], v35, off
	global_load_b32 v42, v[20:21], off
	v_add_co_u32 v18, s4, v18, -4
	s_delay_alu instid0(VALU_DEP_1) | instskip(SKIP_1) | instid1(VALU_DEP_1)
	v_add_co_ci_u32_e64 v19, s4, -1, v19, s4
	v_add_co_u32 v20, s4, v20, -4
	v_add_co_ci_u32_e64 v21, s4, -1, v21, s4
	s_waitcnt vmcnt(0)
	v_div_scale_f32 v43, null, v35, v35, v42
	s_delay_alu instid0(VALU_DEP_1) | instskip(SKIP_2) | instid1(VALU_DEP_1)
	v_rcp_f32_e32 v44, v43
	s_waitcnt_depctr 0xfff
	v_fma_f32 v45, -v43, v44, 1.0
	v_fmac_f32_e32 v44, v45, v44
	v_div_scale_f32 v46, vcc_lo, v42, v35, v42
	s_delay_alu instid0(VALU_DEP_1) | instskip(NEXT) | instid1(VALU_DEP_1)
	v_mul_f32_e32 v45, v46, v44
	v_fma_f32 v47, -v43, v45, v46
	s_delay_alu instid0(VALU_DEP_1) | instskip(NEXT) | instid1(VALU_DEP_1)
	v_fmac_f32_e32 v45, v47, v44
	v_fma_f32 v43, -v43, v45, v46
	s_delay_alu instid0(VALU_DEP_1) | instskip(SKIP_1) | instid1(VALU_DEP_2)
	v_div_fmas_f32 v43, v43, v44, v45
	v_cmp_le_i32_e32 vcc_lo, v9, v10
	v_div_fixup_f32 v35, v43, v35, v42
	s_or_b32 s6, vcc_lo, s6
	s_delay_alu instid0(VALU_DEP_1) | instskip(SKIP_1) | instid1(VALU_DEP_2)
	v_fmac_f32_e32 v41, v42, v35
	v_fmac_f32_e32 v36, v35, v35
	v_add_f32_e32 v40, v40, v41
	s_and_not1_b32 exec_lo, exec_lo, s6
	s_cbranch_execnz .LBB38_68
; %bb.69:
	s_set_inst_prefetch_distance 0x2
	s_or_b32 exec_lo, exec_lo, s6
.LBB38_70:
	s_delay_alu instid0(SALU_CYCLE_1)
	s_or_b32 exec_lo, exec_lo, s5
	global_load_b32 v18, v[16:17], off
	global_load_b32 v35, v[14:15], off
	s_mov_b32 s6, 0
	s_waitcnt vmcnt(0)
	v_div_scale_f32 v9, null, v35, v35, v18
	v_div_scale_f32 v44, vcc_lo, v18, v35, v18
	s_delay_alu instid0(VALU_DEP_2) | instskip(SKIP_2) | instid1(VALU_DEP_1)
	v_rcp_f32_e32 v19, v9
	s_waitcnt_depctr 0xfff
	v_fma_f32 v42, -v9, v19, 1.0
	v_dual_fmac_f32 v19, v42, v19 :: v_dual_and_b32 v20, 0x7fffffff, v37
	s_delay_alu instid0(VALU_DEP_1) | instskip(SKIP_1) | instid1(VALU_DEP_3)
	v_div_scale_f32 v21, null, 0x41200000, 0x41200000, v20
	v_div_scale_f32 v20, s4, v20, 0x41200000, v20
	v_mul_f32_e32 v42, v44, v19
	s_delay_alu instid0(VALU_DEP_3) | instskip(NEXT) | instid1(VALU_DEP_1)
	v_rcp_f32_e32 v43, v21
	v_fma_f32 v46, -v9, v42, v44
	s_delay_alu instid0(VALU_DEP_1) | instskip(SKIP_3) | instid1(VALU_DEP_2)
	v_fmac_f32_e32 v42, v46, v19
	s_waitcnt_depctr 0xfff
	v_fma_f32 v45, -v21, v43, 1.0
	v_fma_f32 v9, -v9, v42, v44
	v_fmac_f32_e32 v43, v45, v43
	s_delay_alu instid0(VALU_DEP_2) | instskip(SKIP_2) | instid1(VALU_DEP_4)
	v_div_fmas_f32 v19, v9, v19, v42
	v_dual_add_f32 v9, v33, v38 :: v_dual_add_f32 v38, v34, v36
	v_sub_f32_e32 v42, v41, v39
	v_mul_f32_e32 v45, v20, v43
	v_add_f32_e32 v33, v29, v39
	v_div_fixup_f32 v39, v19, v35, v18
	s_mov_b32 vcc_lo, s4
	s_delay_alu instid0(VALU_DEP_3) | instskip(NEXT) | instid1(VALU_DEP_2)
	v_fma_f32 v44, -v21, v45, v20
	v_dual_add_f32 v33, v33, v41 :: v_dual_fmac_f32 v38, v39, v39
	s_delay_alu instid0(VALU_DEP_2) | instskip(NEXT) | instid1(VALU_DEP_2)
	v_fmac_f32_e32 v45, v44, v43
	v_fmac_f32_e32 v33, v18, v39
	s_delay_alu instid0(VALU_DEP_2) | instskip(SKIP_2) | instid1(VALU_DEP_3)
	v_fma_f32 v19, -v21, v45, v20
	v_fmamk_f32 v20, v42, 0x41000000, v11
	v_mul_f32_e32 v21, v18, v39
	v_div_fmas_f32 v19, v19, v43, v45
	s_delay_alu instid0(VALU_DEP_2) | instskip(SKIP_1) | instid1(VALU_DEP_3)
	v_fma_f32 v18, 0x40400000, |v21|, v20
	v_cndmask_b32_e64 v21, v33, -v33, s0
	v_div_fixup_f32 v20, v19, 0x41200000, |v37|
	s_delay_alu instid0(VALU_DEP_3) | instskip(SKIP_2) | instid1(VALU_DEP_3)
	v_fma_f32 v37, |v9|, v38, v18
	v_add_co_u32 v18, vcc_lo, s10, v24
	v_add_co_ci_u32_e32 v19, vcc_lo, s11, v25, vcc_lo
	v_add_f32_e32 v24, v40, v37
	v_cmp_gt_f32_e64 s10, v21, v20
	v_add_co_u32 v20, vcc_lo, s8, v22
	v_add_co_ci_u32_e32 v21, vcc_lo, s9, v23, vcc_lo
	s_mov_b32 s8, 1
                                        ; implicit-def: $sgpr9
                                        ; implicit-def: $sgpr11
	s_branch .LBB38_73
.LBB38_71:                              ;   in Loop: Header=BB38_73 Depth=1
	s_or_b32 exec_lo, exec_lo, s5
	global_load_b32 v22, v[16:17], off
	global_load_b32 v35, v[14:15], off
	v_and_b32_e32 v24, 0x7fffffff, v33
	v_add_f32_e32 v9, v9, v37
	s_add_i32 s8, s8, 1
	s_delay_alu instid0(VALU_DEP_2) | instskip(SKIP_1) | instid1(VALU_DEP_2)
	v_div_scale_f32 v39, null, 0x41200000, 0x41200000, v24
	v_div_scale_f32 v24, s4, v24, 0x41200000, v24
	v_rcp_f32_e32 v42, v39
	s_waitcnt vmcnt(0)
	v_div_scale_f32 v23, null, v35, v35, v22
	v_div_scale_f32 v44, vcc_lo, v22, v35, v22
	s_delay_alu instid0(VALU_DEP_2) | instskip(SKIP_2) | instid1(VALU_DEP_1)
	v_rcp_f32_e32 v25, v23
	s_waitcnt_depctr 0xfff
	v_fma_f32 v43, -v23, v25, 1.0
	v_fmac_f32_e32 v25, v43, v25
	v_fma_f32 v43, -v39, v42, 1.0
	s_delay_alu instid0(VALU_DEP_1) | instskip(NEXT) | instid1(VALU_DEP_1)
	v_fmac_f32_e32 v42, v43, v42
	v_mul_f32_e32 v46, v24, v42
	s_delay_alu instid0(VALU_DEP_4) | instskip(NEXT) | instid1(VALU_DEP_1)
	v_mul_f32_e32 v45, v44, v25
	v_fma_f32 v43, -v23, v45, v44
	s_delay_alu instid0(VALU_DEP_1) | instskip(NEXT) | instid1(VALU_DEP_4)
	v_fmac_f32_e32 v45, v43, v25
	v_fma_f32 v43, -v39, v46, v24
	s_delay_alu instid0(VALU_DEP_2) | instskip(SKIP_1) | instid1(VALU_DEP_2)
	v_fma_f32 v23, -v23, v45, v44
	v_add_f32_e32 v44, v29, v38
	v_div_fmas_f32 v23, v23, v25, v45
	s_delay_alu instid0(VALU_DEP_2) | instskip(SKIP_1) | instid1(VALU_DEP_1)
	v_dual_add_f32 v25, v44, v41 :: v_dual_fmac_f32 v46, v43, v42
	s_mov_b32 vcc_lo, s4
	v_fma_f32 v24, -v39, v46, v24
	s_delay_alu instid0(VALU_DEP_3) | instskip(SKIP_1) | instid1(VALU_DEP_2)
	v_div_fixup_f32 v39, v23, v35, v22
	v_dual_sub_f32 v23, v41, v38 :: v_dual_add_f32 v38, v34, v36
	v_fmac_f32_e32 v25, v22, v39
	s_delay_alu instid0(VALU_DEP_4) | instskip(NEXT) | instid1(VALU_DEP_3)
	v_div_fmas_f32 v24, v24, v42, v46
	v_dual_fmamk_f32 v23, v23, 0x41000000, v11 :: v_dual_mul_f32 v22, v22, v39
	s_delay_alu instid0(VALU_DEP_4) | instskip(NEXT) | instid1(VALU_DEP_3)
	v_fmac_f32_e32 v38, v39, v39
	v_div_fixup_f32 v24, v24, 0x41200000, |v33|
	v_mul_f32_e32 v33, v33, v25
	s_delay_alu instid0(VALU_DEP_4) | instskip(NEXT) | instid1(VALU_DEP_3)
	v_fma_f32 v22, 0x40400000, |v22|, v23
	v_cmp_gt_f32_e64 s4, |v25|, v24
	s_delay_alu instid0(VALU_DEP_3) | instskip(NEXT) | instid1(VALU_DEP_3)
	v_cmp_lt_f32_e32 vcc_lo, 0, v33
	v_fma_f32 v22, |v9|, v38, v22
	v_mov_b32_e32 v33, v25
	s_delay_alu instid0(VALU_DEP_4) | instskip(NEXT) | instid1(VALU_DEP_2)
	s_and_b32 s4, vcc_lo, s4
	v_add_f32_e32 v24, v40, v22
	s_xor_b32 s4, s10, s4
	s_cmp_eq_u32 s8, 50
	s_cselect_b32 s5, -1, 0
	s_and_not1_b32 s10, s11, exec_lo
	s_and_b32 s4, s4, exec_lo
	s_and_not1_b32 s9, s9, exec_lo
	s_and_b32 s5, s5, exec_lo
	s_or_b32 s11, s10, s4
	s_or_b32 s9, s9, s5
                                        ; implicit-def: $sgpr10
.LBB38_72:                              ;   in Loop: Header=BB38_73 Depth=1
	s_or_b32 exec_lo, exec_lo, s12
	s_delay_alu instid0(SALU_CYCLE_1) | instskip(NEXT) | instid1(SALU_CYCLE_1)
	s_and_b32 s4, exec_lo, s9
	s_or_b32 s6, s4, s6
	s_and_not1_b32 s4, s10, exec_lo
	s_and_b32 s5, s11, exec_lo
	s_delay_alu instid0(SALU_CYCLE_1)
	s_or_b32 s10, s4, s5
	s_and_not1_b32 exec_lo, exec_lo, s6
	s_cbranch_execz .LBB38_116
.LBB38_73:                              ; =>This Loop Header: Depth=1
                                        ;     Child Loop BB38_110 Depth 2
                                        ;     Child Loop BB38_114 Depth 2
	v_mul_f32_e32 v22, s7, v24
	s_and_not1_b32 s11, s11, exec_lo
	s_or_b32 s9, s9, exec_lo
	s_mov_b32 s12, exec_lo
                                        ; implicit-def: $vgpr24
	s_delay_alu instid0(VALU_DEP_1)
	v_cmpx_nle_f32_e64 |v33|, v22
	s_cbranch_execz .LBB38_72
; %bb.74:                               ;   in Loop: Header=BB38_73 Depth=1
	global_load_b64 v[22:23], v[4:5], off
	s_xor_b32 s5, s10, -1
                                        ; implicit-def: $vgpr40
	s_delay_alu instid0(SALU_CYCLE_1) | instskip(NEXT) | instid1(SALU_CYCLE_1)
	s_and_saveexec_b32 s4, s5
	s_xor_b32 s4, exec_lo, s4
	s_cbranch_execz .LBB38_76
; %bb.75:                               ;   in Loop: Header=BB38_73 Depth=1
	v_fma_f32 v24, v39, v39, v34
	v_fma_f32 v25, v39, v39, v36
	s_delay_alu instid0(VALU_DEP_2) | instskip(NEXT) | instid1(VALU_DEP_2)
	v_cndmask_b32_e64 v34, v34, v24, s0
	v_cndmask_b32_e64 v36, v25, v36, s0
	s_waitcnt vmcnt(0)
	s_delay_alu instid0(VALU_DEP_2) | instskip(NEXT) | instid1(VALU_DEP_1)
	v_fma_f32 v24, -v34, v22, v33
	v_fma_f32 v40, -v36, v23, v24
.LBB38_76:                              ;   in Loop: Header=BB38_73 Depth=1
	s_and_not1_saveexec_b32 s4, s4
	s_cbranch_execz .LBB38_82
; %bb.77:                               ;   in Loop: Header=BB38_73 Depth=1
                                        ; implicit-def: $vgpr40
	s_and_saveexec_b32 s13, s1
	s_delay_alu instid0(SALU_CYCLE_1)
	s_xor_b32 s13, exec_lo, s13
	s_cbranch_execz .LBB38_79
; %bb.78:                               ;   in Loop: Header=BB38_73 Depth=1
	global_load_b32 v24, v[12:13], off offset:4
	s_waitcnt vmcnt(0)
	v_mul_f32_e32 v25, v28, v24
	s_delay_alu instid0(VALU_DEP_1) | instskip(NEXT) | instid1(VALU_DEP_1)
	v_mul_f32_e32 v24, v24, v25
	v_div_scale_f32 v25, null, v23, v23, v24
	v_div_scale_f32 v40, vcc_lo, v24, v23, v24
	s_delay_alu instid0(VALU_DEP_2) | instskip(SKIP_2) | instid1(VALU_DEP_1)
	v_rcp_f32_e32 v37, v25
	s_waitcnt_depctr 0xfff
	v_fma_f32 v39, -v25, v37, 1.0
	v_fmac_f32_e32 v37, v39, v37
	s_delay_alu instid0(VALU_DEP_1) | instskip(NEXT) | instid1(VALU_DEP_1)
	v_mul_f32_e32 v39, v40, v37
	v_fma_f32 v41, -v25, v39, v40
	s_delay_alu instid0(VALU_DEP_1) | instskip(NEXT) | instid1(VALU_DEP_1)
	v_fmac_f32_e32 v39, v41, v37
	v_fma_f32 v25, -v25, v39, v40
	s_delay_alu instid0(VALU_DEP_1) | instskip(NEXT) | instid1(VALU_DEP_1)
	v_div_fmas_f32 v25, v25, v37, v39
	v_div_fixup_f32 v24, v25, v23, v24
	s_delay_alu instid0(VALU_DEP_1) | instskip(NEXT) | instid1(VALU_DEP_1)
	v_div_scale_f32 v25, null, v23, v23, v24
	v_rcp_f32_e32 v37, v25
	s_waitcnt_depctr 0xfff
	v_fma_f32 v39, -v25, v37, 1.0
	s_delay_alu instid0(VALU_DEP_1) | instskip(SKIP_1) | instid1(VALU_DEP_1)
	v_fmac_f32_e32 v37, v39, v37
	v_div_scale_f32 v39, vcc_lo, v24, v23, v24
	v_mul_f32_e32 v40, v39, v37
	s_delay_alu instid0(VALU_DEP_1) | instskip(NEXT) | instid1(VALU_DEP_1)
	v_fma_f32 v41, -v25, v40, v39
	v_fmac_f32_e32 v40, v41, v37
	s_delay_alu instid0(VALU_DEP_1) | instskip(NEXT) | instid1(VALU_DEP_1)
	v_fma_f32 v25, -v25, v40, v39
	v_div_fmas_f32 v25, v25, v37, v40
	v_fma_f32 v37, -v38, v22, v33
	s_delay_alu instid0(VALU_DEP_2) | instskip(NEXT) | instid1(VALU_DEP_1)
	v_div_fixup_f32 v24, v25, v23, v24
	v_sub_f32_e32 v40, v37, v24
.LBB38_79:                              ;   in Loop: Header=BB38_73 Depth=1
	s_and_not1_saveexec_b32 s13, s13
	s_cbranch_execz .LBB38_81
; %bb.80:                               ;   in Loop: Header=BB38_73 Depth=1
	global_load_b32 v24, v[12:13], off
	s_waitcnt vmcnt(0)
	v_mul_f32_e32 v25, v27, v24
	s_delay_alu instid0(VALU_DEP_1) | instskip(NEXT) | instid1(VALU_DEP_1)
	v_mul_f32_e32 v24, v24, v25
	v_div_scale_f32 v25, null, v22, v22, v24
	v_div_scale_f32 v40, vcc_lo, v24, v22, v24
	s_delay_alu instid0(VALU_DEP_2) | instskip(SKIP_2) | instid1(VALU_DEP_1)
	v_rcp_f32_e32 v37, v25
	s_waitcnt_depctr 0xfff
	v_fma_f32 v39, -v25, v37, 1.0
	v_fmac_f32_e32 v37, v39, v37
	s_delay_alu instid0(VALU_DEP_1) | instskip(NEXT) | instid1(VALU_DEP_1)
	v_mul_f32_e32 v39, v40, v37
	v_fma_f32 v41, -v25, v39, v40
	s_delay_alu instid0(VALU_DEP_1) | instskip(NEXT) | instid1(VALU_DEP_1)
	v_fmac_f32_e32 v39, v41, v37
	v_fma_f32 v25, -v25, v39, v40
	s_delay_alu instid0(VALU_DEP_1) | instskip(NEXT) | instid1(VALU_DEP_1)
	v_div_fmas_f32 v25, v25, v37, v39
	v_div_fixup_f32 v24, v25, v22, v24
	s_delay_alu instid0(VALU_DEP_1) | instskip(NEXT) | instid1(VALU_DEP_1)
	v_div_scale_f32 v25, null, v22, v22, v24
	v_rcp_f32_e32 v37, v25
	s_waitcnt_depctr 0xfff
	v_fma_f32 v39, -v25, v37, 1.0
	s_delay_alu instid0(VALU_DEP_1) | instskip(SKIP_1) | instid1(VALU_DEP_1)
	v_fmac_f32_e32 v37, v39, v37
	v_div_scale_f32 v39, vcc_lo, v24, v22, v24
	v_mul_f32_e32 v40, v39, v37
	s_delay_alu instid0(VALU_DEP_1) | instskip(NEXT) | instid1(VALU_DEP_1)
	v_fma_f32 v41, -v25, v40, v39
	v_fmac_f32_e32 v40, v41, v37
	s_delay_alu instid0(VALU_DEP_1) | instskip(NEXT) | instid1(VALU_DEP_1)
	v_fma_f32 v25, -v25, v40, v39
	v_div_fmas_f32 v25, v25, v37, v40
	v_fma_f32 v37, -v38, v23, v33
	s_delay_alu instid0(VALU_DEP_2) | instskip(NEXT) | instid1(VALU_DEP_1)
	v_div_fixup_f32 v24, v25, v22, v24
	v_sub_f32_e32 v40, v37, v24
.LBB38_81:                              ;   in Loop: Header=BB38_73 Depth=1
	s_or_b32 exec_lo, exec_lo, s13
.LBB38_82:                              ;   in Loop: Header=BB38_73 Depth=1
	s_delay_alu instid0(SALU_CYCLE_1) | instskip(SKIP_4) | instid1(VALU_DEP_2)
	s_or_b32 exec_lo, exec_lo, s4
	s_waitcnt vmcnt(0)
	v_mul_f32_e32 v24, v22, v23
	v_add_f32_e32 v25, v22, v23
	s_mov_b32 s4, exec_lo
	v_mul_f32_e32 v37, v38, v24
	v_mul_f32_e32 v24, v33, v24
	s_delay_alu instid0(VALU_DEP_2)
	v_fma_f32 v25, v33, v25, -v37
                                        ; implicit-def: $vgpr37
	v_cmpx_neq_f32_e32 0, v40
	s_xor_b32 s13, exec_lo, s4
	s_cbranch_execz .LBB38_88
; %bb.83:                               ;   in Loop: Header=BB38_73 Depth=1
	v_mul_f32_e32 v22, -4.0, v24
	s_delay_alu instid0(VALU_DEP_1) | instskip(NEXT) | instid1(VALU_DEP_1)
	v_mul_f32_e32 v22, v22, v40
	v_fmac_f32_e32 v22, v25, v25
	s_delay_alu instid0(VALU_DEP_1) | instskip(SKIP_1) | instid1(VALU_DEP_1)
	v_mul_f32_e64 v23, 0x4f800000, |v22|
	v_cmp_gt_f32_e64 vcc_lo, 0xf800000, |v22|
	v_cndmask_b32_e64 v22, |v22|, v23, vcc_lo
	s_delay_alu instid0(VALU_DEP_1) | instskip(SKIP_3) | instid1(VALU_DEP_2)
	v_sqrt_f32_e32 v23, v22
	s_waitcnt_depctr 0xfff
	v_add_nc_u32_e32 v34, -1, v23
	v_add_nc_u32_e32 v36, 1, v23
	v_fma_f32 v37, -v34, v23, v22
	s_delay_alu instid0(VALU_DEP_2) | instskip(NEXT) | instid1(VALU_DEP_2)
	v_fma_f32 v39, -v36, v23, v22
	v_cmp_ge_f32_e64 s4, 0, v37
                                        ; implicit-def: $vgpr37
	s_delay_alu instid0(VALU_DEP_1) | instskip(NEXT) | instid1(VALU_DEP_3)
	v_cndmask_b32_e64 v23, v23, v34, s4
	v_cmp_lt_f32_e64 s4, 0, v39
	s_delay_alu instid0(VALU_DEP_1) | instskip(SKIP_1) | instid1(VALU_DEP_1)
	v_cndmask_b32_e64 v23, v23, v36, s4
	s_mov_b32 s4, exec_lo
	v_mul_f32_e32 v34, 0x37800000, v23
	s_delay_alu instid0(VALU_DEP_1) | instskip(SKIP_1) | instid1(VALU_DEP_2)
	v_cndmask_b32_e32 v23, v23, v34, vcc_lo
	v_cmp_class_f32_e64 vcc_lo, v22, 0x260
	v_cndmask_b32_e32 v22, v23, v22, vcc_lo
	v_cmpx_ge_f32_e32 0, v25
	s_xor_b32 s4, exec_lo, s4
	s_cbranch_execz .LBB38_85
; %bb.84:                               ;   in Loop: Header=BB38_73 Depth=1
	s_delay_alu instid0(VALU_DEP_2) | instskip(NEXT) | instid1(VALU_DEP_1)
	v_dual_sub_f32 v22, v25, v22 :: v_dual_add_f32 v23, v40, v40
	v_div_scale_f32 v24, null, v23, v23, v22
	s_delay_alu instid0(VALU_DEP_1) | instskip(SKIP_2) | instid1(VALU_DEP_1)
	v_rcp_f32_e32 v25, v24
	s_waitcnt_depctr 0xfff
	v_fma_f32 v34, -v24, v25, 1.0
	v_fmac_f32_e32 v25, v34, v25
	v_div_scale_f32 v34, vcc_lo, v22, v23, v22
	s_delay_alu instid0(VALU_DEP_1) | instskip(NEXT) | instid1(VALU_DEP_1)
	v_mul_f32_e32 v36, v34, v25
	v_fma_f32 v37, -v24, v36, v34
	s_delay_alu instid0(VALU_DEP_1) | instskip(NEXT) | instid1(VALU_DEP_1)
	v_fmac_f32_e32 v36, v37, v25
	v_fma_f32 v24, -v24, v36, v34
	s_delay_alu instid0(VALU_DEP_1) | instskip(NEXT) | instid1(VALU_DEP_1)
	v_div_fmas_f32 v24, v24, v25, v36
                                        ; implicit-def: $vgpr25
	v_div_fixup_f32 v37, v24, v23, v22
                                        ; implicit-def: $vgpr24
                                        ; implicit-def: $vgpr22
.LBB38_85:                              ;   in Loop: Header=BB38_73 Depth=1
	s_and_not1_saveexec_b32 s4, s4
	s_cbranch_execz .LBB38_87
; %bb.86:                               ;   in Loop: Header=BB38_73 Depth=1
	v_dual_add_f32 v23, v24, v24 :: v_dual_add_f32 v22, v25, v22
	s_delay_alu instid0(VALU_DEP_1) | instskip(NEXT) | instid1(VALU_DEP_1)
	v_div_scale_f32 v24, null, v22, v22, v23
	v_rcp_f32_e32 v25, v24
	s_waitcnt_depctr 0xfff
	v_fma_f32 v34, -v24, v25, 1.0
	s_delay_alu instid0(VALU_DEP_1) | instskip(SKIP_1) | instid1(VALU_DEP_1)
	v_fmac_f32_e32 v25, v34, v25
	v_div_scale_f32 v34, vcc_lo, v23, v22, v23
	v_mul_f32_e32 v36, v34, v25
	s_delay_alu instid0(VALU_DEP_1) | instskip(NEXT) | instid1(VALU_DEP_1)
	v_fma_f32 v37, -v24, v36, v34
	v_fmac_f32_e32 v36, v37, v25
	s_delay_alu instid0(VALU_DEP_1) | instskip(NEXT) | instid1(VALU_DEP_1)
	v_fma_f32 v24, -v24, v36, v34
	v_div_fmas_f32 v24, v24, v25, v36
	s_delay_alu instid0(VALU_DEP_1)
	v_div_fixup_f32 v37, v24, v22, v23
.LBB38_87:                              ;   in Loop: Header=BB38_73 Depth=1
	s_or_b32 exec_lo, exec_lo, s4
                                        ; implicit-def: $vgpr25
                                        ; implicit-def: $vgpr24
                                        ; implicit-def: $vgpr22_vgpr23
                                        ; implicit-def: $vgpr36
                                        ; implicit-def: $vgpr34
.LBB38_88:                              ;   in Loop: Header=BB38_73 Depth=1
	s_and_not1_saveexec_b32 s4, s13
	s_cbranch_execz .LBB38_100
; %bb.89:                               ;   in Loop: Header=BB38_73 Depth=1
	s_mov_b32 s13, exec_lo
	v_cmpx_eq_f32_e32 0, v25
	s_cbranch_execz .LBB38_99
; %bb.90:                               ;   in Loop: Header=BB38_73 Depth=1
                                        ; implicit-def: $vgpr25
	s_and_saveexec_b32 s14, s5
	s_delay_alu instid0(SALU_CYCLE_1)
	s_xor_b32 s5, exec_lo, s14
; %bb.91:                               ;   in Loop: Header=BB38_73 Depth=1
	v_dual_mul_f32 v23, v23, v23 :: v_dual_mul_f32 v22, v22, v22
	s_delay_alu instid0(VALU_DEP_1) | instskip(NEXT) | instid1(VALU_DEP_1)
	v_mul_f32_e32 v25, v23, v36
                                        ; implicit-def: $vgpr36
	v_fmac_f32_e32 v25, v22, v34
                                        ; implicit-def: $vgpr22_vgpr23
                                        ; implicit-def: $vgpr34
; %bb.92:                               ;   in Loop: Header=BB38_73 Depth=1
	s_and_not1_saveexec_b32 s5, s5
	s_cbranch_execz .LBB38_98
; %bb.93:                               ;   in Loop: Header=BB38_73 Depth=1
	v_add_f32_e32 v34, v34, v36
                                        ; implicit-def: $vgpr25
	s_and_saveexec_b32 s14, s1
	s_delay_alu instid0(SALU_CYCLE_1)
	s_xor_b32 s14, exec_lo, s14
	s_cbranch_execz .LBB38_95
; %bb.94:                               ;   in Loop: Header=BB38_73 Depth=1
	global_load_b32 v23, v[12:13], off offset:4
	s_waitcnt vmcnt(0)
	v_dual_mul_f32 v22, v22, v22 :: v_dual_mul_f32 v25, v23, v23
	s_delay_alu instid0(VALU_DEP_1)
	v_fmac_f32_e32 v25, v22, v34
                                        ; implicit-def: $vgpr22_vgpr23
                                        ; implicit-def: $vgpr34
.LBB38_95:                              ;   in Loop: Header=BB38_73 Depth=1
	s_and_not1_saveexec_b32 s14, s14
	s_cbranch_execz .LBB38_97
; %bb.96:                               ;   in Loop: Header=BB38_73 Depth=1
	global_load_b32 v22, v[12:13], off
	s_waitcnt vmcnt(0)
	v_dual_mul_f32 v25, v22, v22 :: v_dual_mul_f32 v22, v23, v23
	s_delay_alu instid0(VALU_DEP_1)
	v_fmac_f32_e32 v25, v22, v34
.LBB38_97:                              ;   in Loop: Header=BB38_73 Depth=1
	s_or_b32 exec_lo, exec_lo, s14
.LBB38_98:                              ;   in Loop: Header=BB38_73 Depth=1
	s_delay_alu instid0(SALU_CYCLE_1)
	s_or_b32 exec_lo, exec_lo, s5
.LBB38_99:                              ;   in Loop: Header=BB38_73 Depth=1
	s_delay_alu instid0(SALU_CYCLE_1) | instskip(NEXT) | instid1(VALU_DEP_1)
	s_or_b32 exec_lo, exec_lo, s13
	v_div_scale_f32 v22, null, v25, v25, v24
	s_delay_alu instid0(VALU_DEP_1) | instskip(SKIP_2) | instid1(VALU_DEP_1)
	v_rcp_f32_e32 v23, v22
	s_waitcnt_depctr 0xfff
	v_fma_f32 v34, -v22, v23, 1.0
	v_fmac_f32_e32 v23, v34, v23
	v_div_scale_f32 v34, vcc_lo, v24, v25, v24
	s_delay_alu instid0(VALU_DEP_1) | instskip(NEXT) | instid1(VALU_DEP_1)
	v_mul_f32_e32 v36, v34, v23
	v_fma_f32 v37, -v22, v36, v34
	s_delay_alu instid0(VALU_DEP_1) | instskip(NEXT) | instid1(VALU_DEP_1)
	v_fmac_f32_e32 v36, v37, v23
	v_fma_f32 v22, -v22, v36, v34
	s_delay_alu instid0(VALU_DEP_1) | instskip(NEXT) | instid1(VALU_DEP_1)
	v_div_fmas_f32 v22, v22, v23, v36
	v_div_fixup_f32 v37, v22, v25, v24
.LBB38_100:                             ;   in Loop: Header=BB38_73 Depth=1
	s_or_b32 exec_lo, exec_lo, s4
	s_delay_alu instid0(VALU_DEP_1) | instskip(SKIP_1) | instid1(VALU_DEP_1)
	v_mul_f32_e32 v22, v33, v37
	s_mov_b32 s4, exec_lo
	v_cmpx_le_f32_e32 0, v22
; %bb.101:                              ;   in Loop: Header=BB38_73 Depth=1
	v_div_scale_f32 v22, null, v38, v38, -v33
	s_delay_alu instid0(VALU_DEP_1) | instskip(SKIP_2) | instid1(VALU_DEP_1)
	v_rcp_f32_e32 v23, v22
	s_waitcnt_depctr 0xfff
	v_fma_f32 v24, -v22, v23, 1.0
	v_fmac_f32_e32 v23, v24, v23
	v_div_scale_f32 v24, vcc_lo, -v33, v38, -v33
	s_delay_alu instid0(VALU_DEP_1) | instskip(NEXT) | instid1(VALU_DEP_1)
	v_mul_f32_e32 v25, v24, v23
	v_fma_f32 v34, -v22, v25, v24
	s_delay_alu instid0(VALU_DEP_1) | instskip(NEXT) | instid1(VALU_DEP_1)
	v_fmac_f32_e32 v25, v34, v23
	v_fma_f32 v22, -v22, v25, v24
	s_delay_alu instid0(VALU_DEP_1) | instskip(NEXT) | instid1(VALU_DEP_1)
	v_div_fmas_f32 v22, v22, v23, v25
	v_div_fixup_f32 v37, v22, v38, -v33
; %bb.102:                              ;   in Loop: Header=BB38_73 Depth=1
	s_or_b32 exec_lo, exec_lo, s4
	v_cmp_lt_f32_e32 vcc_lo, 0, v33
	v_cmp_lt_f32_e64 s4, v9, v31
	v_cmp_lt_f32_e64 s5, v32, v9
	v_add_f32_e32 v23, v9, v37
	s_delay_alu instid0(VALU_DEP_3) | instskip(NEXT) | instid1(VALU_DEP_2)
	s_and_b32 vcc_lo, vcc_lo, s4
	v_cndmask_b32_e64 v22, v32, v9, s5
	v_cndmask_b32_e32 v31, v31, v9, vcc_lo
	v_cmp_nge_f32_e32 vcc_lo, 0, v33
	s_delay_alu instid0(VALU_DEP_3) | instskip(NEXT) | instid1(VALU_DEP_3)
	v_cndmask_b32_e32 v32, v22, v32, vcc_lo
	v_cmp_gt_f32_e32 vcc_lo, v23, v31
	s_delay_alu instid0(VALU_DEP_2) | instskip(NEXT) | instid1(VALU_DEP_1)
	v_cmp_lt_f32_e64 s4, v23, v32
	s_or_b32 s5, vcc_lo, s4
	s_delay_alu instid0(SALU_CYCLE_1)
	s_and_saveexec_b32 s4, s5
	s_cbranch_execz .LBB38_108
; %bb.103:                              ;   in Loop: Header=BB38_73 Depth=1
	s_mov_b32 s5, exec_lo
                                        ; implicit-def: $vgpr37
	v_cmpx_ngt_f32_e32 0, v33
	s_xor_b32 s5, exec_lo, s5
; %bb.104:                              ;   in Loop: Header=BB38_73 Depth=1
	v_sub_f32_e32 v22, v32, v9
	s_delay_alu instid0(VALU_DEP_1)
	v_mul_f32_e32 v37, 0.5, v22
; %bb.105:                              ;   in Loop: Header=BB38_73 Depth=1
	s_and_not1_saveexec_b32 s5, s5
; %bb.106:                              ;   in Loop: Header=BB38_73 Depth=1
	v_sub_f32_e32 v22, v31, v9
	s_delay_alu instid0(VALU_DEP_1)
	v_mul_f32_e32 v37, 0.5, v22
; %bb.107:                              ;   in Loop: Header=BB38_73 Depth=1
	s_or_b32 exec_lo, exec_lo, s5
.LBB38_108:                             ;   in Loop: Header=BB38_73 Depth=1
	s_delay_alu instid0(SALU_CYCLE_1) | instskip(NEXT) | instid1(VALU_DEP_1)
	s_or_b32 exec_lo, exec_lo, s4
	v_dual_sub_f32 v22, v35, v37 :: v_dual_mov_b32 v35, 0
	v_mov_b32_e32 v34, 0
	v_mov_b32_e32 v38, 0
	global_store_b32 v[14:15], v22, off
	s_and_saveexec_b32 s5, s3
	s_cbranch_execz .LBB38_112
; %bb.109:                              ;   in Loop: Header=BB38_73 Depth=1
	v_dual_mov_b32 v34, 0 :: v_dual_mov_b32 v23, v7
	v_dual_mov_b32 v22, v6 :: v_dual_mov_b32 v25, v3
	;; [unrolled: 1-line block ×3, first 2 shown]
	v_mov_b32_e32 v36, v10
	v_mov_b32_e32 v38, 0
	s_mov_b32 s13, 0
	s_set_inst_prefetch_distance 0x1
	.p2align	6
.LBB38_110:                             ;   Parent Loop BB38_73 Depth=1
                                        ; =>  This Inner Loop Header: Depth=2
	global_load_b32 v39, v[24:25], off
	s_waitcnt vmcnt(0)
	v_dual_sub_f32 v39, v39, v37 :: v_dual_add_nc_u32 v36, -1, v36
	global_store_b32 v[24:25], v39, off
	global_load_b32 v40, v[22:23], off
	v_add_co_u32 v24, s4, v24, 4
	s_delay_alu instid0(VALU_DEP_1) | instskip(SKIP_1) | instid1(VALU_DEP_1)
	v_add_co_ci_u32_e64 v25, s4, 0, v25, s4
	v_add_co_u32 v22, s4, v22, 4
	v_add_co_ci_u32_e64 v23, s4, 0, v23, s4
	s_waitcnt vmcnt(0)
	v_div_scale_f32 v41, null, v39, v39, v40
	v_div_scale_f32 v44, vcc_lo, v40, v39, v40
	s_delay_alu instid0(VALU_DEP_2) | instskip(SKIP_2) | instid1(VALU_DEP_1)
	v_rcp_f32_e32 v42, v41
	s_waitcnt_depctr 0xfff
	v_fma_f32 v43, -v41, v42, 1.0
	v_fmac_f32_e32 v42, v43, v42
	s_delay_alu instid0(VALU_DEP_1) | instskip(NEXT) | instid1(VALU_DEP_1)
	v_mul_f32_e32 v43, v44, v42
	v_fma_f32 v45, -v41, v43, v44
	s_delay_alu instid0(VALU_DEP_1) | instskip(NEXT) | instid1(VALU_DEP_1)
	v_fmac_f32_e32 v43, v45, v42
	v_fma_f32 v41, -v41, v43, v44
	s_delay_alu instid0(VALU_DEP_1) | instskip(SKIP_1) | instid1(VALU_DEP_2)
	v_div_fmas_f32 v41, v41, v42, v43
	v_cmp_eq_u32_e32 vcc_lo, 0, v36
	v_div_fixup_f32 v39, v41, v39, v40
	s_or_b32 s13, vcc_lo, s13
	s_delay_alu instid0(VALU_DEP_1) | instskip(SKIP_1) | instid1(VALU_DEP_2)
	v_fmac_f32_e32 v38, v40, v39
	v_fmac_f32_e32 v34, v39, v39
	v_add_f32_e32 v35, v35, v38
	s_and_not1_b32 exec_lo, exec_lo, s13
	s_cbranch_execnz .LBB38_110
; %bb.111:                              ;   in Loop: Header=BB38_73 Depth=1
	s_set_inst_prefetch_distance 0x2
	s_or_b32 exec_lo, exec_lo, s13
.LBB38_112:                             ;   in Loop: Header=BB38_73 Depth=1
	s_delay_alu instid0(SALU_CYCLE_1)
	s_or_b32 exec_lo, exec_lo, s5
	v_dual_mov_b32 v41, 0 :: v_dual_and_b32 v40, 0x7fffffff, v35
	v_mov_b32_e32 v36, 0
	s_and_saveexec_b32 s5, s2
	s_cbranch_execz .LBB38_71
; %bb.113:                              ;   in Loop: Header=BB38_73 Depth=1
	v_dual_mov_b32 v36, 0 :: v_dual_mov_b32 v23, v21
	v_dual_mov_b32 v22, v20 :: v_dual_mov_b32 v25, v19
	v_dual_mov_b32 v24, v18 :: v_dual_mov_b32 v35, v8
	v_mov_b32_e32 v41, 0
	s_mov_b32 s13, 0
	s_set_inst_prefetch_distance 0x1
	.p2align	6
.LBB38_114:                             ;   Parent Loop BB38_73 Depth=1
                                        ; =>  This Inner Loop Header: Depth=2
	global_load_b32 v39, v[24:25], off
	v_add_nc_u32_e32 v35, -1, v35
	s_waitcnt vmcnt(0)
	v_sub_f32_e32 v39, v39, v37
	global_store_b32 v[24:25], v39, off
	global_load_b32 v42, v[22:23], off
	v_add_co_u32 v24, s4, v24, -4
	s_delay_alu instid0(VALU_DEP_1) | instskip(SKIP_1) | instid1(VALU_DEP_1)
	v_add_co_ci_u32_e64 v25, s4, -1, v25, s4
	v_add_co_u32 v22, s4, v22, -4
	v_add_co_ci_u32_e64 v23, s4, -1, v23, s4
	s_waitcnt vmcnt(0)
	v_div_scale_f32 v43, null, v39, v39, v42
	s_delay_alu instid0(VALU_DEP_1) | instskip(SKIP_2) | instid1(VALU_DEP_1)
	v_rcp_f32_e32 v44, v43
	s_waitcnt_depctr 0xfff
	v_fma_f32 v45, -v43, v44, 1.0
	v_fmac_f32_e32 v44, v45, v44
	v_div_scale_f32 v46, vcc_lo, v42, v39, v42
	s_delay_alu instid0(VALU_DEP_1) | instskip(NEXT) | instid1(VALU_DEP_1)
	v_mul_f32_e32 v45, v46, v44
	v_fma_f32 v47, -v43, v45, v46
	s_delay_alu instid0(VALU_DEP_1) | instskip(NEXT) | instid1(VALU_DEP_1)
	v_fmac_f32_e32 v45, v47, v44
	v_fma_f32 v43, -v43, v45, v46
	s_delay_alu instid0(VALU_DEP_1) | instskip(SKIP_1) | instid1(VALU_DEP_2)
	v_div_fmas_f32 v43, v43, v44, v45
	v_cmp_le_i32_e32 vcc_lo, v35, v10
	v_div_fixup_f32 v39, v43, v39, v42
	s_or_b32 s13, vcc_lo, s13
	s_delay_alu instid0(VALU_DEP_1) | instskip(SKIP_1) | instid1(VALU_DEP_2)
	v_fmac_f32_e32 v41, v42, v39
	v_fmac_f32_e32 v36, v39, v39
	v_add_f32_e32 v40, v40, v41
	s_and_not1_b32 exec_lo, exec_lo, s13
	s_cbranch_execnz .LBB38_114
; %bb.115:                              ;   in Loop: Header=BB38_73 Depth=1
	s_set_inst_prefetch_distance 0x2
	s_or_b32 exec_lo, exec_lo, s13
	s_branch .LBB38_71
.LBB38_116:
	s_or_b32 exec_lo, exec_lo, s6
	v_add_f32_e32 v35, v30, v9
.LBB38_117:
	s_or_b32 exec_lo, exec_lo, s23
                                        ; implicit-def: $vgpr14
                                        ; implicit-def: $vgpr11
                                        ; implicit-def: $vgpr2_vgpr3
                                        ; implicit-def: $vgpr6_vgpr7
                                        ; implicit-def: $vgpr4_vgpr5
                                        ; implicit-def: $vgpr27
                                        ; implicit-def: $vgpr12_vgpr13
.LBB38_118:
	s_and_not1_saveexec_b32 s3, s22
	s_cbranch_execz .LBB38_188
; %bb.119:
	v_ashrrev_i32_e32 v15, 31, v14
	s_waitcnt vmcnt(0)
	v_fma_f32 v10, |v26|, 0.5, v27
	v_mov_b32_e32 v22, 0
	s_mov_b32 s1, exec_lo
	v_lshlrev_b64 v[15:16], 2, v[14:15]
	s_delay_alu instid0(VALU_DEP_1) | instskip(NEXT) | instid1(VALU_DEP_2)
	v_add_co_u32 v8, vcc_lo, v2, v15
	v_add_co_ci_u32_e32 v9, vcc_lo, v3, v16, vcc_lo
	global_load_b32 v21, v[8:9], off offset:-8
	v_cmpx_lt_i32_e32 2, v14
	s_cbranch_execz .LBB38_123
; %bb.120:
	v_dual_mov_b32 v22, 0 :: v_dual_add_nc_u32 v23, -2, v14
	v_dual_mov_b32 v18, v7 :: v_dual_mov_b32 v17, v6
	v_dual_mov_b32 v20, v3 :: v_dual_mov_b32 v19, v2
	s_mov_b32 s2, 0
	s_set_inst_prefetch_distance 0x1
	.p2align	6
.LBB38_121:                             ; =>This Inner Loop Header: Depth=1
	global_load_b32 v24, v[19:20], off
	global_load_b32 v25, v[17:18], off
	v_add_nc_u32_e32 v23, -1, v23
	s_delay_alu instid0(VALU_DEP_1) | instskip(NEXT) | instid1(VALU_DEP_1)
	v_cmp_eq_u32_e64 s0, 0, v23
	s_or_b32 s2, s0, s2
	s_waitcnt vmcnt(1)
	v_sub_f32_e32 v24, v24, v10
	s_waitcnt vmcnt(0)
	s_delay_alu instid0(VALU_DEP_1) | instskip(NEXT) | instid1(VALU_DEP_1)
	v_div_scale_f32 v28, null, v24, v24, v25
	v_rcp_f32_e32 v29, v28
	s_waitcnt_depctr 0xfff
	v_fma_f32 v30, -v28, v29, 1.0
	s_delay_alu instid0(VALU_DEP_1) | instskip(SKIP_1) | instid1(VALU_DEP_1)
	v_fmac_f32_e32 v29, v30, v29
	v_div_scale_f32 v31, vcc_lo, v25, v24, v25
	v_mul_f32_e32 v30, v31, v29
	s_delay_alu instid0(VALU_DEP_1) | instskip(NEXT) | instid1(VALU_DEP_1)
	v_fma_f32 v32, -v28, v30, v31
	v_fmac_f32_e32 v30, v32, v29
	s_delay_alu instid0(VALU_DEP_1) | instskip(NEXT) | instid1(VALU_DEP_1)
	v_fma_f32 v28, -v28, v30, v31
	v_div_fmas_f32 v28, v28, v29, v30
	v_add_co_u32 v19, vcc_lo, v19, 4
	v_add_co_ci_u32_e32 v20, vcc_lo, 0, v20, vcc_lo
	s_delay_alu instid0(VALU_DEP_3) | instskip(SKIP_2) | instid1(VALU_DEP_3)
	v_div_fixup_f32 v24, v28, v24, v25
	v_add_co_u32 v17, vcc_lo, v17, 4
	v_add_co_ci_u32_e32 v18, vcc_lo, 0, v18, vcc_lo
	v_fmac_f32_e32 v22, v25, v24
	s_and_not1_b32 exec_lo, exec_lo, s2
	s_cbranch_execnz .LBB38_121
; %bb.122:
	s_set_inst_prefetch_distance 0x2
	s_or_b32 exec_lo, exec_lo, s2
.LBB38_123:
	s_delay_alu instid0(SALU_CYCLE_1)
	s_or_b32 exec_lo, exec_lo, s1
	v_add_co_u32 v15, vcc_lo, v6, v15
	v_add_co_ci_u32_e32 v16, vcc_lo, v7, v16, vcc_lo
	v_add_co_u32 v12, vcc_lo, v6, v12
	v_add_co_ci_u32_e32 v13, vcc_lo, v7, v13, vcc_lo
	global_load_b32 v15, v[15:16], off offset:-8
	v_mul_f32_e64 v19, |v26|, 0.5
	global_load_b32 v17, v[12:13], off
	s_waitcnt vmcnt(2)
	v_sub_f32_e32 v23, v21, v10
	v_sub_f32_e32 v21, v27, v21
	s_waitcnt vmcnt(0)
	v_dual_mul_f32 v16, v15, v15 :: v_dual_mul_f32 v17, v17, v17
	s_delay_alu instid0(VALU_DEP_1) | instskip(SKIP_2) | instid1(VALU_DEP_2)
	v_div_scale_f32 v30, s0, v16, v23, v16
	v_and_b32_e32 v18, 0x7fffffff, v26
	v_div_scale_f32 v15, null, v23, v23, v16
	v_div_scale_f32 v20, null, v18, v18, 1.0
	s_delay_alu instid0(VALU_DEP_2) | instskip(NEXT) | instid1(VALU_DEP_1)
	v_rcp_f32_e32 v24, v15
	v_rcp_f32_e32 v10, v20
	s_waitcnt_depctr 0xfff
	v_fma_f32 v25, -v20, v10, 1.0
	s_delay_alu instid0(VALU_DEP_1) | instskip(SKIP_1) | instid1(VALU_DEP_1)
	v_fmac_f32_e32 v10, v25, v10
	v_fma_f32 v25, -v15, v24, 1.0
	v_fmac_f32_e32 v24, v25, v24
	s_delay_alu instid0(VALU_DEP_1) | instskip(SKIP_1) | instid1(VALU_DEP_1)
	v_mul_f32_e32 v31, v30, v24
	v_div_scale_f32 v28, vcc_lo, 1.0, v18, 1.0
	v_mul_f32_e32 v29, v28, v10
	s_delay_alu instid0(VALU_DEP_1) | instskip(NEXT) | instid1(VALU_DEP_1)
	v_fma_f32 v25, -v20, v29, v28
	v_fmac_f32_e32 v29, v25, v10
	v_fma_f32 v25, -v15, v31, v30
	s_delay_alu instid0(VALU_DEP_2) | instskip(NEXT) | instid1(VALU_DEP_1)
	v_fma_f32 v20, -v20, v29, v28
	v_div_fmas_f32 v10, v20, v10, v29
	s_mov_b32 vcc_lo, s0
	s_delay_alu instid0(VALU_DEP_1) | instskip(SKIP_1) | instid1(VALU_DEP_1)
	v_div_fixup_f32 v10, v10, |v26|, 1.0
	v_fmac_f32_e32 v31, v25, v24
	v_fma_f32 v15, -v15, v31, v30
	s_delay_alu instid0(VALU_DEP_1) | instskip(NEXT) | instid1(VALU_DEP_4)
	v_div_fmas_f32 v20, v15, v24, v31
	v_dual_add_f32 v15, v10, v22 :: v_dual_add_f32 v22, v17, v17
	s_delay_alu instid0(VALU_DEP_2) | instskip(NEXT) | instid1(VALU_DEP_2)
	v_div_fixup_f32 v20, v20, v23, v16
	v_mul_f32_e32 v22, v10, v22
	s_delay_alu instid0(VALU_DEP_2) | instskip(NEXT) | instid1(VALU_DEP_1)
	v_add_f32_e32 v20, v15, v20
	v_cmp_ngt_f32_e32 vcc_lo, v20, v22
                                        ; implicit-def: $vgpr20
	s_and_saveexec_b32 s0, vcc_lo
	s_delay_alu instid0(SALU_CYCLE_1)
	s_xor_b32 s1, exec_lo, s0
	s_cbranch_execz .LBB38_131
; %bb.124:
	v_add_f32_e64 v20, |v26|, v21
	v_div_scale_f32 v23, null, v18, v18, v17
	s_delay_alu instid0(VALU_DEP_2) | instskip(NEXT) | instid1(VALU_DEP_2)
	v_div_scale_f32 v22, null, v20, v20, v16
	v_rcp_f32_e32 v25, v23
	v_div_scale_f32 v30, vcc_lo, v16, v20, v16
	s_delay_alu instid0(VALU_DEP_2) | instskip(SKIP_3) | instid1(VALU_DEP_1)
	v_rcp_f32_e32 v24, v22
	s_waitcnt_depctr 0xfff
	v_fma_f32 v29, -v23, v25, 1.0
	v_fma_f32 v28, -v22, v24, 1.0
	v_dual_fmac_f32 v25, v29, v25 :: v_dual_fmac_f32 v24, v28, v24
	v_div_scale_f32 v28, s0, v17, v18, v17
	s_delay_alu instid0(VALU_DEP_2) | instskip(NEXT) | instid1(VALU_DEP_2)
	v_mul_f32_e32 v29, v30, v24
	v_mul_f32_e32 v31, v28, v25
	s_delay_alu instid0(VALU_DEP_2) | instskip(NEXT) | instid1(VALU_DEP_2)
	v_fma_f32 v32, -v22, v29, v30
	v_fma_f32 v33, -v23, v31, v28
	s_delay_alu instid0(VALU_DEP_2) | instskip(NEXT) | instid1(VALU_DEP_2)
	v_fmac_f32_e32 v29, v32, v24
	v_fmac_f32_e32 v31, v33, v25
	s_delay_alu instid0(VALU_DEP_2) | instskip(NEXT) | instid1(VALU_DEP_2)
	v_fma_f32 v22, -v22, v29, v30
	v_fma_f32 v23, -v23, v31, v28
	s_delay_alu instid0(VALU_DEP_2) | instskip(SKIP_1) | instid1(VALU_DEP_2)
	v_div_fmas_f32 v22, v22, v24, v29
	s_mov_b32 vcc_lo, s0
	v_div_fmas_f32 v23, v23, v25, v31
	s_delay_alu instid0(VALU_DEP_2) | instskip(NEXT) | instid1(VALU_DEP_2)
	v_div_fixup_f32 v20, v22, v20, v16
	v_div_fixup_f32 v22, v23, |v26|, v17
	s_delay_alu instid0(VALU_DEP_1) | instskip(NEXT) | instid1(VALU_DEP_1)
	v_add_f32_e32 v20, v20, v22
	v_cmp_nle_f32_e32 vcc_lo, v15, v20
	v_mov_b32_e32 v20, v18
	s_and_saveexec_b32 s2, vcc_lo
	s_cbranch_execz .LBB38_130
; %bb.125:
	v_fma_f32 v16, -v21, v15, v16
	s_delay_alu instid0(VALU_DEP_1) | instskip(SKIP_1) | instid1(VALU_DEP_1)
	v_add_f32_e32 v16, v17, v16
	v_mul_f32_e32 v20, v21, v17
	v_mul_f32_e32 v21, 4.0, v20
	s_delay_alu instid0(VALU_DEP_1) | instskip(NEXT) | instid1(VALU_DEP_1)
	v_mul_f32_e32 v17, v15, v21
	v_fmac_f32_e32 v17, v16, v16
	s_delay_alu instid0(VALU_DEP_1) | instskip(SKIP_1) | instid1(VALU_DEP_2)
	v_mul_f32_e32 v21, 0x4f800000, v17
	v_cmp_gt_f32_e32 vcc_lo, 0xf800000, v17
	v_cndmask_b32_e32 v17, v17, v21, vcc_lo
	s_delay_alu instid0(VALU_DEP_1) | instskip(SKIP_3) | instid1(VALU_DEP_2)
	v_sqrt_f32_e32 v21, v17
	s_waitcnt_depctr 0xfff
	v_add_nc_u32_e32 v22, -1, v21
	v_add_nc_u32_e32 v23, 1, v21
	v_fma_f32 v24, -v22, v21, v17
	s_delay_alu instid0(VALU_DEP_2) | instskip(NEXT) | instid1(VALU_DEP_2)
	v_fma_f32 v25, -v23, v21, v17
	v_cmp_ge_f32_e64 s0, 0, v24
	s_delay_alu instid0(VALU_DEP_1) | instskip(NEXT) | instid1(VALU_DEP_3)
	v_cndmask_b32_e64 v21, v21, v22, s0
	v_cmp_lt_f32_e64 s0, 0, v25
	s_delay_alu instid0(VALU_DEP_1) | instskip(SKIP_1) | instid1(VALU_DEP_1)
	v_cndmask_b32_e64 v21, v21, v23, s0
	s_mov_b32 s0, exec_lo
	v_mul_f32_e32 v22, 0x37800000, v21
	s_delay_alu instid0(VALU_DEP_1) | instskip(SKIP_1) | instid1(VALU_DEP_2)
	v_cndmask_b32_e32 v21, v21, v22, vcc_lo
	v_cmp_class_f32_e64 vcc_lo, v17, 0x260
	v_cndmask_b32_e32 v21, v21, v17, vcc_lo
                                        ; implicit-def: $vgpr17
	v_cmpx_ngt_f32_e32 0, v16
	s_xor_b32 s0, exec_lo, s0
	s_cbranch_execz .LBB38_127
; %bb.126:
	s_delay_alu instid0(VALU_DEP_2) | instskip(NEXT) | instid1(VALU_DEP_1)
	v_dual_add_f32 v16, v16, v21 :: v_dual_add_f32 v15, v15, v15
	v_div_scale_f32 v17, null, v15, v15, v16
	s_delay_alu instid0(VALU_DEP_1) | instskip(SKIP_2) | instid1(VALU_DEP_1)
	v_rcp_f32_e32 v20, v17
	s_waitcnt_depctr 0xfff
	v_fma_f32 v21, -v17, v20, 1.0
	v_fmac_f32_e32 v20, v21, v20
	v_div_scale_f32 v21, vcc_lo, v16, v15, v16
	s_delay_alu instid0(VALU_DEP_1) | instskip(NEXT) | instid1(VALU_DEP_1)
	v_mul_f32_e32 v22, v21, v20
	v_fma_f32 v23, -v17, v22, v21
	s_delay_alu instid0(VALU_DEP_1) | instskip(NEXT) | instid1(VALU_DEP_1)
	v_fmac_f32_e32 v22, v23, v20
	v_fma_f32 v17, -v17, v22, v21
                                        ; implicit-def: $vgpr21
	s_delay_alu instid0(VALU_DEP_1) | instskip(NEXT) | instid1(VALU_DEP_1)
	v_div_fmas_f32 v17, v17, v20, v22
                                        ; implicit-def: $vgpr20
	v_div_fixup_f32 v17, v17, v15, v16
                                        ; implicit-def: $vgpr16
.LBB38_127:
	s_and_not1_saveexec_b32 s0, s0
	s_cbranch_execz .LBB38_129
; %bb.128:
	v_add_f32_e32 v15, v20, v20
	v_sub_f32_e32 v16, v21, v16
	s_delay_alu instid0(VALU_DEP_1) | instskip(NEXT) | instid1(VALU_DEP_1)
	v_div_scale_f32 v17, null, v16, v16, v15
	v_rcp_f32_e32 v20, v17
	s_waitcnt_depctr 0xfff
	v_fma_f32 v21, -v17, v20, 1.0
	s_delay_alu instid0(VALU_DEP_1) | instskip(SKIP_1) | instid1(VALU_DEP_1)
	v_fmac_f32_e32 v20, v21, v20
	v_div_scale_f32 v21, vcc_lo, v15, v16, v15
	v_mul_f32_e32 v22, v21, v20
	s_delay_alu instid0(VALU_DEP_1) | instskip(NEXT) | instid1(VALU_DEP_1)
	v_fma_f32 v23, -v17, v22, v21
	v_fmac_f32_e32 v22, v23, v20
	s_delay_alu instid0(VALU_DEP_1) | instskip(NEXT) | instid1(VALU_DEP_1)
	v_fma_f32 v17, -v17, v22, v21
	v_div_fmas_f32 v17, v17, v20, v22
	s_delay_alu instid0(VALU_DEP_1)
	v_div_fixup_f32 v17, v17, v16, v15
.LBB38_129:
	s_or_b32 exec_lo, exec_lo, s0
	v_mov_b32_e32 v20, v18
	s_delay_alu instid0(VALU_DEP_2)
	v_mov_b32_e32 v18, v17
.LBB38_130:
	s_or_b32 exec_lo, exec_lo, s2
                                        ; implicit-def: $vgpr21
                                        ; implicit-def: $vgpr15
                                        ; implicit-def: $vgpr16
                                        ; implicit-def: $vgpr17
.LBB38_131:
	s_and_not1_saveexec_b32 s1, s1
	s_cbranch_execz .LBB38_137
; %bb.132:
	v_mul_f32_e32 v20, v21, v17
	v_fma_f32 v16, -v21, v15, v16
	s_mov_b32 s2, exec_lo
	s_delay_alu instid0(VALU_DEP_2) | instskip(NEXT) | instid1(VALU_DEP_1)
	v_mul_f32_e32 v18, 4.0, v20
	v_dual_add_f32 v16, v17, v16 :: v_dual_mul_f32 v17, v15, v18
	s_delay_alu instid0(VALU_DEP_1) | instskip(NEXT) | instid1(VALU_DEP_1)
	v_fmac_f32_e32 v17, v16, v16
	v_mul_f32_e32 v18, 0x4f800000, v17
	v_cmp_gt_f32_e32 vcc_lo, 0xf800000, v17
	s_delay_alu instid0(VALU_DEP_2) | instskip(NEXT) | instid1(VALU_DEP_1)
	v_cndmask_b32_e32 v17, v17, v18, vcc_lo
	v_sqrt_f32_e32 v18, v17
	s_waitcnt_depctr 0xfff
	v_add_nc_u32_e32 v21, -1, v18
	v_add_nc_u32_e32 v22, 1, v18
	s_delay_alu instid0(VALU_DEP_2) | instskip(NEXT) | instid1(VALU_DEP_2)
	v_fma_f32 v23, -v21, v18, v17
	v_fma_f32 v24, -v22, v18, v17
	s_delay_alu instid0(VALU_DEP_2) | instskip(NEXT) | instid1(VALU_DEP_1)
	v_cmp_ge_f32_e64 s0, 0, v23
	v_cndmask_b32_e64 v18, v18, v21, s0
	s_delay_alu instid0(VALU_DEP_3) | instskip(NEXT) | instid1(VALU_DEP_1)
	v_cmp_lt_f32_e64 s0, 0, v24
	v_cndmask_b32_e64 v18, v18, v22, s0
	s_mov_b32 s0, 0
	s_delay_alu instid0(VALU_DEP_1) | instskip(NEXT) | instid1(VALU_DEP_1)
	v_mul_f32_e32 v21, 0x37800000, v18
	v_cndmask_b32_e32 v18, v18, v21, vcc_lo
	v_cmp_class_f32_e64 vcc_lo, v17, 0x260
	s_delay_alu instid0(VALU_DEP_2)
	v_cndmask_b32_e32 v17, v18, v17, vcc_lo
                                        ; implicit-def: $vgpr18
	v_cmpx_ngt_f32_e32 0, v16
	s_xor_b32 s2, exec_lo, s2
	s_cbranch_execz .LBB38_134
; %bb.133:
	s_delay_alu instid0(VALU_DEP_2) | instskip(NEXT) | instid1(VALU_DEP_1)
	v_dual_add_f32 v16, v16, v17 :: v_dual_add_f32 v15, v15, v15
	v_div_scale_f32 v17, null, v15, v15, v16
	s_delay_alu instid0(VALU_DEP_1) | instskip(SKIP_2) | instid1(VALU_DEP_1)
	v_rcp_f32_e32 v18, v17
	s_waitcnt_depctr 0xfff
	v_fma_f32 v20, -v17, v18, 1.0
	v_fmac_f32_e32 v18, v20, v18
	v_div_scale_f32 v20, vcc_lo, v16, v15, v16
	s_delay_alu instid0(VALU_DEP_1) | instskip(NEXT) | instid1(VALU_DEP_1)
	v_mul_f32_e32 v21, v20, v18
	v_fma_f32 v22, -v17, v21, v20
	s_delay_alu instid0(VALU_DEP_1) | instskip(NEXT) | instid1(VALU_DEP_1)
	v_fmac_f32_e32 v21, v22, v18
	v_fma_f32 v17, -v17, v21, v20
                                        ; implicit-def: $vgpr20
	s_delay_alu instid0(VALU_DEP_1) | instskip(NEXT) | instid1(VALU_DEP_1)
	v_div_fmas_f32 v17, v17, v18, v21
	v_div_fixup_f32 v18, v17, v15, v16
                                        ; implicit-def: $vgpr17
                                        ; implicit-def: $vgpr16
.LBB38_134:
	s_or_saveexec_b32 s2, s2
	v_mov_b32_e32 v15, s0
	s_xor_b32 exec_lo, exec_lo, s2
	s_cbranch_execz .LBB38_136
; %bb.135:
	v_add_f32_e32 v15, v20, v20
	v_sub_f32_e32 v16, v17, v16
	s_delay_alu instid0(VALU_DEP_1) | instskip(SKIP_1) | instid1(VALU_DEP_2)
	v_div_scale_f32 v17, null, v16, v16, v15
	v_div_scale_f32 v21, vcc_lo, v15, v16, v15
	v_rcp_f32_e32 v18, v17
	s_waitcnt_depctr 0xfff
	v_fma_f32 v20, -v17, v18, 1.0
	s_delay_alu instid0(VALU_DEP_1) | instskip(NEXT) | instid1(VALU_DEP_1)
	v_fmac_f32_e32 v18, v20, v18
	v_mul_f32_e32 v20, v21, v18
	s_delay_alu instid0(VALU_DEP_1) | instskip(NEXT) | instid1(VALU_DEP_1)
	v_fma_f32 v22, -v17, v20, v21
	v_fmac_f32_e32 v20, v22, v18
	s_delay_alu instid0(VALU_DEP_1) | instskip(NEXT) | instid1(VALU_DEP_1)
	v_fma_f32 v17, -v17, v20, v21
	v_div_fmas_f32 v17, v17, v18, v20
	s_delay_alu instid0(VALU_DEP_1)
	v_div_fixup_f32 v18, v17, v16, v15
	v_mov_b32_e32 v15, 0
.LBB38_136:
	s_or_b32 exec_lo, exec_lo, s2
	v_mov_b32_e32 v20, v19
	s_delay_alu instid0(VALU_DEP_2)
	v_mov_b32_e32 v19, v15
.LBB38_137:
	s_or_b32 exec_lo, exec_lo, s1
	v_cmp_lt_i32_e64 s0, 1, v14
	v_mov_b32_e32 v14, v27
	s_delay_alu instid0(VALU_DEP_2)
	s_and_saveexec_b32 s2, s0
	s_cbranch_execz .LBB38_141
; %bb.138:
	v_dual_mov_b32 v15, v3 :: v_dual_mov_b32 v14, v2
	v_mov_b32_e32 v16, v11
	s_mov_b32 s4, 0
.LBB38_139:                             ; =>This Inner Loop Header: Depth=1
	global_load_b32 v17, v[14:15], off
	s_waitcnt vmcnt(0)
	v_dual_sub_f32 v17, v17, v27 :: v_dual_add_nc_u32 v16, -1, v16
	s_delay_alu instid0(VALU_DEP_1) | instskip(SKIP_2) | instid1(VALU_DEP_1)
	v_cmp_eq_u32_e32 vcc_lo, 0, v16
	global_store_b32 v[14:15], v17, off
	v_add_co_u32 v14, s1, v14, 4
	v_add_co_ci_u32_e64 v15, s1, 0, v15, s1
	s_or_b32 s4, vcc_lo, s4
	s_delay_alu instid0(SALU_CYCLE_1)
	s_and_not1_b32 exec_lo, exec_lo, s4
	s_cbranch_execnz .LBB38_139
; %bb.140:
	s_or_b32 exec_lo, exec_lo, s4
	global_load_b32 v14, v[4:5], off
.LBB38_141:
	s_or_b32 exec_lo, exec_lo, s2
	s_waitcnt vmcnt(0)
	v_dual_sub_f32 v14, v14, v27 :: v_dual_mov_b32 v21, 0
	v_dual_mov_b32 v22, 0 :: v_dual_mov_b32 v23, 0
	s_mov_b32 s4, 0
	global_store_b32 v[4:5], v14, off
	s_and_saveexec_b32 s2, s0
	s_cbranch_execz .LBB38_145
; %bb.142:
	v_mov_b32_e32 v15, v7
	v_dual_mov_b32 v17, v3 :: v_dual_mov_b32 v22, 0
	v_dual_mov_b32 v21, 0 :: v_dual_mov_b32 v14, v6
	v_mov_b32_e32 v16, v2
	v_dual_mov_b32 v24, v11 :: v_dual_mov_b32 v23, 0
	s_set_inst_prefetch_distance 0x1
	.p2align	6
.LBB38_143:                             ; =>This Inner Loop Header: Depth=1
	global_load_b32 v25, v[16:17], off
	s_waitcnt vmcnt(0)
	v_dual_sub_f32 v25, v25, v18 :: v_dual_add_nc_u32 v24, -1, v24
	global_store_b32 v[16:17], v25, off
	global_load_b32 v28, v[14:15], off
	v_add_co_u32 v16, s1, v16, 4
	s_delay_alu instid0(VALU_DEP_1) | instskip(SKIP_1) | instid1(VALU_DEP_1)
	v_add_co_ci_u32_e64 v17, s1, 0, v17, s1
	v_add_co_u32 v14, s1, v14, 4
	v_add_co_ci_u32_e64 v15, s1, 0, v15, s1
	s_waitcnt vmcnt(0)
	v_div_scale_f32 v29, null, v25, v25, v28
	v_div_scale_f32 v32, vcc_lo, v28, v25, v28
	s_delay_alu instid0(VALU_DEP_2) | instskip(SKIP_2) | instid1(VALU_DEP_1)
	v_rcp_f32_e32 v30, v29
	s_waitcnt_depctr 0xfff
	v_fma_f32 v31, -v29, v30, 1.0
	v_fmac_f32_e32 v30, v31, v30
	s_delay_alu instid0(VALU_DEP_1) | instskip(NEXT) | instid1(VALU_DEP_1)
	v_mul_f32_e32 v31, v32, v30
	v_fma_f32 v33, -v29, v31, v32
	s_delay_alu instid0(VALU_DEP_1) | instskip(NEXT) | instid1(VALU_DEP_1)
	v_fmac_f32_e32 v31, v33, v30
	v_fma_f32 v29, -v29, v31, v32
	s_delay_alu instid0(VALU_DEP_1) | instskip(SKIP_1) | instid1(VALU_DEP_2)
	v_div_fmas_f32 v29, v29, v30, v31
	v_cmp_eq_u32_e32 vcc_lo, 0, v24
	v_div_fixup_f32 v25, v29, v25, v28
	s_or_b32 s4, vcc_lo, s4
	s_delay_alu instid0(VALU_DEP_1) | instskip(NEXT) | instid1(VALU_DEP_1)
	v_fmac_f32_e32 v23, v28, v25
	v_dual_fmac_f32 v21, v25, v25 :: v_dual_add_f32 v22, v22, v23
	s_and_not1_b32 exec_lo, exec_lo, s4
	s_cbranch_execnz .LBB38_143
; %bb.144:
	s_set_inst_prefetch_distance 0x2
	s_or_b32 exec_lo, exec_lo, s4
	global_load_b32 v14, v[4:5], off
.LBB38_145:
	s_or_b32 exec_lo, exec_lo, s2
	s_waitcnt vmcnt(0)
	v_sub_f32_e32 v14, v14, v18
	s_mov_b32 s4, exec_lo
	global_store_b32 v[4:5], v14, off
	global_load_b32 v15, v[12:13], off
	s_waitcnt vmcnt(0)
	v_div_scale_f32 v16, null, v14, v14, v15
	s_delay_alu instid0(VALU_DEP_1) | instskip(SKIP_2) | instid1(VALU_DEP_1)
	v_rcp_f32_e32 v17, v16
	s_waitcnt_depctr 0xfff
	v_fma_f32 v24, -v16, v17, 1.0
	v_fmac_f32_e32 v17, v24, v17
	v_div_scale_f32 v24, vcc_lo, v15, v14, v15
	s_delay_alu instid0(VALU_DEP_1) | instskip(NEXT) | instid1(VALU_DEP_1)
	v_mul_f32_e32 v25, v24, v17
	v_fma_f32 v28, -v16, v25, v24
	s_delay_alu instid0(VALU_DEP_1) | instskip(NEXT) | instid1(VALU_DEP_1)
	v_fmac_f32_e32 v25, v28, v17
	v_fma_f32 v16, -v16, v25, v24
	s_delay_alu instid0(VALU_DEP_1) | instskip(NEXT) | instid1(VALU_DEP_1)
	v_div_fmas_f32 v16, v16, v17, v25
	v_div_fixup_f32 v17, v16, v14, v15
	s_delay_alu instid0(VALU_DEP_1) | instskip(SKIP_1) | instid1(VALU_DEP_2)
	v_fma_f32 v15, v15, v17, 0
	v_fma_f32 v16, v17, v17, v21
	v_add_f32_e32 v24, v23, v15
	v_add_f32_e64 v22, |v22|, v15
	s_delay_alu instid0(VALU_DEP_2) | instskip(NEXT) | instid1(VALU_DEP_1)
	v_dual_add_f32 v23, v10, v23 :: v_dual_mul_f32 v24, 0xc1000000, v24
	v_fma_f32 v24, |v18|, v16, v24
	s_delay_alu instid0(VALU_DEP_1) | instskip(NEXT) | instid1(VALU_DEP_1)
	v_sub_f32_e32 v24, v24, v15
	v_dual_add_f32 v15, v23, v15 :: v_dual_add_f32 v24, v10, v24
	s_delay_alu instid0(VALU_DEP_1) | instskip(NEXT) | instid1(VALU_DEP_1)
	v_add_f32_e32 v22, v22, v24
	v_mul_f32_e32 v22, s7, v22
	s_delay_alu instid0(VALU_DEP_1)
	v_cmpx_nle_f32_e64 |v15|, v22
	s_cbranch_execz .LBB38_187
; %bb.146:
	global_load_b32 v23, v[8:9], off offset:-8
	v_mul_f32_e32 v17, v17, v17
	v_cmp_lt_f32_e32 vcc_lo, 0, v15
	v_cmp_lt_f32_e64 s1, v18, v20
	s_mov_b32 s5, exec_lo
                                        ; implicit-def: $vgpr22
	s_delay_alu instid0(VALU_DEP_1) | instskip(SKIP_2) | instid1(VALU_DEP_1)
	s_and_b32 s1, s1, vcc_lo
	s_waitcnt vmcnt(0)
	v_fma_f32 v21, -v21, v23, v15
	v_fma_f32 v17, -v14, v17, v21
	s_delay_alu instid0(VALU_DEP_1)
	v_cmpx_neq_f32_e32 0, v17
	s_xor_b32 s5, exec_lo, s5
	s_cbranch_execz .LBB38_152
; %bb.147:
	v_mul_f32_e32 v22, v14, v23
	v_add_f32_e32 v23, v14, v23
	s_delay_alu instid0(VALU_DEP_2) | instskip(SKIP_1) | instid1(VALU_DEP_2)
	v_mul_f32_e32 v21, v15, v22
	v_mul_f32_e32 v22, v16, v22
	v_mul_f32_e32 v24, -4.0, v21
	s_delay_alu instid0(VALU_DEP_2) | instskip(NEXT) | instid1(VALU_DEP_2)
	v_fma_f32 v23, v15, v23, -v22
	v_mul_f32_e64 v22, v24, |v17|
	s_delay_alu instid0(VALU_DEP_1) | instskip(NEXT) | instid1(VALU_DEP_1)
	v_fmac_f32_e32 v22, v23, v23
	v_mul_f32_e64 v24, 0x4f800000, |v22|
	v_cmp_gt_f32_e64 vcc_lo, 0xf800000, |v22|
	s_delay_alu instid0(VALU_DEP_1) | instskip(NEXT) | instid1(VALU_DEP_1)
	v_cndmask_b32_e64 v22, |v22|, v24, vcc_lo
	v_sqrt_f32_e32 v24, v22
	s_waitcnt_depctr 0xfff
	v_add_nc_u32_e32 v25, -1, v24
	v_add_nc_u32_e32 v28, 1, v24
	s_delay_alu instid0(VALU_DEP_2) | instskip(NEXT) | instid1(VALU_DEP_2)
	v_fma_f32 v29, -v25, v24, v22
	v_fma_f32 v30, -v28, v24, v22
	s_delay_alu instid0(VALU_DEP_2) | instskip(NEXT) | instid1(VALU_DEP_1)
	v_cmp_ge_f32_e64 s2, 0, v29
	v_cndmask_b32_e64 v24, v24, v25, s2
	s_delay_alu instid0(VALU_DEP_3) | instskip(NEXT) | instid1(VALU_DEP_1)
	v_cmp_lt_f32_e64 s2, 0, v30
	v_cndmask_b32_e64 v24, v24, v28, s2
	s_mov_b32 s2, exec_lo
	s_delay_alu instid0(VALU_DEP_1) | instskip(NEXT) | instid1(VALU_DEP_1)
	v_mul_f32_e32 v25, 0x37800000, v24
	v_cndmask_b32_e32 v24, v24, v25, vcc_lo
	v_cmp_class_f32_e64 vcc_lo, v22, 0x260
	s_delay_alu instid0(VALU_DEP_2)
	v_cndmask_b32_e32 v24, v24, v22, vcc_lo
                                        ; implicit-def: $vgpr22
	v_cmpx_le_f32_e32 0, v23
	s_xor_b32 s2, exec_lo, s2
	s_cbranch_execz .LBB38_149
; %bb.148:
	s_delay_alu instid0(VALU_DEP_2) | instskip(SKIP_1) | instid1(VALU_DEP_1)
	v_add_f32_e32 v21, v23, v24
	v_add_f32_e64 v17, |v17|, |v17|
	v_div_scale_f32 v22, null, v17, v17, v21
	s_delay_alu instid0(VALU_DEP_1) | instskip(SKIP_2) | instid1(VALU_DEP_1)
	v_rcp_f32_e32 v23, v22
	s_waitcnt_depctr 0xfff
	v_fma_f32 v24, -v22, v23, 1.0
	v_fmac_f32_e32 v23, v24, v23
	v_div_scale_f32 v24, vcc_lo, v21, v17, v21
	s_delay_alu instid0(VALU_DEP_1) | instskip(NEXT) | instid1(VALU_DEP_1)
	v_mul_f32_e32 v25, v24, v23
	v_fma_f32 v28, -v22, v25, v24
	s_delay_alu instid0(VALU_DEP_1) | instskip(NEXT) | instid1(VALU_DEP_1)
	v_fmac_f32_e32 v25, v28, v23
	v_fma_f32 v22, -v22, v25, v24
                                        ; implicit-def: $vgpr24
	s_delay_alu instid0(VALU_DEP_1) | instskip(NEXT) | instid1(VALU_DEP_1)
	v_div_fmas_f32 v22, v22, v23, v25
                                        ; implicit-def: $vgpr23
	v_div_fixup_f32 v22, v22, v17, v21
                                        ; implicit-def: $vgpr21
.LBB38_149:
	s_and_not1_saveexec_b32 s2, s2
	s_cbranch_execz .LBB38_151
; %bb.150:
	v_add_f32_e32 v17, v21, v21
	v_sub_f32_e32 v21, v23, v24
	s_delay_alu instid0(VALU_DEP_1) | instskip(NEXT) | instid1(VALU_DEP_1)
	v_div_scale_f32 v22, null, v21, v21, v17
	v_rcp_f32_e32 v23, v22
	s_waitcnt_depctr 0xfff
	v_fma_f32 v24, -v22, v23, 1.0
	s_delay_alu instid0(VALU_DEP_1) | instskip(SKIP_1) | instid1(VALU_DEP_1)
	v_fmac_f32_e32 v23, v24, v23
	v_div_scale_f32 v24, vcc_lo, v17, v21, v17
	v_mul_f32_e32 v25, v24, v23
	s_delay_alu instid0(VALU_DEP_1) | instskip(NEXT) | instid1(VALU_DEP_1)
	v_fma_f32 v28, -v22, v25, v24
	v_fmac_f32_e32 v25, v28, v23
	s_delay_alu instid0(VALU_DEP_1) | instskip(NEXT) | instid1(VALU_DEP_1)
	v_fma_f32 v22, -v22, v25, v24
	v_div_fmas_f32 v22, v22, v23, v25
	s_delay_alu instid0(VALU_DEP_1)
	v_div_fixup_f32 v22, v22, v21, v17
.LBB38_151:
	s_or_b32 exec_lo, exec_lo, s2
.LBB38_152:
	s_or_saveexec_b32 s2, s5
	v_cndmask_b32_e64 v20, v20, v18, s1
	s_xor_b32 exec_lo, exec_lo, s2
; %bb.153:
	s_delay_alu instid0(VALU_DEP_1)
	v_sub_f32_e32 v22, v20, v18
; %bb.154:
	s_or_b32 exec_lo, exec_lo, s2
	s_delay_alu instid0(VALU_DEP_1) | instskip(SKIP_1) | instid1(VALU_DEP_1)
	v_mul_f32_e32 v17, v15, v22
	s_mov_b32 s1, exec_lo
	v_cmpx_lt_f32_e32 0, v17
; %bb.155:
	v_div_scale_f32 v17, null, v16, v16, -v15
	s_delay_alu instid0(VALU_DEP_1) | instskip(SKIP_2) | instid1(VALU_DEP_1)
	v_rcp_f32_e32 v21, v17
	s_waitcnt_depctr 0xfff
	v_fma_f32 v22, -v17, v21, 1.0
	v_fmac_f32_e32 v21, v22, v21
	v_div_scale_f32 v22, vcc_lo, -v15, v16, -v15
	s_delay_alu instid0(VALU_DEP_1) | instskip(NEXT) | instid1(VALU_DEP_1)
	v_mul_f32_e32 v23, v22, v21
	v_fma_f32 v24, -v17, v23, v22
	s_delay_alu instid0(VALU_DEP_1) | instskip(NEXT) | instid1(VALU_DEP_1)
	v_fmac_f32_e32 v23, v24, v21
	v_fma_f32 v17, -v17, v23, v22
	s_delay_alu instid0(VALU_DEP_1) | instskip(NEXT) | instid1(VALU_DEP_1)
	v_div_fmas_f32 v17, v17, v21, v23
	v_div_fixup_f32 v22, v17, v16, -v15
; %bb.156:
	s_or_b32 exec_lo, exec_lo, s1
	v_cmp_lt_f32_e32 vcc_lo, v19, v18
	s_delay_alu instid0(VALU_DEP_2) | instskip(SKIP_2) | instid1(VALU_DEP_2)
	v_add_f32_e32 v17, v18, v22
	v_cndmask_b32_e32 v16, v19, v18, vcc_lo
	v_cmp_nge_f32_e32 vcc_lo, 0, v15
	v_cndmask_b32_e32 v19, v16, v19, vcc_lo
	s_delay_alu instid0(VALU_DEP_4) | instskip(NEXT) | instid1(VALU_DEP_2)
	v_cmp_gt_f32_e32 vcc_lo, v17, v20
	v_cmp_lt_f32_e64 s1, v17, v19
	s_delay_alu instid0(VALU_DEP_1) | instskip(NEXT) | instid1(SALU_CYCLE_1)
	s_or_b32 s2, vcc_lo, s1
	s_and_saveexec_b32 s1, s2
	s_cbranch_execz .LBB38_162
; %bb.157:
	s_mov_b32 s2, exec_lo
                                        ; implicit-def: $vgpr22
	v_cmpx_ngt_f32_e32 0, v15
	s_xor_b32 s2, exec_lo, s2
; %bb.158:
	v_sub_f32_e32 v15, v19, v18
	s_delay_alu instid0(VALU_DEP_1)
	v_mul_f32_e32 v22, 0.5, v15
; %bb.159:
	s_and_not1_saveexec_b32 s2, s2
; %bb.160:
	v_sub_f32_e32 v15, v20, v18
	s_delay_alu instid0(VALU_DEP_1)
	v_mul_f32_e32 v22, 0.5, v15
; %bb.161:
	s_or_b32 exec_lo, exec_lo, s2
.LBB38_162:
	s_delay_alu instid0(SALU_CYCLE_1)
	s_or_b32 exec_lo, exec_lo, s1
	v_dual_mov_b32 v21, 0 :: v_dual_mov_b32 v24, 0
	v_mov_b32_e32 v23, 0
	s_mov_b32 s5, 0
	s_and_saveexec_b32 s2, s0
	s_cbranch_execz .LBB38_166
; %bb.163:
	v_mov_b32_e32 v15, v7
	v_dual_mov_b32 v17, v3 :: v_dual_mov_b32 v24, 0
	v_dual_mov_b32 v21, 0 :: v_dual_mov_b32 v14, v6
	;; [unrolled: 1-line block ×3, first 2 shown]
	v_mov_b32_e32 v23, 0
	s_set_inst_prefetch_distance 0x1
	.p2align	6
.LBB38_164:                             ; =>This Inner Loop Header: Depth=1
	global_load_b32 v28, v[16:17], off
	s_waitcnt vmcnt(0)
	v_dual_sub_f32 v28, v28, v22 :: v_dual_add_nc_u32 v25, -1, v25
	global_store_b32 v[16:17], v28, off
	global_load_b32 v29, v[14:15], off
	v_add_co_u32 v16, s1, v16, 4
	s_delay_alu instid0(VALU_DEP_1) | instskip(SKIP_1) | instid1(VALU_DEP_1)
	v_add_co_ci_u32_e64 v17, s1, 0, v17, s1
	v_add_co_u32 v14, s1, v14, 4
	v_add_co_ci_u32_e64 v15, s1, 0, v15, s1
	s_waitcnt vmcnt(0)
	v_div_scale_f32 v30, null, v28, v28, v29
	v_div_scale_f32 v33, vcc_lo, v29, v28, v29
	s_delay_alu instid0(VALU_DEP_2) | instskip(SKIP_2) | instid1(VALU_DEP_1)
	v_rcp_f32_e32 v31, v30
	s_waitcnt_depctr 0xfff
	v_fma_f32 v32, -v30, v31, 1.0
	v_fmac_f32_e32 v31, v32, v31
	s_delay_alu instid0(VALU_DEP_1) | instskip(NEXT) | instid1(VALU_DEP_1)
	v_mul_f32_e32 v32, v33, v31
	v_fma_f32 v34, -v30, v32, v33
	s_delay_alu instid0(VALU_DEP_1) | instskip(NEXT) | instid1(VALU_DEP_1)
	v_fmac_f32_e32 v32, v34, v31
	v_fma_f32 v30, -v30, v32, v33
	s_delay_alu instid0(VALU_DEP_1) | instskip(SKIP_1) | instid1(VALU_DEP_2)
	v_div_fmas_f32 v30, v30, v31, v32
	v_cmp_eq_u32_e32 vcc_lo, 0, v25
	v_div_fixup_f32 v28, v30, v28, v29
	s_or_b32 s5, vcc_lo, s5
	s_delay_alu instid0(VALU_DEP_1) | instskip(SKIP_1) | instid1(VALU_DEP_2)
	v_fmac_f32_e32 v24, v29, v28
	v_fmac_f32_e32 v21, v28, v28
	v_add_f32_e32 v23, v23, v24
	s_and_not1_b32 exec_lo, exec_lo, s5
	s_cbranch_execnz .LBB38_164
; %bb.165:
	s_set_inst_prefetch_distance 0x2
	s_or_b32 exec_lo, exec_lo, s5
	global_load_b32 v14, v[4:5], off
.LBB38_166:
	s_or_b32 exec_lo, exec_lo, s2
	s_waitcnt vmcnt(0)
	v_sub_f32_e32 v14, v14, v22
	s_mov_b32 s5, exec_lo
	global_store_b32 v[4:5], v14, off
	global_load_b32 v15, v[12:13], off
	s_waitcnt vmcnt(0)
	v_div_scale_f32 v16, null, v14, v14, v15
	s_delay_alu instid0(VALU_DEP_1) | instskip(SKIP_2) | instid1(VALU_DEP_1)
	v_rcp_f32_e32 v17, v16
	s_waitcnt_depctr 0xfff
	v_fma_f32 v25, -v16, v17, 1.0
	v_fmac_f32_e32 v17, v25, v17
	v_div_scale_f32 v25, vcc_lo, v15, v14, v15
	s_delay_alu instid0(VALU_DEP_1) | instskip(NEXT) | instid1(VALU_DEP_1)
	v_mul_f32_e32 v28, v25, v17
	v_fma_f32 v29, -v16, v28, v25
	s_delay_alu instid0(VALU_DEP_1) | instskip(NEXT) | instid1(VALU_DEP_1)
	v_fmac_f32_e32 v28, v29, v17
	v_fma_f32 v16, -v16, v28, v25
	s_delay_alu instid0(VALU_DEP_1) | instskip(NEXT) | instid1(VALU_DEP_1)
	v_div_fmas_f32 v16, v16, v17, v28
	v_div_fixup_f32 v16, v16, v14, v15
	s_delay_alu instid0(VALU_DEP_1) | instskip(NEXT) | instid1(VALU_DEP_1)
	v_fma_f32 v15, v15, v16, 0
	v_dual_add_f32 v17, v24, v15 :: v_dual_add_f32 v18, v18, v22
	v_fma_f32 v22, v16, v16, v21
	s_delay_alu instid0(VALU_DEP_2) | instskip(NEXT) | instid1(VALU_DEP_1)
	v_mul_f32_e32 v17, 0xc1000000, v17
	v_fma_f32 v17, |v18|, v22, v17
	v_add_f32_e64 v22, |v23|, v15
	v_add_f32_e32 v23, v10, v24
	s_delay_alu instid0(VALU_DEP_3) | instskip(NEXT) | instid1(VALU_DEP_2)
	v_sub_f32_e32 v17, v17, v15
	v_add_f32_e32 v15, v23, v15
	s_delay_alu instid0(VALU_DEP_2) | instskip(NEXT) | instid1(VALU_DEP_1)
	v_add_f32_e32 v17, v10, v17
	v_add_f32_e32 v17, v22, v17
	s_delay_alu instid0(VALU_DEP_1) | instskip(NEXT) | instid1(VALU_DEP_1)
	v_mul_f32_e32 v17, s7, v17
	v_cmpx_nle_f32_e64 |v15|, v17
	s_cbranch_execz .LBB38_186
; %bb.167:
	v_mul_f32_e32 v22, v16, v16
	s_mov_b32 s8, 1
	s_mov_b32 s6, 0
	s_branch .LBB38_169
.LBB38_168:                             ;   in Loop: Header=BB38_169 Depth=1
	s_or_b32 exec_lo, exec_lo, s2
	s_waitcnt vmcnt(0)
	v_sub_f32_e32 v14, v14, v22
	s_add_i32 s1, s8, 1
	s_cmp_gt_u32 s8, 48
	s_mov_b32 s8, s1
	s_cselect_b32 s2, -1, 0
	global_store_b32 v[4:5], v14, off
	global_load_b32 v15, v[12:13], off
	s_waitcnt vmcnt(0)
	v_div_scale_f32 v16, null, v14, v14, v15
	s_delay_alu instid0(VALU_DEP_1) | instskip(SKIP_2) | instid1(VALU_DEP_1)
	v_rcp_f32_e32 v17, v16
	s_waitcnt_depctr 0xfff
	v_fma_f32 v25, -v16, v17, 1.0
	v_fmac_f32_e32 v17, v25, v17
	v_div_scale_f32 v25, vcc_lo, v15, v14, v15
	s_delay_alu instid0(VALU_DEP_1) | instskip(NEXT) | instid1(VALU_DEP_1)
	v_mul_f32_e32 v28, v25, v17
	v_fma_f32 v29, -v16, v28, v25
	s_delay_alu instid0(VALU_DEP_1) | instskip(NEXT) | instid1(VALU_DEP_1)
	v_fmac_f32_e32 v28, v29, v17
	v_fma_f32 v16, -v16, v28, v25
	s_delay_alu instid0(VALU_DEP_1) | instskip(NEXT) | instid1(VALU_DEP_1)
	v_div_fmas_f32 v16, v16, v17, v28
	v_div_fixup_f32 v16, v16, v14, v15
	s_delay_alu instid0(VALU_DEP_1) | instskip(NEXT) | instid1(VALU_DEP_1)
	v_fma_f32 v15, v15, v16, 0
	v_dual_add_f32 v17, v24, v15 :: v_dual_add_f32 v18, v18, v22
	v_fma_f32 v22, v16, v16, v21
	s_delay_alu instid0(VALU_DEP_2) | instskip(NEXT) | instid1(VALU_DEP_1)
	v_mul_f32_e32 v17, 0xc1000000, v17
	v_fma_f32 v17, |v18|, v22, v17
	v_add_f32_e64 v22, |v23|, v15
	v_add_f32_e32 v23, v10, v24
	s_delay_alu instid0(VALU_DEP_3) | instskip(NEXT) | instid1(VALU_DEP_2)
	v_sub_f32_e32 v17, v17, v15
	v_add_f32_e32 v15, v23, v15
	s_delay_alu instid0(VALU_DEP_2) | instskip(NEXT) | instid1(VALU_DEP_1)
	v_add_f32_e32 v17, v10, v17
	v_dual_add_f32 v17, v22, v17 :: v_dual_and_b32 v22, 0x7fffffff, v15
	s_delay_alu instid0(VALU_DEP_1) | instskip(NEXT) | instid1(VALU_DEP_1)
	v_mul_f32_e32 v17, s7, v17
	v_cmp_le_f32_e32 vcc_lo, v22, v17
	v_mul_f32_e32 v22, v16, v16
	s_or_b32 s2, s2, vcc_lo
	s_delay_alu instid0(SALU_CYCLE_1) | instskip(NEXT) | instid1(SALU_CYCLE_1)
	s_and_b32 s2, exec_lo, s2
	s_or_b32 s6, s2, s6
	s_delay_alu instid0(SALU_CYCLE_1)
	s_and_not1_b32 exec_lo, exec_lo, s6
	s_cbranch_execz .LBB38_185
.LBB38_169:                             ; =>This Loop Header: Depth=1
                                        ;     Child Loop BB38_183 Depth 2
	global_load_b32 v23, v[8:9], off offset:-8
	s_waitcnt vmcnt(0)
	v_mul_f32_e32 v24, v14, v23
	v_fma_f32 v25, -v21, v23, v15
	s_delay_alu instid0(VALU_DEP_2) | instskip(SKIP_1) | instid1(VALU_DEP_3)
	v_dual_add_f32 v16, v22, v21 :: v_dual_mul_f32 v17, v15, v24
	v_add_f32_e32 v21, v14, v23
	v_fma_f32 v23, -v14, v22, v25
	s_delay_alu instid0(VALU_DEP_3) | instskip(NEXT) | instid1(VALU_DEP_4)
	v_mul_f32_e32 v22, v16, v24
	v_mul_f32_e32 v24, -4.0, v17
	s_delay_alu instid0(VALU_DEP_2) | instskip(NEXT) | instid1(VALU_DEP_2)
	v_fma_f32 v21, v15, v21, -v22
	v_mul_f32_e32 v22, v24, v23
	s_delay_alu instid0(VALU_DEP_1) | instskip(NEXT) | instid1(VALU_DEP_1)
	v_fmac_f32_e32 v22, v21, v21
	v_mul_f32_e64 v24, 0x4f800000, |v22|
	v_cmp_gt_f32_e64 vcc_lo, 0xf800000, |v22|
	s_delay_alu instid0(VALU_DEP_1) | instskip(NEXT) | instid1(VALU_DEP_1)
	v_cndmask_b32_e64 v22, |v22|, v24, vcc_lo
	v_sqrt_f32_e32 v24, v22
	s_waitcnt_depctr 0xfff
	v_add_nc_u32_e32 v25, -1, v24
	v_add_nc_u32_e32 v28, 1, v24
	s_delay_alu instid0(VALU_DEP_2) | instskip(NEXT) | instid1(VALU_DEP_2)
	v_fma_f32 v29, -v25, v24, v22
	v_fma_f32 v30, -v28, v24, v22
	s_delay_alu instid0(VALU_DEP_2) | instskip(NEXT) | instid1(VALU_DEP_1)
	v_cmp_ge_f32_e64 s1, 0, v29
	v_cndmask_b32_e64 v24, v24, v25, s1
	s_delay_alu instid0(VALU_DEP_3) | instskip(NEXT) | instid1(VALU_DEP_1)
	v_cmp_lt_f32_e64 s1, 0, v30
	v_cndmask_b32_e64 v24, v24, v28, s1
	s_mov_b32 s1, exec_lo
	s_delay_alu instid0(VALU_DEP_1) | instskip(NEXT) | instid1(VALU_DEP_1)
	v_mul_f32_e32 v25, 0x37800000, v24
	v_cndmask_b32_e32 v24, v24, v25, vcc_lo
	v_cmp_class_f32_e64 vcc_lo, v22, 0x260
	s_delay_alu instid0(VALU_DEP_2)
	v_cndmask_b32_e32 v24, v24, v22, vcc_lo
                                        ; implicit-def: $vgpr22
	v_cmpx_le_f32_e32 0, v21
	s_xor_b32 s1, exec_lo, s1
	s_cbranch_execz .LBB38_171
; %bb.170:                              ;   in Loop: Header=BB38_169 Depth=1
	s_delay_alu instid0(VALU_DEP_2) | instskip(SKIP_1) | instid1(VALU_DEP_1)
	v_add_f32_e32 v17, v21, v24
	v_add_f32_e32 v21, v23, v23
	v_div_scale_f32 v22, null, v21, v21, v17
	s_delay_alu instid0(VALU_DEP_1) | instskip(SKIP_2) | instid1(VALU_DEP_1)
	v_rcp_f32_e32 v23, v22
	s_waitcnt_depctr 0xfff
	v_fma_f32 v24, -v22, v23, 1.0
	v_fmac_f32_e32 v23, v24, v23
	v_div_scale_f32 v24, vcc_lo, v17, v21, v17
	s_delay_alu instid0(VALU_DEP_1) | instskip(NEXT) | instid1(VALU_DEP_1)
	v_mul_f32_e32 v25, v24, v23
	v_fma_f32 v28, -v22, v25, v24
	s_delay_alu instid0(VALU_DEP_1) | instskip(NEXT) | instid1(VALU_DEP_1)
	v_fmac_f32_e32 v25, v28, v23
	v_fma_f32 v22, -v22, v25, v24
                                        ; implicit-def: $vgpr24
	s_delay_alu instid0(VALU_DEP_1) | instskip(NEXT) | instid1(VALU_DEP_1)
	v_div_fmas_f32 v22, v22, v23, v25
	v_div_fixup_f32 v22, v22, v21, v17
                                        ; implicit-def: $vgpr17
                                        ; implicit-def: $vgpr21
.LBB38_171:                             ;   in Loop: Header=BB38_169 Depth=1
	s_and_not1_saveexec_b32 s1, s1
	s_cbranch_execz .LBB38_173
; %bb.172:                              ;   in Loop: Header=BB38_169 Depth=1
	v_add_f32_e32 v17, v17, v17
	v_sub_f32_e32 v21, v21, v24
	s_delay_alu instid0(VALU_DEP_1) | instskip(NEXT) | instid1(VALU_DEP_1)
	v_div_scale_f32 v22, null, v21, v21, v17
	v_rcp_f32_e32 v23, v22
	s_waitcnt_depctr 0xfff
	v_fma_f32 v24, -v22, v23, 1.0
	s_delay_alu instid0(VALU_DEP_1) | instskip(SKIP_1) | instid1(VALU_DEP_1)
	v_fmac_f32_e32 v23, v24, v23
	v_div_scale_f32 v24, vcc_lo, v17, v21, v17
	v_mul_f32_e32 v25, v24, v23
	s_delay_alu instid0(VALU_DEP_1) | instskip(NEXT) | instid1(VALU_DEP_1)
	v_fma_f32 v28, -v22, v25, v24
	v_fmac_f32_e32 v25, v28, v23
	s_delay_alu instid0(VALU_DEP_1) | instskip(NEXT) | instid1(VALU_DEP_1)
	v_fma_f32 v22, -v22, v25, v24
	v_div_fmas_f32 v22, v22, v23, v25
	s_delay_alu instid0(VALU_DEP_1)
	v_div_fixup_f32 v22, v22, v21, v17
.LBB38_173:                             ;   in Loop: Header=BB38_169 Depth=1
	s_or_b32 exec_lo, exec_lo, s1
	s_delay_alu instid0(VALU_DEP_1) | instskip(SKIP_1) | instid1(VALU_DEP_1)
	v_mul_f32_e32 v17, v15, v22
	s_mov_b32 s1, exec_lo
	v_cmpx_lt_f32_e32 0, v17
; %bb.174:                              ;   in Loop: Header=BB38_169 Depth=1
	v_div_scale_f32 v17, null, v16, v16, -v15
	s_delay_alu instid0(VALU_DEP_1) | instskip(SKIP_2) | instid1(VALU_DEP_1)
	v_rcp_f32_e32 v21, v17
	s_waitcnt_depctr 0xfff
	v_fma_f32 v22, -v17, v21, 1.0
	v_fmac_f32_e32 v21, v22, v21
	v_div_scale_f32 v22, vcc_lo, -v15, v16, -v15
	s_delay_alu instid0(VALU_DEP_1) | instskip(NEXT) | instid1(VALU_DEP_1)
	v_mul_f32_e32 v23, v22, v21
	v_fma_f32 v24, -v17, v23, v22
	s_delay_alu instid0(VALU_DEP_1) | instskip(NEXT) | instid1(VALU_DEP_1)
	v_fmac_f32_e32 v23, v24, v21
	v_fma_f32 v17, -v17, v23, v22
	s_delay_alu instid0(VALU_DEP_1) | instskip(NEXT) | instid1(VALU_DEP_1)
	v_div_fmas_f32 v17, v17, v21, v23
	v_div_fixup_f32 v22, v17, v16, -v15
; %bb.175:                              ;   in Loop: Header=BB38_169 Depth=1
	s_or_b32 exec_lo, exec_lo, s1
	v_cmp_lt_f32_e32 vcc_lo, 0, v15
	v_cmp_lt_f32_e64 s1, v18, v20
	v_cmp_lt_f32_e64 s2, v19, v18
	v_add_f32_e32 v17, v18, v22
	s_delay_alu instid0(VALU_DEP_3) | instskip(NEXT) | instid1(VALU_DEP_2)
	s_and_b32 vcc_lo, vcc_lo, s1
	v_cndmask_b32_e64 v16, v19, v18, s2
	v_cndmask_b32_e32 v20, v20, v18, vcc_lo
	v_cmp_nge_f32_e32 vcc_lo, 0, v15
	s_delay_alu instid0(VALU_DEP_3) | instskip(NEXT) | instid1(VALU_DEP_3)
	v_cndmask_b32_e32 v19, v16, v19, vcc_lo
	v_cmp_gt_f32_e32 vcc_lo, v17, v20
	s_delay_alu instid0(VALU_DEP_2) | instskip(NEXT) | instid1(VALU_DEP_1)
	v_cmp_lt_f32_e64 s1, v17, v19
	s_or_b32 s2, vcc_lo, s1
	s_delay_alu instid0(SALU_CYCLE_1)
	s_and_saveexec_b32 s1, s2
	s_cbranch_execz .LBB38_181
; %bb.176:                              ;   in Loop: Header=BB38_169 Depth=1
	s_mov_b32 s2, exec_lo
                                        ; implicit-def: $vgpr22
	v_cmpx_ngt_f32_e32 0, v15
	s_xor_b32 s2, exec_lo, s2
; %bb.177:                              ;   in Loop: Header=BB38_169 Depth=1
	v_sub_f32_e32 v15, v19, v18
	s_delay_alu instid0(VALU_DEP_1)
	v_mul_f32_e32 v22, 0.5, v15
; %bb.178:                              ;   in Loop: Header=BB38_169 Depth=1
	s_and_not1_saveexec_b32 s2, s2
; %bb.179:                              ;   in Loop: Header=BB38_169 Depth=1
	v_sub_f32_e32 v15, v20, v18
	s_delay_alu instid0(VALU_DEP_1)
	v_mul_f32_e32 v22, 0.5, v15
; %bb.180:                              ;   in Loop: Header=BB38_169 Depth=1
	s_or_b32 exec_lo, exec_lo, s2
.LBB38_181:                             ;   in Loop: Header=BB38_169 Depth=1
	s_delay_alu instid0(SALU_CYCLE_1)
	s_or_b32 exec_lo, exec_lo, s1
	v_dual_mov_b32 v21, 0 :: v_dual_mov_b32 v24, 0
	v_mov_b32_e32 v23, 0
	s_and_saveexec_b32 s2, s0
	s_cbranch_execz .LBB38_168
; %bb.182:                              ;   in Loop: Header=BB38_169 Depth=1
	v_mov_b32_e32 v15, v7
	v_dual_mov_b32 v17, v3 :: v_dual_mov_b32 v24, 0
	v_dual_mov_b32 v21, 0 :: v_dual_mov_b32 v14, v6
	;; [unrolled: 1-line block ×3, first 2 shown]
	v_mov_b32_e32 v23, 0
	s_mov_b32 s9, 0
	s_set_inst_prefetch_distance 0x1
	.p2align	6
.LBB38_183:                             ;   Parent Loop BB38_169 Depth=1
                                        ; =>  This Inner Loop Header: Depth=2
	global_load_b32 v28, v[16:17], off
	s_waitcnt vmcnt(0)
	v_dual_sub_f32 v28, v28, v22 :: v_dual_add_nc_u32 v25, -1, v25
	global_store_b32 v[16:17], v28, off
	global_load_b32 v29, v[14:15], off
	v_add_co_u32 v16, s1, v16, 4
	s_delay_alu instid0(VALU_DEP_1) | instskip(SKIP_1) | instid1(VALU_DEP_1)
	v_add_co_ci_u32_e64 v17, s1, 0, v17, s1
	v_add_co_u32 v14, s1, v14, 4
	v_add_co_ci_u32_e64 v15, s1, 0, v15, s1
	s_waitcnt vmcnt(0)
	v_div_scale_f32 v30, null, v28, v28, v29
	v_div_scale_f32 v33, vcc_lo, v29, v28, v29
	s_delay_alu instid0(VALU_DEP_2) | instskip(SKIP_2) | instid1(VALU_DEP_1)
	v_rcp_f32_e32 v31, v30
	s_waitcnt_depctr 0xfff
	v_fma_f32 v32, -v30, v31, 1.0
	v_fmac_f32_e32 v31, v32, v31
	s_delay_alu instid0(VALU_DEP_1) | instskip(NEXT) | instid1(VALU_DEP_1)
	v_mul_f32_e32 v32, v33, v31
	v_fma_f32 v34, -v30, v32, v33
	s_delay_alu instid0(VALU_DEP_1) | instskip(NEXT) | instid1(VALU_DEP_1)
	v_fmac_f32_e32 v32, v34, v31
	v_fma_f32 v30, -v30, v32, v33
	s_delay_alu instid0(VALU_DEP_1) | instskip(SKIP_1) | instid1(VALU_DEP_2)
	v_div_fmas_f32 v30, v30, v31, v32
	v_cmp_eq_u32_e32 vcc_lo, 0, v25
	v_div_fixup_f32 v28, v30, v28, v29
	s_or_b32 s9, vcc_lo, s9
	s_delay_alu instid0(VALU_DEP_1) | instskip(SKIP_1) | instid1(VALU_DEP_2)
	v_fmac_f32_e32 v24, v29, v28
	v_fmac_f32_e32 v21, v28, v28
	v_add_f32_e32 v23, v23, v24
	s_and_not1_b32 exec_lo, exec_lo, s9
	s_cbranch_execnz .LBB38_183
; %bb.184:                              ;   in Loop: Header=BB38_169 Depth=1
	s_set_inst_prefetch_distance 0x2
	s_or_b32 exec_lo, exec_lo, s9
	global_load_b32 v14, v[4:5], off
	s_branch .LBB38_168
.LBB38_185:
	s_or_b32 exec_lo, exec_lo, s6
.LBB38_186:
	s_delay_alu instid0(SALU_CYCLE_1)
	s_or_b32 exec_lo, exec_lo, s5
.LBB38_187:
	s_delay_alu instid0(SALU_CYCLE_1)
	s_or_b32 exec_lo, exec_lo, s4
	v_add_f32_e32 v35, v27, v18
.LBB38_188:
	s_or_b32 exec_lo, exec_lo, s3
	v_add_co_u32 v0, vcc_lo, s20, v0
	v_add_co_ci_u32_e32 v1, vcc_lo, s21, v1, vcc_lo
	s_waitcnt vmcnt(1)
	v_cmp_gt_f32_e32 vcc_lo, 0, v26
	global_store_b32 v[0:1], v35, off
	s_and_b32 exec_lo, exec_lo, vcc_lo
	s_cbranch_execz .LBB38_190
; %bb.189:
	v_xor_b32_e32 v2, 0x80000000, v35
	global_store_b32 v[0:1], v2, off
.LBB38_190:
	s_nop 0
	s_sendmsg sendmsg(MSG_DEALLOC_VGPRS)
	s_endpgm
	.section	.rodata,"a",@progbits
	.p2align	6, 0x0
	.amdhsa_kernel _ZN9rocsolver6v33100L30stedc_mergeValues_Solve_kernelIfEEviiPT_lS3_lS3_S3_PiS2_S2_S2_
		.amdhsa_group_segment_fixed_size 0
		.amdhsa_private_segment_fixed_size 0
		.amdhsa_kernarg_size 336
		.amdhsa_user_sgpr_count 14
		.amdhsa_user_sgpr_dispatch_ptr 0
		.amdhsa_user_sgpr_queue_ptr 0
		.amdhsa_user_sgpr_kernarg_segment_ptr 1
		.amdhsa_user_sgpr_dispatch_id 0
		.amdhsa_user_sgpr_private_segment_size 0
		.amdhsa_wavefront_size32 1
		.amdhsa_uses_dynamic_stack 0
		.amdhsa_enable_private_segment 0
		.amdhsa_system_sgpr_workgroup_id_x 1
		.amdhsa_system_sgpr_workgroup_id_y 1
		.amdhsa_system_sgpr_workgroup_id_z 0
		.amdhsa_system_sgpr_workgroup_info 0
		.amdhsa_system_vgpr_workitem_id 0
		.amdhsa_next_free_vgpr 48
		.amdhsa_next_free_sgpr 26
		.amdhsa_reserve_vcc 1
		.amdhsa_float_round_mode_32 0
		.amdhsa_float_round_mode_16_64 0
		.amdhsa_float_denorm_mode_32 3
		.amdhsa_float_denorm_mode_16_64 3
		.amdhsa_dx10_clamp 1
		.amdhsa_ieee_mode 1
		.amdhsa_fp16_overflow 0
		.amdhsa_workgroup_processor_mode 1
		.amdhsa_memory_ordered 1
		.amdhsa_forward_progress 0
		.amdhsa_shared_vgpr_count 0
		.amdhsa_exception_fp_ieee_invalid_op 0
		.amdhsa_exception_fp_denorm_src 0
		.amdhsa_exception_fp_ieee_div_zero 0
		.amdhsa_exception_fp_ieee_overflow 0
		.amdhsa_exception_fp_ieee_underflow 0
		.amdhsa_exception_fp_ieee_inexact 0
		.amdhsa_exception_int_div_zero 0
	.end_amdhsa_kernel
	.section	.text._ZN9rocsolver6v33100L30stedc_mergeValues_Solve_kernelIfEEviiPT_lS3_lS3_S3_PiS2_S2_S2_,"axG",@progbits,_ZN9rocsolver6v33100L30stedc_mergeValues_Solve_kernelIfEEviiPT_lS3_lS3_S3_PiS2_S2_S2_,comdat
.Lfunc_end38:
	.size	_ZN9rocsolver6v33100L30stedc_mergeValues_Solve_kernelIfEEviiPT_lS3_lS3_S3_PiS2_S2_S2_, .Lfunc_end38-_ZN9rocsolver6v33100L30stedc_mergeValues_Solve_kernelIfEEviiPT_lS3_lS3_S3_PiS2_S2_S2_
                                        ; -- End function
	.section	.AMDGPU.csdata,"",@progbits
; Kernel info:
; codeLenInByte = 13420
; NumSgprs: 28
; NumVgprs: 48
; ScratchSize: 0
; MemoryBound: 0
; FloatMode: 240
; IeeeMode: 1
; LDSByteSize: 0 bytes/workgroup (compile time only)
; SGPRBlocks: 3
; VGPRBlocks: 5
; NumSGPRsForWavesPerEU: 28
; NumVGPRsForWavesPerEU: 48
; Occupancy: 16
; WaveLimiterHint : 1
; COMPUTE_PGM_RSRC2:SCRATCH_EN: 0
; COMPUTE_PGM_RSRC2:USER_SGPR: 14
; COMPUTE_PGM_RSRC2:TRAP_HANDLER: 0
; COMPUTE_PGM_RSRC2:TGID_X_EN: 1
; COMPUTE_PGM_RSRC2:TGID_Y_EN: 1
; COMPUTE_PGM_RSRC2:TGID_Z_EN: 0
; COMPUTE_PGM_RSRC2:TIDIG_COMP_CNT: 0
	.section	.text._ZN9rocsolver6v33100L32stedc_mergeValues_Rescale_kernelIfEEviiPT_lS3_lS3_S3_PiS2_S2_S2_,"axG",@progbits,_ZN9rocsolver6v33100L32stedc_mergeValues_Rescale_kernelIfEEviiPT_lS3_lS3_S3_PiS2_S2_S2_,comdat
	.globl	_ZN9rocsolver6v33100L32stedc_mergeValues_Rescale_kernelIfEEviiPT_lS3_lS3_S3_PiS2_S2_S2_ ; -- Begin function _ZN9rocsolver6v33100L32stedc_mergeValues_Rescale_kernelIfEEviiPT_lS3_lS3_S3_PiS2_S2_S2_
	.p2align	8
	.type	_ZN9rocsolver6v33100L32stedc_mergeValues_Rescale_kernelIfEEviiPT_lS3_lS3_S3_PiS2_S2_S2_,@function
_ZN9rocsolver6v33100L32stedc_mergeValues_Rescale_kernelIfEEviiPT_lS3_lS3_S3_PiS2_S2_S2_: ; @_ZN9rocsolver6v33100L32stedc_mergeValues_Rescale_kernelIfEEviiPT_lS3_lS3_S3_PiS2_S2_S2_
; %bb.0:
	s_clause 0x1
	s_load_b32 s8, s[0:1], 0x4
	s_load_b64 s[4:5], s[0:1], 0x38
	s_mov_b32 s2, s15
	s_waitcnt lgkmcnt(0)
	s_mul_i32 s3, s15, s8
	s_ashr_i32 s9, s8, 31
	s_mul_i32 s6, s3, 13
	s_mul_i32 s10, s8, 6
	s_ashr_i32 s7, s6, 31
	s_delay_alu instid0(SALU_CYCLE_1) | instskip(NEXT) | instid1(SALU_CYCLE_1)
	s_lshl_b64 s[6:7], s[6:7], 2
	s_add_u32 s6, s4, s6
	s_addc_u32 s7, s5, s7
	s_ashr_i32 s11, s10, 31
	s_delay_alu instid0(SALU_CYCLE_1) | instskip(NEXT) | instid1(SALU_CYCLE_1)
	s_lshl_b64 s[4:5], s[10:11], 2
	s_add_u32 s6, s6, s4
	s_addc_u32 s7, s7, s5
	s_ashr_i32 s15, s14, 31
	s_lshl_b64 s[4:5], s[8:9], 2
	s_lshl_b64 s[10:11], s[14:15], 2
	s_delay_alu instid0(SALU_CYCLE_1)
	s_add_u32 s6, s6, s10
	s_addc_u32 s7, s7, s11
	s_add_u32 s4, s6, s4
	s_addc_u32 s5, s7, s5
	s_clause 0x1
	s_load_b32 s9, s[6:7], 0x0
	s_load_b32 s15, s[4:5], 0x0
	s_waitcnt lgkmcnt(0)
	s_sub_i32 s4, s14, s9
	s_delay_alu instid0(SALU_CYCLE_1)
	s_cmp_ge_i32 s4, s15
	s_cbranch_scc1 .LBB39_17
; %bb.1:
	s_load_b128 s[4:7], s[0:1], 0x28
	s_mov_b32 s16, exec_lo
                                        ; implicit-def: $sgpr13
                                        ; implicit-def: $sgpr12
	v_cmpx_le_i32_e64 s15, v0
	s_xor_b32 s16, exec_lo, s16
	s_cbranch_execz .LBB39_3
; %bb.2:
	s_load_b32 s12, s[0:1], 0x5c
	s_mov_b32 s13, 1.0
.LBB39_3:
	s_or_saveexec_b32 s16, s16
	s_waitcnt lgkmcnt(0)
	v_dual_mov_b32 v3, s13 :: v_dual_mov_b32 v2, s12
	s_xor_b32 exec_lo, exec_lo, s16
	s_cbranch_execz .LBB39_9
; %bb.4:
	s_clause 0x1
	s_load_b128 s[20:23], s[0:1], 0x8
	s_load_b32 s17, s[0:1], 0x5c
	s_ashr_i32 s13, s2, 31
	s_mul_i32 s19, s3, s8
	v_dual_mov_b32 v4, v0 :: v_dual_add_nc_u32 v3, s9, v0
	s_mul_i32 s12, s8, s8
	s_delay_alu instid0(VALU_DEP_1) | instskip(SKIP_1) | instid1(VALU_DEP_2)
	v_mad_u64_u32 v[1:2], null, s8, v3, s[14:15]
	v_mov_b32_e32 v3, 1.0
	v_subrev_nc_u32_e32 v1, s9, v1
	s_waitcnt lgkmcnt(0)
	s_mul_i32 s0, s2, s23
	s_mul_hi_u32 s1, s2, s22
	s_mul_i32 s13, s13, s22
	s_add_i32 s1, s1, s0
	s_mul_i32 s0, s2, s22
	s_add_i32 s1, s1, s13
	s_mov_b32 s13, 0
	s_lshl_b64 s[0:1], s[0:1], 2
	s_delay_alu instid0(SALU_CYCLE_1) | instskip(SKIP_2) | instid1(SALU_CYCLE_1)
	s_add_u32 s2, s20, s0
	s_addc_u32 s18, s21, s1
	s_lshl_b32 s0, s19, 1
	s_ashr_i32 s1, s0, 31
	s_delay_alu instid0(SALU_CYCLE_1) | instskip(NEXT) | instid1(SALU_CYCLE_1)
	s_lshl_b64 s[0:1], s[0:1], 2
	s_add_u32 s6, s6, s0
	s_addc_u32 s7, s7, s1
	s_lshl_b64 s[0:1], s[12:13], 2
	s_delay_alu instid0(SALU_CYCLE_1)
	s_add_u32 s6, s6, s0
	s_addc_u32 s7, s7, s1
	s_add_u32 s0, s2, s10
	s_addc_u32 s1, s18, s11
	s_and_b32 s12, s17, 0xffff
	s_sub_i32 s14, s9, s14
	s_mul_i32 s19, s8, s12
	s_branch .LBB39_6
.LBB39_5:                               ;   in Loop: Header=BB39_6 Depth=1
	s_or_b32 exec_lo, exec_lo, s20
	s_waitcnt vmcnt(0)
	s_delay_alu instid0(VALU_DEP_1) | instskip(SKIP_1) | instid1(VALU_DEP_2)
	v_dual_mul_f32 v3, v3, v2 :: v_dual_add_nc_u32 v4, s12, v4
	v_add_nc_u32_e32 v1, s19, v1
	v_cmp_le_i32_e32 vcc_lo, s15, v4
	s_or_b32 s13, vcc_lo, s13
	s_delay_alu instid0(SALU_CYCLE_1)
	s_and_not1_b32 exec_lo, exec_lo, s13
	s_cbranch_execz .LBB39_8
.LBB39_6:                               ; =>This Inner Loop Header: Depth=1
	v_ashrrev_i32_e32 v2, 31, v1
	s_mov_b32 s20, exec_lo
	s_delay_alu instid0(VALU_DEP_1) | instskip(NEXT) | instid1(VALU_DEP_1)
	v_lshlrev_b64 v[5:6], 2, v[1:2]
	v_add_co_u32 v5, vcc_lo, s6, v5
	s_delay_alu instid0(VALU_DEP_2) | instskip(SKIP_2) | instid1(VALU_DEP_1)
	v_add_co_ci_u32_e32 v6, vcc_lo, s7, v6, vcc_lo
	global_load_b32 v2, v[5:6], off
	v_add_nc_u32_e32 v5, s14, v4
	v_cmpx_ne_u32_e32 0, v5
	s_cbranch_execz .LBB39_5
; %bb.7:                                ;   in Loop: Header=BB39_6 Depth=1
	v_add_nc_u32_e32 v5, s9, v4
	s_load_b32 s21, s[0:1], 0x0
	s_delay_alu instid0(VALU_DEP_1) | instskip(NEXT) | instid1(VALU_DEP_1)
	v_ashrrev_i32_e32 v6, 31, v5
	v_lshlrev_b64 v[5:6], 2, v[5:6]
	s_delay_alu instid0(VALU_DEP_1) | instskip(NEXT) | instid1(VALU_DEP_2)
	v_add_co_u32 v5, vcc_lo, s2, v5
	v_add_co_ci_u32_e32 v6, vcc_lo, s18, v6, vcc_lo
	global_load_b32 v5, v[5:6], off
	s_waitcnt vmcnt(0) lgkmcnt(0)
	v_sub_f32_e32 v5, s21, v5
	s_delay_alu instid0(VALU_DEP_1) | instskip(NEXT) | instid1(VALU_DEP_1)
	v_div_scale_f32 v6, null, v5, v5, v2
	v_rcp_f32_e32 v7, v6
	s_waitcnt_depctr 0xfff
	v_fma_f32 v8, -v6, v7, 1.0
	s_delay_alu instid0(VALU_DEP_1) | instskip(SKIP_1) | instid1(VALU_DEP_1)
	v_fmac_f32_e32 v7, v8, v7
	v_div_scale_f32 v8, vcc_lo, v2, v5, v2
	v_mul_f32_e32 v9, v8, v7
	s_delay_alu instid0(VALU_DEP_1) | instskip(NEXT) | instid1(VALU_DEP_1)
	v_fma_f32 v10, -v6, v9, v8
	v_fmac_f32_e32 v9, v10, v7
	s_delay_alu instid0(VALU_DEP_1) | instskip(NEXT) | instid1(VALU_DEP_1)
	v_fma_f32 v6, -v6, v9, v8
	v_div_fmas_f32 v6, v6, v7, v9
	s_delay_alu instid0(VALU_DEP_1)
	v_div_fixup_f32 v2, v6, v5, v2
	s_branch .LBB39_5
.LBB39_8:
	s_or_b32 exec_lo, exec_lo, s13
	v_mov_b32_e32 v2, s17
.LBB39_9:
	s_or_b32 exec_lo, exec_lo, s16
	v_lshlrev_b32_e32 v1, 2, v0
	s_mov_b32 s0, exec_lo
	ds_store_b32 v1, v3
	s_waitcnt lgkmcnt(0)
	s_barrier
	buffer_gl0_inv
	v_cmpx_lt_u16_e32 1, v2
	s_cbranch_execz .LBB39_15
; %bb.10:
	v_lshrrev_b16 v2, 1, v2
	s_mov_b32 s1, 0
	s_delay_alu instid0(VALU_DEP_1)
	v_and_b32_e32 v2, 0xffff, v2
	s_branch .LBB39_12
	.p2align	6
.LBB39_11:                              ;   in Loop: Header=BB39_12 Depth=1
	s_or_b32 exec_lo, exec_lo, s2
	v_lshrrev_b32_e32 v4, 1, v2
	v_cmp_gt_u32_e32 vcc_lo, 2, v2
	s_waitcnt lgkmcnt(0)
	s_barrier
	buffer_gl0_inv
	v_mov_b32_e32 v2, v4
	s_or_b32 s1, vcc_lo, s1
	s_delay_alu instid0(SALU_CYCLE_1)
	s_and_not1_b32 exec_lo, exec_lo, s1
	s_cbranch_execz .LBB39_14
.LBB39_12:                              ; =>This Inner Loop Header: Depth=1
	s_mov_b32 s2, exec_lo
	s_delay_alu instid0(VALU_DEP_1)
	v_cmpx_lt_u32_e64 v0, v2
	s_cbranch_execz .LBB39_11
; %bb.13:                               ;   in Loop: Header=BB39_12 Depth=1
	v_lshl_add_u32 v4, v2, 2, v1
	ds_load_b32 v4, v4
	s_waitcnt lgkmcnt(0)
	v_mul_f32_e32 v3, v3, v4
	ds_store_b32 v1, v3
	s_branch .LBB39_11
.LBB39_14:
	s_or_b32 exec_lo, exec_lo, s1
.LBB39_15:
	s_delay_alu instid0(SALU_CYCLE_1) | instskip(NEXT) | instid1(SALU_CYCLE_1)
	s_or_b32 exec_lo, exec_lo, s0
	s_mov_b32 s0, exec_lo
	v_cmpx_eq_u32_e32 0, v0
	s_cbranch_execz .LBB39_17
; %bb.16:
	v_mul_f32_e64 v0, 0x4f800000, |v3|
	v_cmp_gt_f32_e64 vcc_lo, 0xf800000, |v3|
	s_mul_i32 s0, s3, 10
	s_delay_alu instid0(SALU_CYCLE_1) | instskip(NEXT) | instid1(VALU_DEP_1)
	s_ashr_i32 s1, s0, 31
	v_cndmask_b32_e64 v0, |v3|, v0, vcc_lo
	s_lshl_b64 s[0:1], s[0:1], 2
	s_delay_alu instid0(SALU_CYCLE_1) | instskip(SKIP_1) | instid1(VALU_DEP_1)
	s_add_u32 s2, s4, s0
	s_addc_u32 s3, s5, s1
	v_sqrt_f32_e32 v1, v0
	s_lshl_b32 s0, s8, 3
	s_delay_alu instid0(SALU_CYCLE_1) | instskip(NEXT) | instid1(SALU_CYCLE_1)
	s_ashr_i32 s1, s0, 31
	s_lshl_b64 s[0:1], s[0:1], 2
	s_delay_alu instid0(SALU_CYCLE_1)
	s_add_u32 s2, s2, s0
	s_addc_u32 s1, s3, s1
	s_add_u32 s2, s2, s10
	s_waitcnt_depctr 0xfff
	v_add_nc_u32_e32 v2, -1, v1
	v_add_nc_u32_e32 v3, 1, v1
	s_addc_u32 s3, s1, s11
	s_load_b32 s1, s[2:3], 0x0
	s_delay_alu instid0(VALU_DEP_2) | instskip(NEXT) | instid1(VALU_DEP_2)
	v_fma_f32 v4, -v2, v1, v0
	v_fma_f32 v5, -v3, v1, v0
	s_delay_alu instid0(VALU_DEP_2) | instskip(NEXT) | instid1(VALU_DEP_1)
	v_cmp_ge_f32_e64 s0, 0, v4
	v_cndmask_b32_e64 v1, v1, v2, s0
	s_delay_alu instid0(VALU_DEP_3) | instskip(NEXT) | instid1(VALU_DEP_1)
	v_cmp_lt_f32_e64 s0, 0, v5
	v_cndmask_b32_e64 v1, v1, v3, s0
	s_waitcnt lgkmcnt(0)
	v_cmp_lt_f32_e64 s0, s1, 0
	s_delay_alu instid0(VALU_DEP_2) | instskip(NEXT) | instid1(VALU_DEP_1)
	v_mul_f32_e32 v2, 0x37800000, v1
	v_cndmask_b32_e32 v1, v1, v2, vcc_lo
	v_cmp_class_f32_e64 vcc_lo, v0, 0x260
	s_delay_alu instid0(VALU_DEP_2) | instskip(NEXT) | instid1(VALU_DEP_1)
	v_dual_cndmask_b32 v0, v1, v0 :: v_dual_mov_b32 v1, 0
	v_cndmask_b32_e64 v0, v0, -v0, s0
	global_store_b32 v1, v0, s[2:3]
.LBB39_17:
	s_nop 0
	s_sendmsg sendmsg(MSG_DEALLOC_VGPRS)
	s_endpgm
	.section	.rodata,"a",@progbits
	.p2align	6, 0x0
	.amdhsa_kernel _ZN9rocsolver6v33100L32stedc_mergeValues_Rescale_kernelIfEEviiPT_lS3_lS3_S3_PiS2_S2_S2_
		.amdhsa_group_segment_fixed_size 2048
		.amdhsa_private_segment_fixed_size 0
		.amdhsa_kernarg_size 336
		.amdhsa_user_sgpr_count 14
		.amdhsa_user_sgpr_dispatch_ptr 0
		.amdhsa_user_sgpr_queue_ptr 0
		.amdhsa_user_sgpr_kernarg_segment_ptr 1
		.amdhsa_user_sgpr_dispatch_id 0
		.amdhsa_user_sgpr_private_segment_size 0
		.amdhsa_wavefront_size32 1
		.amdhsa_uses_dynamic_stack 0
		.amdhsa_enable_private_segment 0
		.amdhsa_system_sgpr_workgroup_id_x 1
		.amdhsa_system_sgpr_workgroup_id_y 1
		.amdhsa_system_sgpr_workgroup_id_z 0
		.amdhsa_system_sgpr_workgroup_info 0
		.amdhsa_system_vgpr_workitem_id 0
		.amdhsa_next_free_vgpr 11
		.amdhsa_next_free_sgpr 24
		.amdhsa_reserve_vcc 1
		.amdhsa_float_round_mode_32 0
		.amdhsa_float_round_mode_16_64 0
		.amdhsa_float_denorm_mode_32 3
		.amdhsa_float_denorm_mode_16_64 3
		.amdhsa_dx10_clamp 1
		.amdhsa_ieee_mode 1
		.amdhsa_fp16_overflow 0
		.amdhsa_workgroup_processor_mode 1
		.amdhsa_memory_ordered 1
		.amdhsa_forward_progress 0
		.amdhsa_shared_vgpr_count 0
		.amdhsa_exception_fp_ieee_invalid_op 0
		.amdhsa_exception_fp_denorm_src 0
		.amdhsa_exception_fp_ieee_div_zero 0
		.amdhsa_exception_fp_ieee_overflow 0
		.amdhsa_exception_fp_ieee_underflow 0
		.amdhsa_exception_fp_ieee_inexact 0
		.amdhsa_exception_int_div_zero 0
	.end_amdhsa_kernel
	.section	.text._ZN9rocsolver6v33100L32stedc_mergeValues_Rescale_kernelIfEEviiPT_lS3_lS3_S3_PiS2_S2_S2_,"axG",@progbits,_ZN9rocsolver6v33100L32stedc_mergeValues_Rescale_kernelIfEEviiPT_lS3_lS3_S3_PiS2_S2_S2_,comdat
.Lfunc_end39:
	.size	_ZN9rocsolver6v33100L32stedc_mergeValues_Rescale_kernelIfEEviiPT_lS3_lS3_S3_PiS2_S2_S2_, .Lfunc_end39-_ZN9rocsolver6v33100L32stedc_mergeValues_Rescale_kernelIfEEviiPT_lS3_lS3_S3_PiS2_S2_S2_
                                        ; -- End function
	.section	.AMDGPU.csdata,"",@progbits
; Kernel info:
; codeLenInByte = 1124
; NumSgprs: 26
; NumVgprs: 11
; ScratchSize: 0
; MemoryBound: 0
; FloatMode: 240
; IeeeMode: 1
; LDSByteSize: 2048 bytes/workgroup (compile time only)
; SGPRBlocks: 3
; VGPRBlocks: 1
; NumSGPRsForWavesPerEU: 26
; NumVGPRsForWavesPerEU: 11
; Occupancy: 16
; WaveLimiterHint : 1
; COMPUTE_PGM_RSRC2:SCRATCH_EN: 0
; COMPUTE_PGM_RSRC2:USER_SGPR: 14
; COMPUTE_PGM_RSRC2:TRAP_HANDLER: 0
; COMPUTE_PGM_RSRC2:TGID_X_EN: 1
; COMPUTE_PGM_RSRC2:TGID_Y_EN: 1
; COMPUTE_PGM_RSRC2:TGID_Z_EN: 0
; COMPUTE_PGM_RSRC2:TIDIG_COMP_CNT: 0
	.section	.text._ZN9rocsolver6v33100L25stedc_mergeVectors_kernelILb1EfEEviiPT0_iilS3_S3_Pi,"axG",@progbits,_ZN9rocsolver6v33100L25stedc_mergeVectors_kernelILb1EfEEviiPT0_iilS3_S3_Pi,comdat
	.globl	_ZN9rocsolver6v33100L25stedc_mergeVectors_kernelILb1EfEEviiPT0_iilS3_S3_Pi ; -- Begin function _ZN9rocsolver6v33100L25stedc_mergeVectors_kernelILb1EfEEviiPT0_iilS3_S3_Pi
	.p2align	8
	.type	_ZN9rocsolver6v33100L25stedc_mergeVectors_kernelILb1EfEEviiPT0_iilS3_S3_Pi,@function
_ZN9rocsolver6v33100L25stedc_mergeVectors_kernelILb1EfEEviiPT0_iilS3_S3_Pi: ; @_ZN9rocsolver6v33100L25stedc_mergeVectors_kernelILb1EfEEviiPT0_iilS3_S3_Pi
; %bb.0:
	s_clause 0x3
	s_load_b32 s4, s[0:1], 0x4
	s_load_b32 s11, s[0:1], 0x44
	s_load_b64 s[6:7], s[0:1], 0x30
	s_load_b128 s[0:3], s[0:1], 0x20
	s_waitcnt lgkmcnt(0)
	s_mul_i32 s10, s15, s4
	s_ashr_i32 s5, s4, 31
	s_mul_i32 s8, s10, 13
	s_and_b32 s12, s11, 0xffff
	s_ashr_i32 s9, s8, 31
	s_mul_i32 s16, s4, 5
	s_lshl_b64 s[8:9], s[8:9], 2
	s_mul_i32 s11, s10, s4
	s_add_u32 s8, s6, s8
	s_addc_u32 s9, s7, s9
	s_ashr_i32 s17, s16, 31
	s_delay_alu instid0(SALU_CYCLE_1) | instskip(NEXT) | instid1(SALU_CYCLE_1)
	s_lshl_b64 s[6:7], s[16:17], 2
	s_add_u32 s13, s8, s6
	s_addc_u32 s18, s9, s7
	s_ashr_i32 s15, s14, 31
	s_lshl_b32 s6, s11, 1
	s_lshl_b64 s[16:17], s[14:15], 2
	s_lshl_b64 s[8:9], s[4:5], 2
	s_ashr_i32 s7, s6, 31
	s_add_u32 s16, s13, s16
	s_addc_u32 s17, s18, s17
	s_add_u32 s18, s16, s8
	s_addc_u32 s19, s17, s9
	;; [unrolled: 2-line block ×3, first 2 shown]
	s_clause 0x2
	s_load_b32 s5, s[18:19], 0x0
	s_load_b32 s13, s[8:9], 0x0
	;; [unrolled: 1-line block ×3, first 2 shown]
	s_mul_i32 s8, s4, s4
	s_mov_b32 s9, 0
	s_waitcnt lgkmcnt(0)
	s_barrier
	buffer_gl0_inv
	s_sub_i32 s11, s14, s5
	s_delay_alu instid0(SALU_CYCLE_1) | instskip(SKIP_1) | instid1(SALU_CYCLE_1)
	s_cmp_ge_i32 s11, s13
	s_cselect_b32 s15, -1, 0
	s_and_b32 vcc_lo, exec_lo, s15
	s_cbranch_vccnz .LBB40_10
; %bb.1:
	v_mov_b32_e32 v1, 0
	s_mov_b32 s17, exec_lo
	v_cmpx_gt_i32_e64 s13, v0
	s_cbranch_execz .LBB40_5
; %bb.2:
	s_delay_alu instid0(VALU_DEP_2)
	v_mad_u64_u32 v[1:2], null, s14, s4, v[0:1]
	s_lshl_b64 s[22:23], s[6:7], 2
	s_mul_i32 s10, s10, 10
	s_lshl_b32 s20, s4, 3
	s_lshl_b64 s[18:19], s[8:9], 2
	s_ashr_i32 s11, s10, 31
	s_ashr_i32 s21, s20, 31
	s_delay_alu instid0(VALU_DEP_1)
	v_ashrrev_i32_e32 v2, 31, v1
	v_add_nc_u32_e32 v6, s5, v0
	s_add_u32 s24, s2, s18
	s_addc_u32 s19, s3, s19
	s_lshl_b64 s[10:11], s[10:11], 2
	v_lshlrev_b64 v[1:2], 2, v[1:2]
	s_lshl_b64 s[20:21], s[20:21], 2
	s_lshl_b32 s18, s12, 2
	s_add_u32 s10, s10, s20
	s_addc_u32 s11, s11, s21
	s_add_u32 s0, s0, s10
	v_add_co_u32 v1, vcc_lo, s22, v1
	v_add_co_ci_u32_e32 v5, vcc_lo, s23, v2, vcc_lo
	s_addc_u32 s1, s1, s11
	s_delay_alu instid0(VALU_DEP_2) | instskip(NEXT) | instid1(VALU_DEP_2)
	v_add_co_u32 v2, vcc_lo, s24, v1
	v_add_co_ci_u32_e32 v3, vcc_lo, s19, v5, vcc_lo
	v_add_co_u32 v4, vcc_lo, s2, v1
	v_mov_b32_e32 v1, 0
	v_ashrrev_i32_e32 v7, 31, v6
	v_add_co_ci_u32_e32 v5, vcc_lo, s3, v5, vcc_lo
	v_mov_b32_e32 v8, v0
	s_mov_b64 s[10:11], 0
	s_delay_alu instid0(VALU_DEP_3) | instskip(NEXT) | instid1(VALU_DEP_1)
	v_lshlrev_b64 v[6:7], 2, v[6:7]
	v_add_co_u32 v6, vcc_lo, s0, v6
	s_delay_alu instid0(VALU_DEP_2)
	v_add_co_ci_u32_e32 v7, vcc_lo, s1, v7, vcc_lo
	s_mov_b32 s1, 0
	s_set_inst_prefetch_distance 0x1
	.p2align	6
.LBB40_3:                               ; =>This Inner Loop Header: Depth=1
	s_delay_alu instid0(VALU_DEP_2) | instskip(NEXT) | instid1(VALU_DEP_2)
	v_add_co_u32 v9, vcc_lo, v6, s10
	v_add_co_ci_u32_e32 v10, vcc_lo, s11, v7, vcc_lo
	v_add_co_u32 v11, vcc_lo, v2, s10
	v_add_co_ci_u32_e32 v12, vcc_lo, s11, v3, vcc_lo
	v_add_nc_u32_e32 v8, s12, v8
	global_load_b32 v10, v[9:10], off
	global_load_b32 v11, v[11:12], off
	v_cmp_le_i32_e64 s0, s13, v8
	s_waitcnt vmcnt(0)
	v_div_scale_f32 v9, null, v11, v11, v10
	v_div_scale_f32 v14, vcc_lo, v10, v11, v10
	s_delay_alu instid0(VALU_DEP_2) | instskip(SKIP_2) | instid1(VALU_DEP_1)
	v_rcp_f32_e32 v12, v9
	s_waitcnt_depctr 0xfff
	v_fma_f32 v13, -v9, v12, 1.0
	v_fmac_f32_e32 v12, v13, v12
	s_delay_alu instid0(VALU_DEP_1) | instskip(NEXT) | instid1(VALU_DEP_1)
	v_mul_f32_e32 v13, v14, v12
	v_fma_f32 v15, -v9, v13, v14
	s_delay_alu instid0(VALU_DEP_1) | instskip(NEXT) | instid1(VALU_DEP_1)
	v_fmac_f32_e32 v13, v15, v12
	v_fma_f32 v9, -v9, v13, v14
	s_delay_alu instid0(VALU_DEP_1) | instskip(SKIP_2) | instid1(VALU_DEP_2)
	v_div_fmas_f32 v12, v9, v12, v13
	v_add_co_u32 v9, vcc_lo, v4, s10
	s_add_u32 s10, s10, s18
	v_div_fixup_f32 v11, v12, v11, v10
	v_add_co_ci_u32_e32 v10, vcc_lo, s11, v5, vcc_lo
	s_addc_u32 s11, s11, 0
	s_or_b32 s1, s0, s1
	s_delay_alu instid0(VALU_DEP_2)
	v_fmac_f32_e32 v1, v11, v11
	global_store_b32 v[9:10], v11, off
	s_and_not1_b32 exec_lo, exec_lo, s1
	s_cbranch_execnz .LBB40_3
; %bb.4:
	s_set_inst_prefetch_distance 0x2
	s_or_b32 exec_lo, exec_lo, s1
.LBB40_5:
	s_delay_alu instid0(SALU_CYCLE_1)
	s_or_b32 exec_lo, exec_lo, s17
	v_lshlrev_b32_e32 v2, 2, v0
	s_cmp_lt_u32 s12, 2
	ds_store_b32 v2, v1
	s_cbranch_scc1 .LBB40_11
; %bb.6:
	s_mov_b32 s0, s12
	s_branch .LBB40_8
	.p2align	6
.LBB40_7:                               ;   in Loop: Header=BB40_8 Depth=1
	s_or_b32 exec_lo, exec_lo, s10
	s_cmp_lt_u32 s0, 4
	s_mov_b32 s0, s1
	s_cbranch_scc1 .LBB40_11
.LBB40_8:                               ; =>This Inner Loop Header: Depth=1
	s_lshr_b32 s1, s0, 1
	s_mov_b32 s10, exec_lo
	s_waitcnt lgkmcnt(0)
	s_waitcnt_vscnt null, 0x0
	s_barrier
	buffer_gl0_inv
	v_cmpx_gt_u32_e64 s1, v0
	s_cbranch_execz .LBB40_7
; %bb.9:                                ;   in Loop: Header=BB40_8 Depth=1
	v_lshl_add_u32 v3, s1, 2, v2
	ds_load_b32 v3, v3
	s_waitcnt lgkmcnt(0)
	v_add_f32_e32 v1, v1, v3
	ds_store_b32 v2, v1
	s_branch .LBB40_7
.LBB40_10:
                                        ; implicit-def: $vgpr1
	s_add_i32 s16, s16, s5
	s_mov_b32 s0, exec_lo
	v_cmpx_gt_i32_e64 s16, v0
	s_cbranch_execnz .LBB40_12
	s_branch .LBB40_18
.LBB40_11:
	v_mov_b32_e32 v1, 0
	s_waitcnt lgkmcnt(0)
	s_waitcnt_vscnt null, 0x0
	s_barrier
	buffer_gl0_inv
	ds_load_b32 v1, v1
	s_waitcnt lgkmcnt(0)
	v_mul_f32_e32 v2, 0x4f800000, v1
	v_cmp_gt_f32_e32 vcc_lo, 0xf800000, v1
	s_delay_alu instid0(VALU_DEP_2) | instskip(NEXT) | instid1(VALU_DEP_1)
	v_cndmask_b32_e32 v1, v1, v2, vcc_lo
	v_sqrt_f32_e32 v2, v1
	s_waitcnt_depctr 0xfff
	v_add_nc_u32_e32 v3, -1, v2
	v_add_nc_u32_e32 v4, 1, v2
	s_delay_alu instid0(VALU_DEP_2) | instskip(NEXT) | instid1(VALU_DEP_2)
	v_fma_f32 v5, -v3, v2, v1
	v_fma_f32 v6, -v4, v2, v1
	s_delay_alu instid0(VALU_DEP_2) | instskip(NEXT) | instid1(VALU_DEP_1)
	v_cmp_ge_f32_e64 s0, 0, v5
	v_cndmask_b32_e64 v2, v2, v3, s0
	s_delay_alu instid0(VALU_DEP_3) | instskip(NEXT) | instid1(VALU_DEP_1)
	v_cmp_lt_f32_e64 s0, 0, v6
	v_cndmask_b32_e64 v2, v2, v4, s0
	s_delay_alu instid0(VALU_DEP_1) | instskip(NEXT) | instid1(VALU_DEP_1)
	v_mul_f32_e32 v3, 0x37800000, v2
	v_cndmask_b32_e32 v2, v2, v3, vcc_lo
	v_cmp_class_f32_e64 vcc_lo, v1, 0x260
	s_delay_alu instid0(VALU_DEP_2)
	v_cndmask_b32_e32 v1, v2, v1, vcc_lo
	s_add_i32 s16, s16, s5
	s_mov_b32 s0, exec_lo
	v_cmpx_gt_i32_e64 s16, v0
	s_cbranch_execz .LBB40_18
.LBB40_12:
	s_lshl_b64 s[6:7], s[6:7], 2
	s_delay_alu instid0(SALU_CYCLE_1)
	s_add_u32 s1, s2, s6
	s_addc_u32 s2, s3, s7
	s_lshl_b64 s[6:7], s[8:9], 2
	s_mul_i32 s3, s14, s4
	s_add_u32 s4, s1, s6
	s_addc_u32 s6, s2, s7
	s_mov_b32 s7, 0
	s_sub_i32 s8, 0, s5
	s_sub_i32 s9, s3, s5
	s_xor_b32 s10, s15, -1
	s_branch .LBB40_15
.LBB40_13:                              ;   in Loop: Header=BB40_15 Depth=1
	s_or_b32 exec_lo, exec_lo, s11
.LBB40_14:                              ;   in Loop: Header=BB40_15 Depth=1
	s_delay_alu instid0(SALU_CYCLE_1) | instskip(SKIP_2) | instid1(VALU_DEP_2)
	s_or_b32 exec_lo, exec_lo, s0
	v_add_nc_u32_e32 v3, s3, v0
	v_add_nc_u32_e32 v0, s12, v0
	v_ashrrev_i32_e32 v4, 31, v3
	s_delay_alu instid0(VALU_DEP_2) | instskip(NEXT) | instid1(VALU_DEP_2)
	v_cmp_le_i32_e32 vcc_lo, s16, v0
	v_lshlrev_b64 v[3:4], 2, v[3:4]
	s_or_b32 s7, vcc_lo, s7
	s_delay_alu instid0(VALU_DEP_1) | instskip(NEXT) | instid1(VALU_DEP_1)
	v_add_co_u32 v3, s0, s4, v3
	v_add_co_ci_u32_e64 v4, s0, s6, v4, s0
	global_store_b32 v[3:4], v2, off
	s_and_not1_b32 exec_lo, exec_lo, s7
	s_cbranch_execz .LBB40_18
.LBB40_15:                              ; =>This Inner Loop Header: Depth=1
	v_cmp_le_i32_e32 vcc_lo, s5, v0
	v_mov_b32_e32 v2, 0
	s_and_b32 s11, s10, vcc_lo
	s_delay_alu instid0(SALU_CYCLE_1)
	s_and_saveexec_b32 s0, s11
	s_cbranch_execz .LBB40_14
; %bb.16:                               ;   in Loop: Header=BB40_15 Depth=1
	v_add_nc_u32_e32 v2, s8, v0
	s_delay_alu instid0(VALU_DEP_1)
	v_cmp_gt_i32_e32 vcc_lo, s13, v2
	v_mov_b32_e32 v2, 0
	s_and_saveexec_b32 s11, vcc_lo
	s_cbranch_execz .LBB40_13
; %bb.17:                               ;   in Loop: Header=BB40_15 Depth=1
	v_add_nc_u32_e32 v2, s9, v0
	s_delay_alu instid0(VALU_DEP_1) | instskip(NEXT) | instid1(VALU_DEP_1)
	v_ashrrev_i32_e32 v3, 31, v2
	v_lshlrev_b64 v[2:3], 2, v[2:3]
	s_delay_alu instid0(VALU_DEP_1) | instskip(NEXT) | instid1(VALU_DEP_2)
	v_add_co_u32 v2, vcc_lo, s1, v2
	v_add_co_ci_u32_e32 v3, vcc_lo, s2, v3, vcc_lo
	global_load_b32 v2, v[2:3], off
	s_waitcnt vmcnt(0)
	v_div_scale_f32 v3, null, v1, v1, v2
	s_delay_alu instid0(VALU_DEP_1) | instskip(SKIP_2) | instid1(VALU_DEP_1)
	v_rcp_f32_e32 v4, v3
	s_waitcnt_depctr 0xfff
	v_fma_f32 v5, -v3, v4, 1.0
	v_fmac_f32_e32 v4, v5, v4
	v_div_scale_f32 v5, vcc_lo, v2, v1, v2
	s_delay_alu instid0(VALU_DEP_1) | instskip(NEXT) | instid1(VALU_DEP_1)
	v_mul_f32_e32 v6, v5, v4
	v_fma_f32 v7, -v3, v6, v5
	s_delay_alu instid0(VALU_DEP_1) | instskip(NEXT) | instid1(VALU_DEP_1)
	v_fmac_f32_e32 v6, v7, v4
	v_fma_f32 v3, -v3, v6, v5
	s_delay_alu instid0(VALU_DEP_1) | instskip(NEXT) | instid1(VALU_DEP_1)
	v_div_fmas_f32 v3, v3, v4, v6
	v_div_fixup_f32 v2, v3, v1, v2
	s_branch .LBB40_13
.LBB40_18:
	s_nop 0
	s_sendmsg sendmsg(MSG_DEALLOC_VGPRS)
	s_endpgm
	.section	.rodata,"a",@progbits
	.p2align	6, 0x0
	.amdhsa_kernel _ZN9rocsolver6v33100L25stedc_mergeVectors_kernelILb1EfEEviiPT0_iilS3_S3_Pi
		.amdhsa_group_segment_fixed_size 2048
		.amdhsa_private_segment_fixed_size 0
		.amdhsa_kernarg_size 312
		.amdhsa_user_sgpr_count 14
		.amdhsa_user_sgpr_dispatch_ptr 0
		.amdhsa_user_sgpr_queue_ptr 0
		.amdhsa_user_sgpr_kernarg_segment_ptr 1
		.amdhsa_user_sgpr_dispatch_id 0
		.amdhsa_user_sgpr_private_segment_size 0
		.amdhsa_wavefront_size32 1
		.amdhsa_uses_dynamic_stack 0
		.amdhsa_enable_private_segment 0
		.amdhsa_system_sgpr_workgroup_id_x 1
		.amdhsa_system_sgpr_workgroup_id_y 1
		.amdhsa_system_sgpr_workgroup_id_z 0
		.amdhsa_system_sgpr_workgroup_info 0
		.amdhsa_system_vgpr_workitem_id 0
		.amdhsa_next_free_vgpr 16
		.amdhsa_next_free_sgpr 25
		.amdhsa_reserve_vcc 1
		.amdhsa_float_round_mode_32 0
		.amdhsa_float_round_mode_16_64 0
		.amdhsa_float_denorm_mode_32 3
		.amdhsa_float_denorm_mode_16_64 3
		.amdhsa_dx10_clamp 1
		.amdhsa_ieee_mode 1
		.amdhsa_fp16_overflow 0
		.amdhsa_workgroup_processor_mode 1
		.amdhsa_memory_ordered 1
		.amdhsa_forward_progress 0
		.amdhsa_shared_vgpr_count 0
		.amdhsa_exception_fp_ieee_invalid_op 0
		.amdhsa_exception_fp_denorm_src 0
		.amdhsa_exception_fp_ieee_div_zero 0
		.amdhsa_exception_fp_ieee_overflow 0
		.amdhsa_exception_fp_ieee_underflow 0
		.amdhsa_exception_fp_ieee_inexact 0
		.amdhsa_exception_int_div_zero 0
	.end_amdhsa_kernel
	.section	.text._ZN9rocsolver6v33100L25stedc_mergeVectors_kernelILb1EfEEviiPT0_iilS3_S3_Pi,"axG",@progbits,_ZN9rocsolver6v33100L25stedc_mergeVectors_kernelILb1EfEEviiPT0_iilS3_S3_Pi,comdat
.Lfunc_end40:
	.size	_ZN9rocsolver6v33100L25stedc_mergeVectors_kernelILb1EfEEviiPT0_iilS3_S3_Pi, .Lfunc_end40-_ZN9rocsolver6v33100L25stedc_mergeVectors_kernelILb1EfEEviiPT0_iilS3_S3_Pi
                                        ; -- End function
	.section	.AMDGPU.csdata,"",@progbits
; Kernel info:
; codeLenInByte = 1316
; NumSgprs: 27
; NumVgprs: 16
; ScratchSize: 0
; MemoryBound: 0
; FloatMode: 240
; IeeeMode: 1
; LDSByteSize: 2048 bytes/workgroup (compile time only)
; SGPRBlocks: 3
; VGPRBlocks: 1
; NumSGPRsForWavesPerEU: 27
; NumVGPRsForWavesPerEU: 16
; Occupancy: 16
; WaveLimiterHint : 1
; COMPUTE_PGM_RSRC2:SCRATCH_EN: 0
; COMPUTE_PGM_RSRC2:USER_SGPR: 14
; COMPUTE_PGM_RSRC2:TRAP_HANDLER: 0
; COMPUTE_PGM_RSRC2:TGID_X_EN: 1
; COMPUTE_PGM_RSRC2:TGID_Y_EN: 1
; COMPUTE_PGM_RSRC2:TGID_Z_EN: 0
; COMPUTE_PGM_RSRC2:TIDIG_COMP_CNT: 0
	.section	.text._ZN9rocsolver6v33100L24stedc_mergeUpdate_kernelIfEEviiPT_lS3_iilS3_S3_Pi,"axG",@progbits,_ZN9rocsolver6v33100L24stedc_mergeUpdate_kernelIfEEviiPT_lS3_iilS3_S3_Pi,comdat
	.globl	_ZN9rocsolver6v33100L24stedc_mergeUpdate_kernelIfEEviiPT_lS3_iilS3_S3_Pi ; -- Begin function _ZN9rocsolver6v33100L24stedc_mergeUpdate_kernelIfEEviiPT_lS3_iilS3_S3_Pi
	.p2align	8
	.type	_ZN9rocsolver6v33100L24stedc_mergeUpdate_kernelIfEEviiPT_lS3_iilS3_S3_Pi,@function
_ZN9rocsolver6v33100L24stedc_mergeUpdate_kernelIfEEviiPT_lS3_iilS3_S3_Pi: ; @_ZN9rocsolver6v33100L24stedc_mergeUpdate_kernelIfEEviiPT_lS3_iilS3_S3_Pi
; %bb.0:
	s_clause 0x1
	s_load_b32 s12, s[0:1], 0x4
	s_load_b256 s[4:11], s[0:1], 0x28
	s_mov_b32 s2, s15
	s_waitcnt lgkmcnt(0)
	s_mul_i32 s3, s15, s12
	s_mul_i32 s18, s12, 7
	s_mul_i32 s16, s3, 13
	s_delay_alu instid0(SALU_CYCLE_1) | instskip(NEXT) | instid1(SALU_CYCLE_1)
	s_ashr_i32 s17, s16, 31
	s_lshl_b64 s[16:17], s[16:17], 2
	s_delay_alu instid0(SALU_CYCLE_1) | instskip(SKIP_2) | instid1(SALU_CYCLE_1)
	s_add_u32 s13, s10, s16
	s_addc_u32 s15, s11, s17
	s_ashr_i32 s19, s18, 31
	s_lshl_b64 s[10:11], s[18:19], 2
	s_delay_alu instid0(SALU_CYCLE_1) | instskip(SKIP_2) | instid1(SALU_CYCLE_1)
	s_add_u32 s18, s13, s10
	s_addc_u32 s19, s15, s11
	s_ashr_i32 s13, s12, 31
	s_lshl_b64 s[10:11], s[12:13], 3
	s_delay_alu instid0(SALU_CYCLE_1) | instskip(SKIP_2) | instid1(SALU_CYCLE_1)
	s_sub_u32 s10, s18, s10
	s_subb_u32 s11, s19, s11
	s_lshl_b64 s[20:21], s[12:13], 2
	s_add_u32 s13, s10, s20
	s_addc_u32 s17, s11, s21
	s_ashr_i32 s15, s14, 31
	s_delay_alu instid0(SALU_CYCLE_1) | instskip(NEXT) | instid1(SALU_CYCLE_1)
	s_lshl_b64 s[22:23], s[14:15], 2
	s_add_u32 s16, s13, s22
	s_addc_u32 s17, s17, s23
	s_add_u32 s18, s18, s22
	s_addc_u32 s19, s19, s23
	s_clause 0x1
	s_load_b32 s15, s[16:17], 0x0
	s_load_b32 s13, s[18:19], 0x0
	s_waitcnt lgkmcnt(0)
	s_sub_i32 s16, s14, s15
	s_delay_alu instid0(SALU_CYCLE_1)
	s_cmp_ge_i32 s16, s13
	s_cbranch_scc1 .LBB41_6
; %bb.1:
	s_ashr_i32 s13, s2, 31
	s_add_u32 s24, s10, s22
	s_addc_u32 s25, s11, s23
	s_clause 0x1
	s_load_b128 s[16:19], s[0:1], 0x8
	s_load_b64 s[10:11], s[0:1], 0x18
	s_load_b32 s24, s[24:25], 0x0
	s_mov_b32 s25, exec_lo
	v_cmpx_eq_u32_e32 0, v0
	s_cbranch_execz .LBB41_3
; %bb.2:
	s_waitcnt lgkmcnt(0)
	s_mul_i32 s19, s2, s19
	s_mul_hi_u32 s26, s2, s18
	s_delay_alu instid0(SALU_CYCLE_1)
	s_add_i32 s19, s26, s19
	s_mul_i32 s26, s13, s18
	s_mul_i32 s18, s2, s18
	s_add_i32 s19, s19, s26
	s_mul_i32 s26, s3, 10
	s_lshl_b64 s[18:19], s[18:19], 2
	s_delay_alu instid0(SALU_CYCLE_1) | instskip(SKIP_4) | instid1(SALU_CYCLE_1)
	s_add_u32 s16, s16, s18
	s_addc_u32 s17, s17, s19
	s_add_u32 s16, s16, s22
	s_addc_u32 s17, s17, s23
	s_ashr_i32 s27, s26, 31
	s_lshl_b64 s[18:19], s[26:27], 2
	s_delay_alu instid0(SALU_CYCLE_1)
	s_add_u32 s6, s6, s18
	s_addc_u32 s7, s7, s19
	s_add_u32 s6, s6, s20
	s_addc_u32 s7, s7, s21
	;; [unrolled: 2-line block ×3, first 2 shown]
	s_load_b32 s6, s[6:7], 0x0
	s_waitcnt lgkmcnt(0)
	v_dual_mov_b32 v1, 0 :: v_dual_mov_b32 v2, s6
	global_store_b32 v1, v2, s[16:17]
.LBB41_3:
	s_or_b32 exec_lo, exec_lo, s25
	v_add_nc_u32_e32 v0, s15, v0
	s_waitcnt lgkmcnt(0)
	s_add_i32 s6, s24, s15
	s_mov_b32 s7, exec_lo
	s_delay_alu instid0(VALU_DEP_1)
	v_cmpx_gt_i32_e64 s6, v0
	s_cbranch_execz .LBB41_6
; %bb.4:
	s_clause 0x1
	s_load_b64 s[16:17], s[0:1], 0x20
	s_load_b32 s15, s[0:1], 0x54
	s_mul_i32 s5, s2, s5
	s_mul_hi_u32 s7, s2, s4
	s_mul_i32 s13, s13, s4
	s_mul_i32 s4, s2, s4
	s_add_i32 s2, s7, s5
	s_mul_i32 s3, s3, s12
	s_add_i32 s5, s2, s13
	s_delay_alu instid0(SALU_CYCLE_1)
	s_lshl_b64 s[0:1], s[4:5], 2
	s_waitcnt lgkmcnt(0)
	s_ashr_i32 s5, s16, 31
	s_mov_b32 s4, s16
	s_add_u32 s0, s10, s0
	s_addc_u32 s2, s11, s1
	s_lshl_b64 s[4:5], s[4:5], 2
	s_delay_alu instid0(SALU_CYCLE_1) | instskip(SKIP_4) | instid1(SALU_CYCLE_1)
	s_add_u32 s1, s0, s4
	s_addc_u32 s2, s2, s5
	s_lshl_b32 s4, s3, 1
	s_mul_i32 s3, s14, s12
	s_ashr_i32 s5, s4, 31
	s_lshl_b64 s[10:11], s[4:5], 2
	s_mul_i32 s4, s14, s17
	s_add_u32 s5, s8, s10
	s_addc_u32 s7, s9, s11
	s_and_b32 s8, s15, 0xffff
	s_mov_b32 s9, 0
	.p2align	6
.LBB41_5:                               ; =>This Inner Loop Header: Depth=1
	v_add_nc_u32_e32 v1, s3, v0
	s_delay_alu instid0(VALU_DEP_1) | instskip(NEXT) | instid1(VALU_DEP_1)
	v_ashrrev_i32_e32 v2, 31, v1
	v_lshlrev_b64 v[1:2], 2, v[1:2]
	s_delay_alu instid0(VALU_DEP_1) | instskip(NEXT) | instid1(VALU_DEP_2)
	v_add_co_u32 v1, vcc_lo, s5, v1
	v_add_co_ci_u32_e32 v2, vcc_lo, s7, v2, vcc_lo
	global_load_b32 v3, v[1:2], off
	v_add_nc_u32_e32 v1, s4, v0
	v_add_nc_u32_e32 v0, s8, v0
	s_delay_alu instid0(VALU_DEP_2) | instskip(NEXT) | instid1(VALU_DEP_2)
	v_ashrrev_i32_e32 v2, 31, v1
	v_cmp_le_i32_e32 vcc_lo, s6, v0
	s_delay_alu instid0(VALU_DEP_2) | instskip(SKIP_1) | instid1(VALU_DEP_1)
	v_lshlrev_b64 v[1:2], 2, v[1:2]
	s_or_b32 s9, vcc_lo, s9
	v_add_co_u32 v1, s0, s1, v1
	s_delay_alu instid0(VALU_DEP_1)
	v_add_co_ci_u32_e64 v2, s0, s2, v2, s0
	s_waitcnt vmcnt(0)
	global_store_b32 v[1:2], v3, off
	s_and_not1_b32 exec_lo, exec_lo, s9
	s_cbranch_execnz .LBB41_5
.LBB41_6:
	s_nop 0
	s_sendmsg sendmsg(MSG_DEALLOC_VGPRS)
	s_endpgm
	.section	.rodata,"a",@progbits
	.p2align	6, 0x0
	.amdhsa_kernel _ZN9rocsolver6v33100L24stedc_mergeUpdate_kernelIfEEviiPT_lS3_iilS3_S3_Pi
		.amdhsa_group_segment_fixed_size 0
		.amdhsa_private_segment_fixed_size 0
		.amdhsa_kernarg_size 328
		.amdhsa_user_sgpr_count 14
		.amdhsa_user_sgpr_dispatch_ptr 0
		.amdhsa_user_sgpr_queue_ptr 0
		.amdhsa_user_sgpr_kernarg_segment_ptr 1
		.amdhsa_user_sgpr_dispatch_id 0
		.amdhsa_user_sgpr_private_segment_size 0
		.amdhsa_wavefront_size32 1
		.amdhsa_uses_dynamic_stack 0
		.amdhsa_enable_private_segment 0
		.amdhsa_system_sgpr_workgroup_id_x 1
		.amdhsa_system_sgpr_workgroup_id_y 1
		.amdhsa_system_sgpr_workgroup_id_z 0
		.amdhsa_system_sgpr_workgroup_info 0
		.amdhsa_system_vgpr_workitem_id 0
		.amdhsa_next_free_vgpr 4
		.amdhsa_next_free_sgpr 28
		.amdhsa_reserve_vcc 1
		.amdhsa_float_round_mode_32 0
		.amdhsa_float_round_mode_16_64 0
		.amdhsa_float_denorm_mode_32 3
		.amdhsa_float_denorm_mode_16_64 3
		.amdhsa_dx10_clamp 1
		.amdhsa_ieee_mode 1
		.amdhsa_fp16_overflow 0
		.amdhsa_workgroup_processor_mode 1
		.amdhsa_memory_ordered 1
		.amdhsa_forward_progress 0
		.amdhsa_shared_vgpr_count 0
		.amdhsa_exception_fp_ieee_invalid_op 0
		.amdhsa_exception_fp_denorm_src 0
		.amdhsa_exception_fp_ieee_div_zero 0
		.amdhsa_exception_fp_ieee_overflow 0
		.amdhsa_exception_fp_ieee_underflow 0
		.amdhsa_exception_fp_ieee_inexact 0
		.amdhsa_exception_int_div_zero 0
	.end_amdhsa_kernel
	.section	.text._ZN9rocsolver6v33100L24stedc_mergeUpdate_kernelIfEEviiPT_lS3_iilS3_S3_Pi,"axG",@progbits,_ZN9rocsolver6v33100L24stedc_mergeUpdate_kernelIfEEviiPT_lS3_iilS3_S3_Pi,comdat
.Lfunc_end41:
	.size	_ZN9rocsolver6v33100L24stedc_mergeUpdate_kernelIfEEviiPT_lS3_iilS3_S3_Pi, .Lfunc_end41-_ZN9rocsolver6v33100L24stedc_mergeUpdate_kernelIfEEviiPT_lS3_iilS3_S3_Pi
                                        ; -- End function
	.section	.AMDGPU.csdata,"",@progbits
; Kernel info:
; codeLenInByte = 660
; NumSgprs: 30
; NumVgprs: 4
; ScratchSize: 0
; MemoryBound: 0
; FloatMode: 240
; IeeeMode: 1
; LDSByteSize: 0 bytes/workgroup (compile time only)
; SGPRBlocks: 3
; VGPRBlocks: 0
; NumSGPRsForWavesPerEU: 30
; NumVGPRsForWavesPerEU: 4
; Occupancy: 16
; WaveLimiterHint : 0
; COMPUTE_PGM_RSRC2:SCRATCH_EN: 0
; COMPUTE_PGM_RSRC2:USER_SGPR: 14
; COMPUTE_PGM_RSRC2:TRAP_HANDLER: 0
; COMPUTE_PGM_RSRC2:TGID_X_EN: 1
; COMPUTE_PGM_RSRC2:TGID_Y_EN: 1
; COMPUTE_PGM_RSRC2:TGID_Z_EN: 0
; COMPUTE_PGM_RSRC2:TIDIG_COMP_CNT: 0
	.section	.text._ZN9rocsolver6v33100L11stedc_copyDIfEEviPT_lS3_l,"axG",@progbits,_ZN9rocsolver6v33100L11stedc_copyDIfEEviPT_lS3_l,comdat
	.globl	_ZN9rocsolver6v33100L11stedc_copyDIfEEviPT_lS3_l ; -- Begin function _ZN9rocsolver6v33100L11stedc_copyDIfEEviPT_lS3_l
	.p2align	8
	.type	_ZN9rocsolver6v33100L11stedc_copyDIfEEviPT_lS3_l,@function
_ZN9rocsolver6v33100L11stedc_copyDIfEEviPT_lS3_l: ; @_ZN9rocsolver6v33100L11stedc_copyDIfEEviPT_lS3_l
; %bb.0:
	s_clause 0x1
	s_load_b32 s2, s[0:1], 0x34
	s_load_b32 s18, s[0:1], 0x0
	s_waitcnt lgkmcnt(0)
	s_and_b32 s16, s2, 0xffff
	s_add_i32 s4, s18, -1
	s_lshl_b32 s17, s16, 4
	s_abs_i32 s5, s4
	v_cvt_f32_u32_e32 v1, s17
	s_sub_i32 s3, 0, s17
	s_ashr_i32 s4, s4, 31
	s_delay_alu instid0(VALU_DEP_1) | instskip(SKIP_2) | instid1(VALU_DEP_1)
	v_rcp_iflag_f32_e32 v1, v1
	s_waitcnt_depctr 0xfff
	v_mul_f32_e32 v1, 0x4f7ffffe, v1
	v_cvt_u32_f32_e32 v1, v1
	s_delay_alu instid0(VALU_DEP_1) | instskip(NEXT) | instid1(VALU_DEP_1)
	v_readfirstlane_b32 s2, v1
	s_mul_i32 s3, s3, s2
	s_delay_alu instid0(SALU_CYCLE_1) | instskip(NEXT) | instid1(SALU_CYCLE_1)
	s_mul_hi_u32 s3, s2, s3
	s_add_i32 s2, s2, s3
	s_delay_alu instid0(SALU_CYCLE_1) | instskip(NEXT) | instid1(SALU_CYCLE_1)
	s_mul_hi_u32 s2, s5, s2
	s_mul_i32 s3, s2, s17
	s_delay_alu instid0(SALU_CYCLE_1)
	s_sub_i32 s3, s5, s3
	s_add_i32 s5, s2, 1
	s_sub_i32 s6, s3, s17
	s_cmp_ge_u32 s3, s17
	s_cselect_b32 s2, s5, s2
	s_cselect_b32 s3, s6, s3
	s_add_i32 s5, s2, 1
	s_cmp_ge_u32 s3, s17
	s_cselect_b32 s2, s5, s2
	s_delay_alu instid0(SALU_CYCLE_1) | instskip(NEXT) | instid1(SALU_CYCLE_1)
	s_xor_b32 s2, s2, s4
	s_sub_i32 s8, s2, s4
	s_delay_alu instid0(SALU_CYCLE_1)
	s_cmp_lt_i32 s8, 0
	s_cbranch_scc1 .LBB42_67
; %bb.1:
	s_load_b256 s[0:7], s[0:1], 0x8
	s_ashr_i32 s9, s15, 31
	s_mul_i32 s19, s16, 3
	s_mul_i32 s20, s16, 5
	;; [unrolled: 1-line block ×11, first 2 shown]
                                        ; implicit-def: $vgpr2_vgpr3_vgpr4_vgpr5_vgpr6_vgpr7_vgpr8_vgpr9_vgpr10_vgpr11_vgpr12_vgpr13_vgpr14_vgpr15_vgpr16_vgpr17
	s_waitcnt lgkmcnt(0)
	s_mul_i32 s3, s15, s3
	s_mul_hi_u32 s10, s15, s2
	s_mul_i32 s11, s9, s2
	s_add_i32 s3, s10, s3
	s_mul_i32 s2, s15, s2
	s_add_i32 s3, s3, s11
	s_mul_i32 s7, s15, s7
	s_lshl_b64 s[2:3], s[2:3], 2
	s_mul_hi_u32 s10, s15, s6
	s_add_u32 s27, s0, s2
	s_mul_i32 s9, s9, s6
	s_addc_u32 s28, s1, s3
	s_add_i32 s1, s10, s7
	s_mul_i32 s0, s15, s6
	s_add_i32 s1, s1, s9
	s_delay_alu instid0(SALU_CYCLE_1) | instskip(NEXT) | instid1(SALU_CYCLE_1)
	s_lshl_b64 s[0:1], s[0:1], 2
	s_add_u32 s31, s4, s0
	s_addc_u32 s33, s5, s1
	s_add_i32 s34, s8, 1
	s_lshl_b32 s35, s16, 1
	s_lshl_b32 s36, s16, 2
	;; [unrolled: 1-line block ×3, first 2 shown]
	s_branch .LBB42_3
.LBB42_2:                               ;   in Loop: Header=BB42_3 Depth=1
	s_or_b32 exec_lo, exec_lo, s0
	v_add_nc_u32_e32 v0, s17, v0
	s_add_i32 s34, s34, -1
	s_delay_alu instid0(SALU_CYCLE_1)
	s_cmp_eq_u32 s34, 0
	s_cbranch_scc1 .LBB42_67
.LBB42_3:                               ; =>This Inner Loop Header: Depth=1
	s_delay_alu instid0(VALU_DEP_1)
	v_cmp_gt_i32_e32 vcc_lo, s18, v0
	v_ashrrev_i32_e32 v1, 31, v0
	s_and_saveexec_b32 s1, vcc_lo
	s_cbranch_execz .LBB42_5
; %bb.4:                                ;   in Loop: Header=BB42_3 Depth=1
	s_delay_alu instid0(VALU_DEP_1) | instskip(NEXT) | instid1(VALU_DEP_1)
	v_lshlrev_b64 v[18:19], 2, v[0:1]
	v_add_co_u32 v18, s0, s27, v18
	s_delay_alu instid0(VALU_DEP_1)
	v_add_co_ci_u32_e64 v19, s0, s28, v19, s0
	global_load_b32 v2, v[18:19], off
.LBB42_5:                               ;   in Loop: Header=BB42_3 Depth=1
	s_or_b32 exec_lo, exec_lo, s1
	v_add_nc_u32_e32 v18, s16, v0
	s_delay_alu instid0(VALU_DEP_1) | instskip(SKIP_1) | instid1(VALU_DEP_2)
	v_cmp_gt_i32_e64 s0, s18, v18
	v_ashrrev_i32_e32 v19, 31, v18
	s_and_saveexec_b32 s2, s0
	s_cbranch_execz .LBB42_7
; %bb.6:                                ;   in Loop: Header=BB42_3 Depth=1
	s_delay_alu instid0(VALU_DEP_1) | instskip(NEXT) | instid1(VALU_DEP_1)
	v_lshlrev_b64 v[20:21], 2, v[18:19]
	v_add_co_u32 v20, s1, s27, v20
	s_delay_alu instid0(VALU_DEP_1)
	v_add_co_ci_u32_e64 v21, s1, s28, v21, s1
	global_load_b32 v3, v[20:21], off
.LBB42_7:                               ;   in Loop: Header=BB42_3 Depth=1
	s_or_b32 exec_lo, exec_lo, s2
	v_add_nc_u32_e32 v22, s16, v18
	v_add_nc_u32_e32 v20, s35, v0
	s_delay_alu instid0(VALU_DEP_2) | instskip(NEXT) | instid1(VALU_DEP_2)
	v_cmp_gt_i32_e64 s1, s18, v22
	v_ashrrev_i32_e32 v21, 31, v20
	s_delay_alu instid0(VALU_DEP_2)
	s_and_saveexec_b32 s3, s1
	s_cbranch_execz .LBB42_9
; %bb.8:                                ;   in Loop: Header=BB42_3 Depth=1
	s_delay_alu instid0(VALU_DEP_1) | instskip(NEXT) | instid1(VALU_DEP_1)
	v_lshlrev_b64 v[23:24], 2, v[20:21]
	v_add_co_u32 v23, s2, s27, v23
	s_delay_alu instid0(VALU_DEP_1)
	v_add_co_ci_u32_e64 v24, s2, s28, v24, s2
	global_load_b32 v4, v[23:24], off
.LBB42_9:                               ;   in Loop: Header=BB42_3 Depth=1
	s_or_b32 exec_lo, exec_lo, s3
	v_add_nc_u32_e32 v24, s16, v22
	v_add_nc_u32_e32 v22, s19, v0
	s_delay_alu instid0(VALU_DEP_2) | instskip(NEXT) | instid1(VALU_DEP_2)
	v_cmp_gt_i32_e64 s2, s18, v24
	v_ashrrev_i32_e32 v23, 31, v22
	s_delay_alu instid0(VALU_DEP_2)
	s_and_saveexec_b32 s4, s2
	s_cbranch_execz .LBB42_11
; %bb.10:                               ;   in Loop: Header=BB42_3 Depth=1
	s_delay_alu instid0(VALU_DEP_1) | instskip(NEXT) | instid1(VALU_DEP_1)
	v_lshlrev_b64 v[25:26], 2, v[22:23]
	v_add_co_u32 v25, s3, s27, v25
	s_delay_alu instid0(VALU_DEP_1)
	v_add_co_ci_u32_e64 v26, s3, s28, v26, s3
	global_load_b32 v5, v[25:26], off
.LBB42_11:                              ;   in Loop: Header=BB42_3 Depth=1
	s_or_b32 exec_lo, exec_lo, s4
	v_add_nc_u32_e32 v26, s16, v24
	v_add_nc_u32_e32 v24, s36, v0
	s_delay_alu instid0(VALU_DEP_2) | instskip(NEXT) | instid1(VALU_DEP_2)
	v_cmp_gt_i32_e64 s3, s18, v26
	v_ashrrev_i32_e32 v25, 31, v24
	s_delay_alu instid0(VALU_DEP_2)
	s_and_saveexec_b32 s5, s3
	s_cbranch_execz .LBB42_13
; %bb.12:                               ;   in Loop: Header=BB42_3 Depth=1
	s_delay_alu instid0(VALU_DEP_1) | instskip(NEXT) | instid1(VALU_DEP_1)
	v_lshlrev_b64 v[27:28], 2, v[24:25]
	v_add_co_u32 v27, s4, s27, v27
	s_delay_alu instid0(VALU_DEP_1)
	v_add_co_ci_u32_e64 v28, s4, s28, v28, s4
	global_load_b32 v6, v[27:28], off
.LBB42_13:                              ;   in Loop: Header=BB42_3 Depth=1
	;; [unrolled: 17-line block ×12, first 2 shown]
	s_or_b32 exec_lo, exec_lo, s15
	v_add_nc_u32_e32 v47, s16, v46
	v_add_nc_u32_e32 v46, s38, v0
	s_delay_alu instid0(VALU_DEP_2) | instskip(NEXT) | instid1(VALU_DEP_2)
	v_cmp_gt_i32_e64 s14, s18, v47
	v_ashrrev_i32_e32 v47, 31, v46
	s_delay_alu instid0(VALU_DEP_2)
	s_and_saveexec_b32 s39, s14
	s_cbranch_execnz .LBB42_50
; %bb.34:                               ;   in Loop: Header=BB42_3 Depth=1
	s_or_b32 exec_lo, exec_lo, s39
	s_and_saveexec_b32 s15, vcc_lo
	s_cbranch_execnz .LBB42_51
.LBB42_35:                              ;   in Loop: Header=BB42_3 Depth=1
	s_or_b32 exec_lo, exec_lo, s15
	s_and_saveexec_b32 s15, s0
	s_cbranch_execnz .LBB42_52
.LBB42_36:                              ;   in Loop: Header=BB42_3 Depth=1
	s_or_b32 exec_lo, exec_lo, s15
	s_and_saveexec_b32 s0, s1
	s_cbranch_execnz .LBB42_53
.LBB42_37:                              ;   in Loop: Header=BB42_3 Depth=1
	s_or_b32 exec_lo, exec_lo, s0
	s_and_saveexec_b32 s0, s2
	s_cbranch_execnz .LBB42_54
.LBB42_38:                              ;   in Loop: Header=BB42_3 Depth=1
	s_or_b32 exec_lo, exec_lo, s0
	s_and_saveexec_b32 s0, s3
	s_cbranch_execnz .LBB42_55
.LBB42_39:                              ;   in Loop: Header=BB42_3 Depth=1
	s_or_b32 exec_lo, exec_lo, s0
	s_and_saveexec_b32 s0, s4
	s_cbranch_execnz .LBB42_56
.LBB42_40:                              ;   in Loop: Header=BB42_3 Depth=1
	s_or_b32 exec_lo, exec_lo, s0
	s_and_saveexec_b32 s0, s5
	s_cbranch_execnz .LBB42_57
.LBB42_41:                              ;   in Loop: Header=BB42_3 Depth=1
	s_or_b32 exec_lo, exec_lo, s0
	s_and_saveexec_b32 s0, s6
	s_cbranch_execnz .LBB42_58
.LBB42_42:                              ;   in Loop: Header=BB42_3 Depth=1
	s_or_b32 exec_lo, exec_lo, s0
	s_and_saveexec_b32 s0, s7
	s_cbranch_execnz .LBB42_59
.LBB42_43:                              ;   in Loop: Header=BB42_3 Depth=1
	s_or_b32 exec_lo, exec_lo, s0
	s_and_saveexec_b32 s0, s8
	s_cbranch_execnz .LBB42_60
.LBB42_44:                              ;   in Loop: Header=BB42_3 Depth=1
	s_or_b32 exec_lo, exec_lo, s0
	s_and_saveexec_b32 s0, s9
	s_cbranch_execnz .LBB42_61
.LBB42_45:                              ;   in Loop: Header=BB42_3 Depth=1
	s_or_b32 exec_lo, exec_lo, s0
	s_and_saveexec_b32 s0, s10
	s_cbranch_execnz .LBB42_62
.LBB42_46:                              ;   in Loop: Header=BB42_3 Depth=1
	s_or_b32 exec_lo, exec_lo, s0
	s_and_saveexec_b32 s0, s11
	s_cbranch_execnz .LBB42_63
.LBB42_47:                              ;   in Loop: Header=BB42_3 Depth=1
	s_or_b32 exec_lo, exec_lo, s0
	s_and_saveexec_b32 s0, s12
	s_cbranch_execnz .LBB42_64
.LBB42_48:                              ;   in Loop: Header=BB42_3 Depth=1
	s_or_b32 exec_lo, exec_lo, s0
	s_and_saveexec_b32 s0, s13
	s_cbranch_execnz .LBB42_65
.LBB42_49:                              ;   in Loop: Header=BB42_3 Depth=1
	s_or_b32 exec_lo, exec_lo, s0
	s_and_saveexec_b32 s0, s14
	s_cbranch_execz .LBB42_2
	s_branch .LBB42_66
.LBB42_50:                              ;   in Loop: Header=BB42_3 Depth=1
	s_delay_alu instid0(VALU_DEP_1) | instskip(NEXT) | instid1(VALU_DEP_1)
	v_lshlrev_b64 v[48:49], 2, v[46:47]
	v_add_co_u32 v48, s15, s27, v48
	s_delay_alu instid0(VALU_DEP_1)
	v_add_co_ci_u32_e64 v49, s15, s28, v49, s15
	global_load_b32 v17, v[48:49], off
	s_or_b32 exec_lo, exec_lo, s39
	s_and_saveexec_b32 s15, vcc_lo
	s_cbranch_execz .LBB42_35
.LBB42_51:                              ;   in Loop: Header=BB42_3 Depth=1
	v_lshlrev_b64 v[48:49], 2, v[0:1]
	s_delay_alu instid0(VALU_DEP_1) | instskip(NEXT) | instid1(VALU_DEP_2)
	v_add_co_u32 v48, vcc_lo, s31, v48
	v_add_co_ci_u32_e32 v49, vcc_lo, s33, v49, vcc_lo
	s_waitcnt vmcnt(0)
	global_store_b32 v[48:49], v2, off
	s_or_b32 exec_lo, exec_lo, s15
	s_and_saveexec_b32 s15, s0
	s_cbranch_execz .LBB42_36
.LBB42_52:                              ;   in Loop: Header=BB42_3 Depth=1
	v_lshlrev_b64 v[18:19], 2, v[18:19]
	s_delay_alu instid0(VALU_DEP_1) | instskip(NEXT) | instid1(VALU_DEP_2)
	v_add_co_u32 v18, vcc_lo, s31, v18
	v_add_co_ci_u32_e32 v19, vcc_lo, s33, v19, vcc_lo
	s_waitcnt vmcnt(0)
	global_store_b32 v[18:19], v3, off
	s_or_b32 exec_lo, exec_lo, s15
	s_and_saveexec_b32 s0, s1
	s_cbranch_execz .LBB42_37
.LBB42_53:                              ;   in Loop: Header=BB42_3 Depth=1
	v_lshlrev_b64 v[18:19], 2, v[20:21]
	s_delay_alu instid0(VALU_DEP_1) | instskip(NEXT) | instid1(VALU_DEP_2)
	v_add_co_u32 v18, vcc_lo, s31, v18
	v_add_co_ci_u32_e32 v19, vcc_lo, s33, v19, vcc_lo
	s_waitcnt vmcnt(0)
	global_store_b32 v[18:19], v4, off
	s_or_b32 exec_lo, exec_lo, s0
	s_and_saveexec_b32 s0, s2
	s_cbranch_execz .LBB42_38
.LBB42_54:                              ;   in Loop: Header=BB42_3 Depth=1
	v_lshlrev_b64 v[18:19], 2, v[22:23]
	s_delay_alu instid0(VALU_DEP_1) | instskip(NEXT) | instid1(VALU_DEP_2)
	v_add_co_u32 v18, vcc_lo, s31, v18
	v_add_co_ci_u32_e32 v19, vcc_lo, s33, v19, vcc_lo
	s_waitcnt vmcnt(0)
	global_store_b32 v[18:19], v5, off
	s_or_b32 exec_lo, exec_lo, s0
	s_and_saveexec_b32 s0, s3
	s_cbranch_execz .LBB42_39
.LBB42_55:                              ;   in Loop: Header=BB42_3 Depth=1
	v_lshlrev_b64 v[18:19], 2, v[24:25]
	s_delay_alu instid0(VALU_DEP_1) | instskip(NEXT) | instid1(VALU_DEP_2)
	v_add_co_u32 v18, vcc_lo, s31, v18
	v_add_co_ci_u32_e32 v19, vcc_lo, s33, v19, vcc_lo
	s_waitcnt vmcnt(0)
	global_store_b32 v[18:19], v6, off
	s_or_b32 exec_lo, exec_lo, s0
	s_and_saveexec_b32 s0, s4
	s_cbranch_execz .LBB42_40
.LBB42_56:                              ;   in Loop: Header=BB42_3 Depth=1
	v_lshlrev_b64 v[18:19], 2, v[26:27]
	s_delay_alu instid0(VALU_DEP_1) | instskip(NEXT) | instid1(VALU_DEP_2)
	v_add_co_u32 v18, vcc_lo, s31, v18
	v_add_co_ci_u32_e32 v19, vcc_lo, s33, v19, vcc_lo
	s_waitcnt vmcnt(0)
	global_store_b32 v[18:19], v7, off
	s_or_b32 exec_lo, exec_lo, s0
	s_and_saveexec_b32 s0, s5
	s_cbranch_execz .LBB42_41
.LBB42_57:                              ;   in Loop: Header=BB42_3 Depth=1
	v_lshlrev_b64 v[18:19], 2, v[28:29]
	s_delay_alu instid0(VALU_DEP_1) | instskip(NEXT) | instid1(VALU_DEP_2)
	v_add_co_u32 v18, vcc_lo, s31, v18
	v_add_co_ci_u32_e32 v19, vcc_lo, s33, v19, vcc_lo
	s_waitcnt vmcnt(0)
	global_store_b32 v[18:19], v8, off
	s_or_b32 exec_lo, exec_lo, s0
	s_and_saveexec_b32 s0, s6
	s_cbranch_execz .LBB42_42
.LBB42_58:                              ;   in Loop: Header=BB42_3 Depth=1
	v_lshlrev_b64 v[18:19], 2, v[30:31]
	s_delay_alu instid0(VALU_DEP_1) | instskip(NEXT) | instid1(VALU_DEP_2)
	v_add_co_u32 v18, vcc_lo, s31, v18
	v_add_co_ci_u32_e32 v19, vcc_lo, s33, v19, vcc_lo
	s_waitcnt vmcnt(0)
	global_store_b32 v[18:19], v9, off
	s_or_b32 exec_lo, exec_lo, s0
	s_and_saveexec_b32 s0, s7
	s_cbranch_execz .LBB42_43
.LBB42_59:                              ;   in Loop: Header=BB42_3 Depth=1
	v_lshlrev_b64 v[18:19], 2, v[32:33]
	s_delay_alu instid0(VALU_DEP_1) | instskip(NEXT) | instid1(VALU_DEP_2)
	v_add_co_u32 v18, vcc_lo, s31, v18
	v_add_co_ci_u32_e32 v19, vcc_lo, s33, v19, vcc_lo
	s_waitcnt vmcnt(0)
	global_store_b32 v[18:19], v10, off
	s_or_b32 exec_lo, exec_lo, s0
	s_and_saveexec_b32 s0, s8
	s_cbranch_execz .LBB42_44
.LBB42_60:                              ;   in Loop: Header=BB42_3 Depth=1
	v_lshlrev_b64 v[18:19], 2, v[34:35]
	s_delay_alu instid0(VALU_DEP_1) | instskip(NEXT) | instid1(VALU_DEP_2)
	v_add_co_u32 v18, vcc_lo, s31, v18
	v_add_co_ci_u32_e32 v19, vcc_lo, s33, v19, vcc_lo
	s_waitcnt vmcnt(0)
	global_store_b32 v[18:19], v11, off
	s_or_b32 exec_lo, exec_lo, s0
	s_and_saveexec_b32 s0, s9
	s_cbranch_execz .LBB42_45
.LBB42_61:                              ;   in Loop: Header=BB42_3 Depth=1
	v_lshlrev_b64 v[18:19], 2, v[36:37]
	s_delay_alu instid0(VALU_DEP_1) | instskip(NEXT) | instid1(VALU_DEP_2)
	v_add_co_u32 v18, vcc_lo, s31, v18
	v_add_co_ci_u32_e32 v19, vcc_lo, s33, v19, vcc_lo
	s_waitcnt vmcnt(0)
	global_store_b32 v[18:19], v12, off
	s_or_b32 exec_lo, exec_lo, s0
	s_and_saveexec_b32 s0, s10
	s_cbranch_execz .LBB42_46
.LBB42_62:                              ;   in Loop: Header=BB42_3 Depth=1
	v_lshlrev_b64 v[18:19], 2, v[38:39]
	s_delay_alu instid0(VALU_DEP_1) | instskip(NEXT) | instid1(VALU_DEP_2)
	v_add_co_u32 v18, vcc_lo, s31, v18
	v_add_co_ci_u32_e32 v19, vcc_lo, s33, v19, vcc_lo
	s_waitcnt vmcnt(0)
	global_store_b32 v[18:19], v13, off
	s_or_b32 exec_lo, exec_lo, s0
	s_and_saveexec_b32 s0, s11
	s_cbranch_execz .LBB42_47
.LBB42_63:                              ;   in Loop: Header=BB42_3 Depth=1
	v_lshlrev_b64 v[18:19], 2, v[40:41]
	s_delay_alu instid0(VALU_DEP_1) | instskip(NEXT) | instid1(VALU_DEP_2)
	v_add_co_u32 v18, vcc_lo, s31, v18
	v_add_co_ci_u32_e32 v19, vcc_lo, s33, v19, vcc_lo
	s_waitcnt vmcnt(0)
	global_store_b32 v[18:19], v14, off
	s_or_b32 exec_lo, exec_lo, s0
	s_and_saveexec_b32 s0, s12
	s_cbranch_execz .LBB42_48
.LBB42_64:                              ;   in Loop: Header=BB42_3 Depth=1
	v_lshlrev_b64 v[18:19], 2, v[42:43]
	s_delay_alu instid0(VALU_DEP_1) | instskip(NEXT) | instid1(VALU_DEP_2)
	v_add_co_u32 v18, vcc_lo, s31, v18
	v_add_co_ci_u32_e32 v19, vcc_lo, s33, v19, vcc_lo
	s_waitcnt vmcnt(0)
	global_store_b32 v[18:19], v15, off
	s_or_b32 exec_lo, exec_lo, s0
	s_and_saveexec_b32 s0, s13
	s_cbranch_execz .LBB42_49
.LBB42_65:                              ;   in Loop: Header=BB42_3 Depth=1
	v_lshlrev_b64 v[18:19], 2, v[44:45]
	s_delay_alu instid0(VALU_DEP_1) | instskip(NEXT) | instid1(VALU_DEP_2)
	v_add_co_u32 v18, vcc_lo, s31, v18
	v_add_co_ci_u32_e32 v19, vcc_lo, s33, v19, vcc_lo
	s_waitcnt vmcnt(0)
	global_store_b32 v[18:19], v16, off
	s_or_b32 exec_lo, exec_lo, s0
	s_and_saveexec_b32 s0, s14
	s_cbranch_execz .LBB42_2
.LBB42_66:                              ;   in Loop: Header=BB42_3 Depth=1
	v_lshlrev_b64 v[18:19], 2, v[46:47]
	s_delay_alu instid0(VALU_DEP_1) | instskip(NEXT) | instid1(VALU_DEP_2)
	v_add_co_u32 v18, vcc_lo, s31, v18
	v_add_co_ci_u32_e32 v19, vcc_lo, s33, v19, vcc_lo
	s_waitcnt vmcnt(0)
	global_store_b32 v[18:19], v17, off
	s_branch .LBB42_2
.LBB42_67:
	s_nop 0
	s_sendmsg sendmsg(MSG_DEALLOC_VGPRS)
	s_endpgm
	.section	.rodata,"a",@progbits
	.p2align	6, 0x0
	.amdhsa_kernel _ZN9rocsolver6v33100L11stedc_copyDIfEEviPT_lS3_l
		.amdhsa_group_segment_fixed_size 0
		.amdhsa_private_segment_fixed_size 0
		.amdhsa_kernarg_size 296
		.amdhsa_user_sgpr_count 14
		.amdhsa_user_sgpr_dispatch_ptr 0
		.amdhsa_user_sgpr_queue_ptr 0
		.amdhsa_user_sgpr_kernarg_segment_ptr 1
		.amdhsa_user_sgpr_dispatch_id 0
		.amdhsa_user_sgpr_private_segment_size 0
		.amdhsa_wavefront_size32 1
		.amdhsa_uses_dynamic_stack 0
		.amdhsa_enable_private_segment 0
		.amdhsa_system_sgpr_workgroup_id_x 1
		.amdhsa_system_sgpr_workgroup_id_y 1
		.amdhsa_system_sgpr_workgroup_id_z 0
		.amdhsa_system_sgpr_workgroup_info 0
		.amdhsa_system_vgpr_workitem_id 0
		.amdhsa_next_free_vgpr 50
		.amdhsa_next_free_sgpr 40
		.amdhsa_reserve_vcc 1
		.amdhsa_float_round_mode_32 0
		.amdhsa_float_round_mode_16_64 0
		.amdhsa_float_denorm_mode_32 3
		.amdhsa_float_denorm_mode_16_64 3
		.amdhsa_dx10_clamp 1
		.amdhsa_ieee_mode 1
		.amdhsa_fp16_overflow 0
		.amdhsa_workgroup_processor_mode 1
		.amdhsa_memory_ordered 1
		.amdhsa_forward_progress 0
		.amdhsa_shared_vgpr_count 0
		.amdhsa_exception_fp_ieee_invalid_op 0
		.amdhsa_exception_fp_denorm_src 0
		.amdhsa_exception_fp_ieee_div_zero 0
		.amdhsa_exception_fp_ieee_overflow 0
		.amdhsa_exception_fp_ieee_underflow 0
		.amdhsa_exception_fp_ieee_inexact 0
		.amdhsa_exception_int_div_zero 0
	.end_amdhsa_kernel
	.section	.text._ZN9rocsolver6v33100L11stedc_copyDIfEEviPT_lS3_l,"axG",@progbits,_ZN9rocsolver6v33100L11stedc_copyDIfEEviPT_lS3_l,comdat
.Lfunc_end42:
	.size	_ZN9rocsolver6v33100L11stedc_copyDIfEEviPT_lS3_l, .Lfunc_end42-_ZN9rocsolver6v33100L11stedc_copyDIfEEviPT_lS3_l
                                        ; -- End function
	.section	.AMDGPU.csdata,"",@progbits
; Kernel info:
; codeLenInByte = 2592
; NumSgprs: 42
; NumVgprs: 50
; ScratchSize: 0
; MemoryBound: 0
; FloatMode: 240
; IeeeMode: 1
; LDSByteSize: 0 bytes/workgroup (compile time only)
; SGPRBlocks: 5
; VGPRBlocks: 6
; NumSGPRsForWavesPerEU: 42
; NumVGPRsForWavesPerEU: 50
; Occupancy: 16
; WaveLimiterHint : 0
; COMPUTE_PGM_RSRC2:SCRATCH_EN: 0
; COMPUTE_PGM_RSRC2:USER_SGPR: 14
; COMPUTE_PGM_RSRC2:TRAP_HANDLER: 0
; COMPUTE_PGM_RSRC2:TGID_X_EN: 1
; COMPUTE_PGM_RSRC2:TGID_Y_EN: 1
; COMPUTE_PGM_RSRC2:TGID_Z_EN: 0
; COMPUTE_PGM_RSRC2:TIDIG_COMP_CNT: 0
	.section	.text._ZN9rocsolver6v33100L10stedc_sortIffPfS2_EEviPT0_lS4_lT1_iilT2_iil,"axG",@progbits,_ZN9rocsolver6v33100L10stedc_sortIffPfS2_EEviPT0_lS4_lT1_iilT2_iil,comdat
	.globl	_ZN9rocsolver6v33100L10stedc_sortIffPfS2_EEviPT0_lS4_lT1_iilT2_iil ; -- Begin function _ZN9rocsolver6v33100L10stedc_sortIffPfS2_EEviPT0_lS4_lT1_iilT2_iil
	.p2align	8
	.type	_ZN9rocsolver6v33100L10stedc_sortIffPfS2_EEviPT0_lS4_lT1_iilT2_iil,@function
_ZN9rocsolver6v33100L10stedc_sortIffPfS2_EEviPT0_lS4_lT1_iilT2_iil: ; @_ZN9rocsolver6v33100L10stedc_sortIffPfS2_EEviPT0_lS4_lT1_iilT2_iil
; %bb.0:
	s_clause 0x1
	s_load_b256 s[20:27], s[0:1], 0x8
	s_load_b32 s3, s[0:1], 0x64
	s_ashr_i32 s44, s15, 31
	s_mov_b32 s2, s15
	s_load_b32 s31, s[0:1], 0x0
	s_waitcnt lgkmcnt(0)
	s_mul_i32 s4, s15, s23
	s_mul_hi_u32 s5, s15, s22
	s_mul_i32 s6, s44, s22
	s_add_i32 s5, s5, s4
	s_mul_i32 s4, s15, s22
	s_load_b64 s[22:23], s[0:1], 0x28
	s_add_i32 s5, s5, s6
	s_delay_alu instid0(SALU_CYCLE_1) | instskip(NEXT) | instid1(SALU_CYCLE_1)
	s_lshl_b64 s[4:5], s[4:5], 2
	s_add_u32 s48, s20, s4
	s_addc_u32 s49, s21, s5
	s_ashr_i32 s15, s14, 31
	s_delay_alu instid0(SALU_CYCLE_1) | instskip(NEXT) | instid1(SALU_CYCLE_1)
	s_lshl_b64 s[28:29], s[14:15], 2
	s_add_u32 s4, s48, s28
	s_addc_u32 s5, s49, s29
	s_and_b32 s21, s3, 0xffff
	s_add_i32 s7, s31, -1
	s_lshl_b32 s30, s21, 4
	s_load_b32 s46, s[4:5], 0x0
	v_cvt_f32_u32_e32 v1, s30
	s_sub_i32 s8, 0, s30
	s_ashr_i32 s4, s7, 31
	s_abs_i32 s7, s7
	s_mov_b32 s3, -1
	v_rcp_iflag_f32_e32 v1, v1
	s_mul_i32 s33, s21, 3
	s_mul_i32 s34, s21, 5
	s_mul_i32 s35, s21, 6
	s_mul_i32 s36, s21, 7
	s_mul_i32 s37, s21, 9
	s_mul_i32 s38, s21, 10
	s_mul_i32 s39, s21, 11
	s_mul_i32 s40, s21, 12
	s_mul_i32 s41, s21, 13
	s_waitcnt_depctr 0xfff
	v_mul_f32_e32 v1, 0x4f7ffffe, v1
	s_mul_i32 s42, s21, 14
	s_mul_i32 s43, s21, 15
	s_delay_alu instid0(VALU_DEP_1) | instskip(NEXT) | instid1(VALU_DEP_1)
	v_cvt_u32_f32_e32 v1, v1
	v_readfirstlane_b32 s6, v1
	v_mov_b32_e32 v1, 0
	s_delay_alu instid0(VALU_DEP_2) | instskip(NEXT) | instid1(SALU_CYCLE_1)
	s_mul_i32 s8, s8, s6
	s_mul_hi_u32 s5, s6, s8
	s_delay_alu instid0(SALU_CYCLE_1) | instskip(NEXT) | instid1(SALU_CYCLE_1)
	s_add_i32 s6, s6, s5
	s_mul_hi_u32 s5, s7, s6
	s_delay_alu instid0(SALU_CYCLE_1) | instskip(NEXT) | instid1(SALU_CYCLE_1)
	s_mul_i32 s6, s5, s30
	s_sub_i32 s6, s7, s6
	s_add_i32 s7, s5, 1
	s_sub_i32 s8, s6, s30
	s_cmp_ge_u32 s6, s30
	s_cselect_b32 s5, s7, s5
	s_cselect_b32 s6, s8, s6
	s_add_i32 s7, s5, 1
	s_cmp_ge_u32 s6, s30
	s_cselect_b32 s5, s7, s5
	s_delay_alu instid0(SALU_CYCLE_1) | instskip(NEXT) | instid1(SALU_CYCLE_1)
	s_xor_b32 s5, s5, s4
	s_sub_i32 s45, s5, s4
	s_delay_alu instid0(SALU_CYCLE_1)
	s_cmp_gt_i32 s45, -1
	s_cselect_b32 s47, -1, 0
	s_cmp_lt_i32 s45, 0
	s_cbranch_scc1 .LBB43_67
; %bb.1:
	v_dual_mov_b32 v48, 0 :: v_dual_mov_b32 v1, v0
	v_dual_mov_b32 v49, 0 :: v_dual_mov_b32 v50, 0
	s_add_i32 s50, s45, 1
	s_lshl_b32 s51, s21, 1
	s_lshl_b32 s52, s21, 2
	;; [unrolled: 1-line block ×3, first 2 shown]
                                        ; implicit-def: $vgpr2_vgpr3_vgpr4_vgpr5_vgpr6_vgpr7_vgpr8_vgpr9_vgpr10_vgpr11_vgpr12_vgpr13_vgpr14_vgpr15_vgpr16_vgpr17
	s_branch .LBB43_3
.LBB43_2:                               ;   in Loop: Header=BB43_3 Depth=1
	s_or_b32 exec_lo, exec_lo, s5
	v_add_nc_u32_e32 v1, s30, v1
	s_add_i32 s50, s50, -1
	s_delay_alu instid0(SALU_CYCLE_1)
	s_cmp_eq_u32 s50, 0
	s_cbranch_scc1 .LBB43_68
.LBB43_3:                               ; =>This Inner Loop Header: Depth=1
	s_delay_alu instid0(VALU_DEP_1) | instskip(NEXT) | instid1(VALU_DEP_1)
	v_cmp_gt_i32_e64 s18, s31, v1
	s_and_saveexec_b32 s3, s18
	s_cbranch_execz .LBB43_5
; %bb.4:                                ;   in Loop: Header=BB43_3 Depth=1
	s_waitcnt vmcnt(0)
	v_ashrrev_i32_e32 v2, 31, v1
	s_delay_alu instid0(VALU_DEP_1) | instskip(NEXT) | instid1(VALU_DEP_1)
	v_lshlrev_b64 v[18:19], 2, v[1:2]
	v_add_co_u32 v18, vcc_lo, s48, v18
	s_delay_alu instid0(VALU_DEP_2)
	v_add_co_ci_u32_e32 v19, vcc_lo, s49, v19, vcc_lo
	global_load_b32 v2, v[18:19], off
.LBB43_5:                               ;   in Loop: Header=BB43_3 Depth=1
	s_or_b32 exec_lo, exec_lo, s3
	v_add_nc_u32_e32 v46, s21, v1
	s_delay_alu instid0(VALU_DEP_1) | instskip(NEXT) | instid1(VALU_DEP_1)
	v_cmp_gt_i32_e64 s17, s31, v46
	s_and_saveexec_b32 s3, s17
	s_cbranch_execz .LBB43_7
; %bb.6:                                ;   in Loop: Header=BB43_3 Depth=1
	v_ashrrev_i32_e32 v47, 31, v46
	s_delay_alu instid0(VALU_DEP_1) | instskip(NEXT) | instid1(VALU_DEP_1)
	v_lshlrev_b64 v[18:19], 2, v[46:47]
	v_add_co_u32 v18, vcc_lo, s48, v18
	s_delay_alu instid0(VALU_DEP_2)
	v_add_co_ci_u32_e32 v19, vcc_lo, s49, v19, vcc_lo
	global_load_b32 v3, v[18:19], off
.LBB43_7:                               ;   in Loop: Header=BB43_3 Depth=1
	s_or_b32 exec_lo, exec_lo, s3
	v_add_nc_u32_e32 v44, s51, v1
	s_delay_alu instid0(VALU_DEP_1) | instskip(NEXT) | instid1(VALU_DEP_1)
	v_cmp_gt_i32_e64 s16, s31, v44
	s_and_saveexec_b32 s3, s16
	s_cbranch_execz .LBB43_9
; %bb.8:                                ;   in Loop: Header=BB43_3 Depth=1
	v_ashrrev_i32_e32 v45, 31, v44
	s_delay_alu instid0(VALU_DEP_1) | instskip(NEXT) | instid1(VALU_DEP_1)
	v_lshlrev_b64 v[18:19], 2, v[44:45]
	v_add_co_u32 v18, vcc_lo, s48, v18
	s_delay_alu instid0(VALU_DEP_2)
	v_add_co_ci_u32_e32 v19, vcc_lo, s49, v19, vcc_lo
	global_load_b32 v4, v[18:19], off
.LBB43_9:                               ;   in Loop: Header=BB43_3 Depth=1
	s_or_b32 exec_lo, exec_lo, s3
	v_add_nc_u32_e32 v42, s33, v1
	s_delay_alu instid0(VALU_DEP_1) | instskip(NEXT) | instid1(VALU_DEP_1)
	v_cmp_gt_i32_e64 s15, s31, v42
	s_and_saveexec_b32 s3, s15
	s_cbranch_execz .LBB43_11
; %bb.10:                               ;   in Loop: Header=BB43_3 Depth=1
	v_ashrrev_i32_e32 v43, 31, v42
	s_delay_alu instid0(VALU_DEP_1) | instskip(NEXT) | instid1(VALU_DEP_1)
	v_lshlrev_b64 v[18:19], 2, v[42:43]
	v_add_co_u32 v18, vcc_lo, s48, v18
	s_delay_alu instid0(VALU_DEP_2)
	v_add_co_ci_u32_e32 v19, vcc_lo, s49, v19, vcc_lo
	global_load_b32 v5, v[18:19], off
.LBB43_11:                              ;   in Loop: Header=BB43_3 Depth=1
	s_or_b32 exec_lo, exec_lo, s3
	v_add_nc_u32_e32 v40, s52, v1
	s_delay_alu instid0(VALU_DEP_1) | instskip(NEXT) | instid1(VALU_DEP_1)
	v_cmp_gt_i32_e64 s13, s31, v40
	s_and_saveexec_b32 s3, s13
	s_cbranch_execz .LBB43_13
; %bb.12:                               ;   in Loop: Header=BB43_3 Depth=1
	v_ashrrev_i32_e32 v41, 31, v40
	s_delay_alu instid0(VALU_DEP_1) | instskip(NEXT) | instid1(VALU_DEP_1)
	v_lshlrev_b64 v[18:19], 2, v[40:41]
	v_add_co_u32 v18, vcc_lo, s48, v18
	s_delay_alu instid0(VALU_DEP_2)
	v_add_co_ci_u32_e32 v19, vcc_lo, s49, v19, vcc_lo
	global_load_b32 v6, v[18:19], off
.LBB43_13:                              ;   in Loop: Header=BB43_3 Depth=1
	;; [unrolled: 15-line block ×12, first 2 shown]
	s_or_b32 exec_lo, exec_lo, s19
	v_add_nc_u32_e32 v18, s43, v1
	s_delay_alu instid0(VALU_DEP_1)
	v_cmp_gt_i32_e32 vcc_lo, s31, v18
	s_and_saveexec_b32 s20, vcc_lo
	s_cbranch_execnz .LBB43_50
; %bb.34:                               ;   in Loop: Header=BB43_3 Depth=1
	s_or_b32 exec_lo, exec_lo, s20
	s_and_saveexec_b32 s54, s18
	s_cbranch_execnz .LBB43_51
.LBB43_35:                              ;   in Loop: Header=BB43_3 Depth=1
	s_or_b32 exec_lo, exec_lo, s54
	s_and_saveexec_b32 s20, s17
	s_cbranch_execnz .LBB43_52
.LBB43_36:                              ;   in Loop: Header=BB43_3 Depth=1
	s_or_b32 exec_lo, exec_lo, s20
	s_and_saveexec_b32 s19, s16
	s_cbranch_execnz .LBB43_53
.LBB43_37:                              ;   in Loop: Header=BB43_3 Depth=1
	s_or_b32 exec_lo, exec_lo, s19
	s_and_saveexec_b32 s18, s15
	s_cbranch_execnz .LBB43_54
.LBB43_38:                              ;   in Loop: Header=BB43_3 Depth=1
	s_or_b32 exec_lo, exec_lo, s18
	s_and_saveexec_b32 s17, s13
	s_cbranch_execnz .LBB43_55
.LBB43_39:                              ;   in Loop: Header=BB43_3 Depth=1
	s_or_b32 exec_lo, exec_lo, s17
	s_and_saveexec_b32 s16, s12
	s_cbranch_execnz .LBB43_56
.LBB43_40:                              ;   in Loop: Header=BB43_3 Depth=1
	s_or_b32 exec_lo, exec_lo, s16
	s_and_saveexec_b32 s15, s11
	s_cbranch_execnz .LBB43_57
.LBB43_41:                              ;   in Loop: Header=BB43_3 Depth=1
	s_or_b32 exec_lo, exec_lo, s15
	s_and_saveexec_b32 s13, s10
	s_cbranch_execnz .LBB43_58
.LBB43_42:                              ;   in Loop: Header=BB43_3 Depth=1
	s_or_b32 exec_lo, exec_lo, s13
	s_and_saveexec_b32 s12, s9
	s_cbranch_execnz .LBB43_59
.LBB43_43:                              ;   in Loop: Header=BB43_3 Depth=1
	s_or_b32 exec_lo, exec_lo, s12
	s_and_saveexec_b32 s11, s8
	s_cbranch_execnz .LBB43_60
.LBB43_44:                              ;   in Loop: Header=BB43_3 Depth=1
	s_or_b32 exec_lo, exec_lo, s11
	s_and_saveexec_b32 s10, s7
	s_cbranch_execnz .LBB43_61
.LBB43_45:                              ;   in Loop: Header=BB43_3 Depth=1
	s_or_b32 exec_lo, exec_lo, s10
	s_and_saveexec_b32 s9, s6
	s_cbranch_execnz .LBB43_62
.LBB43_46:                              ;   in Loop: Header=BB43_3 Depth=1
	s_or_b32 exec_lo, exec_lo, s9
	s_and_saveexec_b32 s8, s5
	s_cbranch_execnz .LBB43_63
.LBB43_47:                              ;   in Loop: Header=BB43_3 Depth=1
	s_or_b32 exec_lo, exec_lo, s8
	s_and_saveexec_b32 s7, s4
	s_cbranch_execnz .LBB43_64
.LBB43_48:                              ;   in Loop: Header=BB43_3 Depth=1
	s_or_b32 exec_lo, exec_lo, s7
	s_and_saveexec_b32 s6, s3
	s_cbranch_execnz .LBB43_65
.LBB43_49:                              ;   in Loop: Header=BB43_3 Depth=1
	s_or_b32 exec_lo, exec_lo, s6
	s_and_saveexec_b32 s5, vcc_lo
	s_cbranch_execz .LBB43_2
	s_branch .LBB43_66
.LBB43_50:                              ;   in Loop: Header=BB43_3 Depth=1
	v_ashrrev_i32_e32 v19, 31, v18
	s_delay_alu instid0(VALU_DEP_1) | instskip(NEXT) | instid1(VALU_DEP_1)
	v_lshlrev_b64 v[51:52], 2, v[18:19]
	v_add_co_u32 v51, s19, s48, v51
	s_delay_alu instid0(VALU_DEP_1)
	v_add_co_ci_u32_e64 v52, s19, s49, v52, s19
	global_load_b32 v17, v[51:52], off
	s_or_b32 exec_lo, exec_lo, s20
	s_and_saveexec_b32 s54, s18
	s_cbranch_execz .LBB43_35
.LBB43_51:                              ;   in Loop: Header=BB43_3 Depth=1
	s_waitcnt vmcnt(0)
	v_cmp_u_f32_e64 s20, v2, v2
	s_waitcnt lgkmcnt(0)
	v_cmp_eq_f32_e64 s18, s46, v2
	v_cmp_gt_i32_e64 s19, s14, v1
	s_delay_alu instid0(VALU_DEP_3) | instskip(SKIP_1) | instid1(VALU_DEP_3)
	v_add_co_ci_u32_e64 v48, s20, 0, v48, s20
	v_cmp_gt_f32_e64 s20, s46, v2
	s_and_b32 s18, s18, s19
	s_delay_alu instid0(SALU_CYCLE_1) | instskip(NEXT) | instid1(VALU_DEP_2)
	v_add_co_ci_u32_e64 v50, s18, 0, v50, s18
	v_add_co_ci_u32_e64 v49, s20, 0, v49, s20
	s_or_b32 exec_lo, exec_lo, s54
	s_and_saveexec_b32 s20, s17
	s_cbranch_execz .LBB43_36
.LBB43_52:                              ;   in Loop: Header=BB43_3 Depth=1
	s_waitcnt vmcnt(0)
	v_cmp_u_f32_e64 s19, v3, v3
	s_waitcnt lgkmcnt(0)
	v_cmp_eq_f32_e64 s17, s46, v3
	v_cmp_gt_i32_e64 s18, s14, v46
	s_delay_alu instid0(VALU_DEP_3) | instskip(SKIP_1) | instid1(VALU_DEP_3)
	v_add_co_ci_u32_e64 v48, s19, 0, v48, s19
	v_cmp_gt_f32_e64 s19, s46, v3
	s_and_b32 s17, s17, s18
	s_delay_alu instid0(SALU_CYCLE_1) | instskip(NEXT) | instid1(VALU_DEP_2)
	v_add_co_ci_u32_e64 v50, s17, 0, v50, s17
	v_add_co_ci_u32_e64 v49, s19, 0, v49, s19
	s_or_b32 exec_lo, exec_lo, s20
	s_and_saveexec_b32 s19, s16
	s_cbranch_execz .LBB43_37
.LBB43_53:                              ;   in Loop: Header=BB43_3 Depth=1
	s_waitcnt vmcnt(0)
	v_cmp_u_f32_e64 s18, v4, v4
	s_waitcnt lgkmcnt(0)
	v_cmp_eq_f32_e64 s16, s46, v4
	v_cmp_gt_i32_e64 s17, s14, v44
	s_delay_alu instid0(VALU_DEP_3) | instskip(SKIP_1) | instid1(VALU_DEP_3)
	v_add_co_ci_u32_e64 v48, s18, 0, v48, s18
	v_cmp_gt_f32_e64 s18, s46, v4
	s_and_b32 s16, s16, s17
	s_delay_alu instid0(SALU_CYCLE_1) | instskip(NEXT) | instid1(VALU_DEP_2)
	v_add_co_ci_u32_e64 v50, s16, 0, v50, s16
	v_add_co_ci_u32_e64 v49, s18, 0, v49, s18
	s_or_b32 exec_lo, exec_lo, s19
	s_and_saveexec_b32 s18, s15
	s_cbranch_execz .LBB43_38
.LBB43_54:                              ;   in Loop: Header=BB43_3 Depth=1
	s_waitcnt vmcnt(0)
	v_cmp_u_f32_e64 s17, v5, v5
	s_waitcnt lgkmcnt(0)
	v_cmp_eq_f32_e64 s15, s46, v5
	v_cmp_gt_i32_e64 s16, s14, v42
	s_delay_alu instid0(VALU_DEP_3) | instskip(SKIP_1) | instid1(VALU_DEP_3)
	v_add_co_ci_u32_e64 v48, s17, 0, v48, s17
	v_cmp_gt_f32_e64 s17, s46, v5
	s_and_b32 s15, s15, s16
	s_delay_alu instid0(SALU_CYCLE_1) | instskip(NEXT) | instid1(VALU_DEP_2)
	v_add_co_ci_u32_e64 v50, s15, 0, v50, s15
	v_add_co_ci_u32_e64 v49, s17, 0, v49, s17
	s_or_b32 exec_lo, exec_lo, s18
	s_and_saveexec_b32 s17, s13
	s_cbranch_execz .LBB43_39
.LBB43_55:                              ;   in Loop: Header=BB43_3 Depth=1
	s_waitcnt vmcnt(0)
	v_cmp_u_f32_e64 s16, v6, v6
	s_waitcnt lgkmcnt(0)
	v_cmp_eq_f32_e64 s13, s46, v6
	v_cmp_gt_i32_e64 s15, s14, v40
	s_delay_alu instid0(VALU_DEP_3) | instskip(SKIP_1) | instid1(VALU_DEP_3)
	v_add_co_ci_u32_e64 v48, s16, 0, v48, s16
	v_cmp_gt_f32_e64 s16, s46, v6
	s_and_b32 s13, s13, s15
	s_delay_alu instid0(SALU_CYCLE_1) | instskip(NEXT) | instid1(VALU_DEP_2)
	v_add_co_ci_u32_e64 v50, s13, 0, v50, s13
	v_add_co_ci_u32_e64 v49, s16, 0, v49, s16
	s_or_b32 exec_lo, exec_lo, s17
	s_and_saveexec_b32 s16, s12
	s_cbranch_execz .LBB43_40
.LBB43_56:                              ;   in Loop: Header=BB43_3 Depth=1
	s_waitcnt vmcnt(0)
	v_cmp_u_f32_e64 s15, v7, v7
	s_waitcnt lgkmcnt(0)
	v_cmp_eq_f32_e64 s12, s46, v7
	v_cmp_gt_i32_e64 s13, s14, v38
	s_delay_alu instid0(VALU_DEP_3) | instskip(SKIP_1) | instid1(VALU_DEP_3)
	v_add_co_ci_u32_e64 v48, s15, 0, v48, s15
	v_cmp_gt_f32_e64 s15, s46, v7
	s_and_b32 s12, s12, s13
	s_delay_alu instid0(SALU_CYCLE_1) | instskip(NEXT) | instid1(VALU_DEP_2)
	v_add_co_ci_u32_e64 v50, s12, 0, v50, s12
	v_add_co_ci_u32_e64 v49, s15, 0, v49, s15
	s_or_b32 exec_lo, exec_lo, s16
	s_and_saveexec_b32 s15, s11
	s_cbranch_execz .LBB43_41
.LBB43_57:                              ;   in Loop: Header=BB43_3 Depth=1
	s_waitcnt vmcnt(0)
	v_cmp_u_f32_e64 s13, v8, v8
	s_waitcnt lgkmcnt(0)
	v_cmp_eq_f32_e64 s11, s46, v8
	v_cmp_gt_i32_e64 s12, s14, v36
	s_delay_alu instid0(VALU_DEP_3) | instskip(SKIP_1) | instid1(VALU_DEP_3)
	v_add_co_ci_u32_e64 v48, s13, 0, v48, s13
	v_cmp_gt_f32_e64 s13, s46, v8
	s_and_b32 s11, s11, s12
	s_delay_alu instid0(SALU_CYCLE_1) | instskip(NEXT) | instid1(VALU_DEP_2)
	v_add_co_ci_u32_e64 v50, s11, 0, v50, s11
	v_add_co_ci_u32_e64 v49, s13, 0, v49, s13
	s_or_b32 exec_lo, exec_lo, s15
	s_and_saveexec_b32 s13, s10
	s_cbranch_execz .LBB43_42
.LBB43_58:                              ;   in Loop: Header=BB43_3 Depth=1
	s_waitcnt vmcnt(0)
	v_cmp_u_f32_e64 s12, v9, v9
	s_waitcnt lgkmcnt(0)
	v_cmp_eq_f32_e64 s10, s46, v9
	v_cmp_gt_i32_e64 s11, s14, v34
	s_delay_alu instid0(VALU_DEP_3) | instskip(SKIP_1) | instid1(VALU_DEP_3)
	v_add_co_ci_u32_e64 v48, s12, 0, v48, s12
	v_cmp_gt_f32_e64 s12, s46, v9
	s_and_b32 s10, s10, s11
	s_delay_alu instid0(SALU_CYCLE_1) | instskip(NEXT) | instid1(VALU_DEP_2)
	v_add_co_ci_u32_e64 v50, s10, 0, v50, s10
	v_add_co_ci_u32_e64 v49, s12, 0, v49, s12
	s_or_b32 exec_lo, exec_lo, s13
	s_and_saveexec_b32 s12, s9
	s_cbranch_execz .LBB43_43
.LBB43_59:                              ;   in Loop: Header=BB43_3 Depth=1
	s_waitcnt vmcnt(0)
	v_cmp_u_f32_e64 s11, v10, v10
	s_waitcnt lgkmcnt(0)
	v_cmp_eq_f32_e64 s9, s46, v10
	v_cmp_gt_i32_e64 s10, s14, v32
	s_delay_alu instid0(VALU_DEP_3) | instskip(SKIP_1) | instid1(VALU_DEP_3)
	v_add_co_ci_u32_e64 v48, s11, 0, v48, s11
	v_cmp_gt_f32_e64 s11, s46, v10
	s_and_b32 s9, s9, s10
	s_delay_alu instid0(SALU_CYCLE_1) | instskip(NEXT) | instid1(VALU_DEP_2)
	v_add_co_ci_u32_e64 v50, s9, 0, v50, s9
	v_add_co_ci_u32_e64 v49, s11, 0, v49, s11
	s_or_b32 exec_lo, exec_lo, s12
	s_and_saveexec_b32 s11, s8
	s_cbranch_execz .LBB43_44
.LBB43_60:                              ;   in Loop: Header=BB43_3 Depth=1
	s_waitcnt vmcnt(0)
	v_cmp_u_f32_e64 s10, v11, v11
	s_waitcnt lgkmcnt(0)
	v_cmp_eq_f32_e64 s8, s46, v11
	v_cmp_gt_i32_e64 s9, s14, v30
	s_delay_alu instid0(VALU_DEP_3) | instskip(SKIP_1) | instid1(VALU_DEP_3)
	v_add_co_ci_u32_e64 v48, s10, 0, v48, s10
	v_cmp_gt_f32_e64 s10, s46, v11
	s_and_b32 s8, s8, s9
	s_delay_alu instid0(SALU_CYCLE_1) | instskip(NEXT) | instid1(VALU_DEP_2)
	v_add_co_ci_u32_e64 v50, s8, 0, v50, s8
	v_add_co_ci_u32_e64 v49, s10, 0, v49, s10
	s_or_b32 exec_lo, exec_lo, s11
	s_and_saveexec_b32 s10, s7
	s_cbranch_execz .LBB43_45
.LBB43_61:                              ;   in Loop: Header=BB43_3 Depth=1
	s_waitcnt vmcnt(0)
	v_cmp_u_f32_e64 s9, v12, v12
	s_waitcnt lgkmcnt(0)
	v_cmp_eq_f32_e64 s7, s46, v12
	v_cmp_gt_i32_e64 s8, s14, v28
	s_delay_alu instid0(VALU_DEP_3) | instskip(SKIP_1) | instid1(VALU_DEP_3)
	v_add_co_ci_u32_e64 v48, s9, 0, v48, s9
	v_cmp_gt_f32_e64 s9, s46, v12
	s_and_b32 s7, s7, s8
	s_delay_alu instid0(SALU_CYCLE_1) | instskip(NEXT) | instid1(VALU_DEP_2)
	v_add_co_ci_u32_e64 v50, s7, 0, v50, s7
	v_add_co_ci_u32_e64 v49, s9, 0, v49, s9
	s_or_b32 exec_lo, exec_lo, s10
	s_and_saveexec_b32 s9, s6
	s_cbranch_execz .LBB43_46
.LBB43_62:                              ;   in Loop: Header=BB43_3 Depth=1
	s_waitcnt vmcnt(0)
	v_cmp_u_f32_e64 s8, v13, v13
	s_waitcnt lgkmcnt(0)
	v_cmp_eq_f32_e64 s6, s46, v13
	v_cmp_gt_i32_e64 s7, s14, v26
	s_delay_alu instid0(VALU_DEP_3) | instskip(SKIP_1) | instid1(VALU_DEP_3)
	v_add_co_ci_u32_e64 v48, s8, 0, v48, s8
	v_cmp_gt_f32_e64 s8, s46, v13
	s_and_b32 s6, s6, s7
	s_delay_alu instid0(SALU_CYCLE_1) | instskip(NEXT) | instid1(VALU_DEP_2)
	v_add_co_ci_u32_e64 v50, s6, 0, v50, s6
	v_add_co_ci_u32_e64 v49, s8, 0, v49, s8
	s_or_b32 exec_lo, exec_lo, s9
	s_and_saveexec_b32 s8, s5
	s_cbranch_execz .LBB43_47
.LBB43_63:                              ;   in Loop: Header=BB43_3 Depth=1
	s_waitcnt vmcnt(0)
	v_cmp_u_f32_e64 s7, v14, v14
	s_waitcnt lgkmcnt(0)
	v_cmp_eq_f32_e64 s5, s46, v14
	v_cmp_gt_i32_e64 s6, s14, v24
	s_delay_alu instid0(VALU_DEP_3) | instskip(SKIP_1) | instid1(VALU_DEP_3)
	v_add_co_ci_u32_e64 v48, s7, 0, v48, s7
	v_cmp_gt_f32_e64 s7, s46, v14
	s_and_b32 s5, s5, s6
	s_delay_alu instid0(SALU_CYCLE_1) | instskip(NEXT) | instid1(VALU_DEP_2)
	v_add_co_ci_u32_e64 v50, s5, 0, v50, s5
	v_add_co_ci_u32_e64 v49, s7, 0, v49, s7
	s_or_b32 exec_lo, exec_lo, s8
	s_and_saveexec_b32 s7, s4
	s_cbranch_execz .LBB43_48
.LBB43_64:                              ;   in Loop: Header=BB43_3 Depth=1
	s_waitcnt vmcnt(0)
	v_cmp_u_f32_e64 s6, v15, v15
	s_waitcnt lgkmcnt(0)
	v_cmp_eq_f32_e64 s4, s46, v15
	v_cmp_gt_i32_e64 s5, s14, v22
	s_delay_alu instid0(VALU_DEP_3) | instskip(SKIP_1) | instid1(VALU_DEP_3)
	v_add_co_ci_u32_e64 v48, s6, 0, v48, s6
	v_cmp_gt_f32_e64 s6, s46, v15
	s_and_b32 s4, s4, s5
	s_delay_alu instid0(SALU_CYCLE_1) | instskip(NEXT) | instid1(VALU_DEP_2)
	v_add_co_ci_u32_e64 v50, s4, 0, v50, s4
	v_add_co_ci_u32_e64 v49, s6, 0, v49, s6
	s_or_b32 exec_lo, exec_lo, s7
	s_and_saveexec_b32 s6, s3
	s_cbranch_execz .LBB43_49
.LBB43_65:                              ;   in Loop: Header=BB43_3 Depth=1
	s_waitcnt vmcnt(0)
	v_cmp_u_f32_e64 s5, v16, v16
	s_waitcnt lgkmcnt(0)
	v_cmp_eq_f32_e64 s3, s46, v16
	v_cmp_gt_i32_e64 s4, s14, v20
	s_delay_alu instid0(VALU_DEP_3) | instskip(SKIP_1) | instid1(VALU_DEP_3)
	v_add_co_ci_u32_e64 v48, s5, 0, v48, s5
	v_cmp_gt_f32_e64 s5, s46, v16
	s_and_b32 s3, s3, s4
	s_delay_alu instid0(SALU_CYCLE_1) | instskip(NEXT) | instid1(VALU_DEP_2)
	v_add_co_ci_u32_e64 v50, s3, 0, v50, s3
	v_add_co_ci_u32_e64 v49, s5, 0, v49, s5
	s_or_b32 exec_lo, exec_lo, s6
	s_and_saveexec_b32 s5, vcc_lo
	s_cbranch_execz .LBB43_2
.LBB43_66:                              ;   in Loop: Header=BB43_3 Depth=1
	s_waitcnt vmcnt(0)
	v_cmp_u_f32_e64 s4, v17, v17
	s_waitcnt lgkmcnt(0)
	v_cmp_eq_f32_e32 vcc_lo, s46, v17
	v_cmp_gt_i32_e64 s3, s14, v18
	s_delay_alu instid0(VALU_DEP_3) | instskip(SKIP_1) | instid1(VALU_DEP_3)
	v_add_co_ci_u32_e64 v48, s4, 0, v48, s4
	v_cmp_gt_f32_e64 s4, s46, v17
	s_and_b32 vcc_lo, vcc_lo, s3
	v_add_co_ci_u32_e32 v50, vcc_lo, 0, v50, vcc_lo
	s_delay_alu instid0(VALU_DEP_2)
	v_add_co_ci_u32_e64 v49, s4, 0, v49, s4
	s_branch .LBB43_2
.LBB43_67:
                                        ; implicit-def: $vgpr2_vgpr3_vgpr4_vgpr5_vgpr6_vgpr7_vgpr8_vgpr9_vgpr10_vgpr11_vgpr12_vgpr13_vgpr14_vgpr15_vgpr16_vgpr17
	v_lshlrev_b32_e32 v18, 2, v0
	s_cmp_lt_u32 s21, 2
	ds_store_b32 v18, v1
	s_cbranch_scc0 .LBB43_69
	s_branch .LBB43_73
.LBB43_68:
	v_add_nc_u32_e32 v1, v49, v50
	v_cmp_eq_u32_e64 s3, 0, v48
	v_lshlrev_b32_e32 v18, 2, v0
	s_cmp_lt_u32 s21, 2
	ds_store_b32 v18, v1
	s_cbranch_scc1 .LBB43_73
.LBB43_69:
	s_mov_b32 s4, s21
	s_branch .LBB43_71
	.p2align	6
.LBB43_70:                              ;   in Loop: Header=BB43_71 Depth=1
	s_or_b32 exec_lo, exec_lo, s6
	s_cmp_lt_u32 s4, 4
	s_mov_b32 s4, s5
	s_cbranch_scc1 .LBB43_73
.LBB43_71:                              ; =>This Inner Loop Header: Depth=1
	s_lshr_b32 s5, s4, 1
	s_mov_b32 s6, exec_lo
	s_waitcnt vmcnt(0) lgkmcnt(0)
	s_barrier
	buffer_gl0_inv
	v_cmpx_gt_u32_e64 s5, v0
	s_cbranch_execz .LBB43_70
; %bb.72:                               ;   in Loop: Header=BB43_71 Depth=1
	v_lshl_add_u32 v19, s5, 2, v18
	ds_load_b32 v19, v19
	s_waitcnt lgkmcnt(0)
	v_add_nc_u32_e32 v1, v19, v1
	ds_store_b32 v18, v1
	s_branch .LBB43_70
.LBB43_73:
	v_mov_b32_e32 v1, 0
	s_waitcnt vmcnt(0) lgkmcnt(0)
	s_barrier
	buffer_gl0_inv
	s_mul_i32 s4, s2, s27
	ds_load_b32 v18, v1
	s_mul_hi_u32 s5, s2, s26
	s_mul_i32 s6, s44, s26
	s_add_i32 s5, s5, s4
	s_mul_i32 s4, s2, s26
	s_add_i32 s5, s5, s6
	s_delay_alu instid0(SALU_CYCLE_1)
	s_lshl_b64 s[6:7], s[4:5], 2
	s_xor_b32 s5, s3, -1
	s_add_u32 s3, s24, s6
	s_addc_u32 s4, s25, s7
	s_mov_b32 s6, exec_lo
	s_waitcnt lgkmcnt(0)
	v_readfirstlane_b32 s12, v18
	v_cmpx_eq_u32_e32 0, v0
	s_cbranch_execnz .LBB43_76
; %bb.74:
	s_or_b32 exec_lo, exec_lo, s6
	s_and_saveexec_b32 s6, s5
	s_cbranch_execnz .LBB43_77
.LBB43_75:
	s_or_b32 exec_lo, exec_lo, s6
	s_delay_alu instid0(SALU_CYCLE_1)
	s_and_not1_b32 vcc_lo, exec_lo, s47
	s_cbranch_vccz .LBB43_78
	s_branch .LBB43_144
.LBB43_76:
	s_delay_alu instid0(VALU_DEP_2) | instskip(SKIP_2) | instid1(SALU_CYCLE_1)
	s_ashr_i32 s13, s12, 31
	v_mov_b32_e32 v18, s46
	s_lshl_b64 s[8:9], s[12:13], 2
	s_add_u32 s8, s3, s8
	s_addc_u32 s9, s4, s9
	global_store_b32 v1, v18, s[8:9]
	s_or_b32 exec_lo, exec_lo, s6
	s_and_saveexec_b32 s6, s5
	s_cbranch_execz .LBB43_75
.LBB43_77:
	v_dual_mov_b32 v1, 0 :: v_dual_mov_b32 v18, 0x7fc00000
	s_add_u32 s8, s3, s28
	s_addc_u32 s9, s4, s29
	global_store_b32 v1, v18, s[8:9]
	s_or_b32 exec_lo, exec_lo, s6
	s_delay_alu instid0(SALU_CYCLE_1)
	s_and_not1_b32 vcc_lo, exec_lo, s47
	s_cbranch_vccnz .LBB43_144
.LBB43_78:
	s_clause 0x1
	s_load_b64 s[16:17], s[0:1], 0x30
	s_load_b256 s[4:11], s[0:1], 0x38
	s_waitcnt lgkmcnt(0)
	s_ashr_i32 s1, s16, 31
	s_mul_i32 s3, s2, s5
	s_mul_hi_u32 s5, s2, s4
	s_mul_i32 s13, s44, s4
	s_add_i32 s3, s5, s3
	s_mul_i32 s4, s2, s4
	s_add_i32 s5, s3, s13
	s_mov_b32 s0, s16
	s_lshl_b64 s[4:5], s[4:5], 2
	s_mul_i32 s3, s2, s11
	s_add_u32 s4, s22, s4
	s_addc_u32 s5, s23, s5
	s_lshl_b64 s[0:1], s[0:1], 2
	s_mul_hi_u32 s11, s2, s10
	s_add_u32 s4, s4, s0
	s_mul_i32 s13, s44, s10
	s_addc_u32 s5, s5, s1
	s_add_i32 s1, s11, s3
	s_mul_i32 s0, s2, s10
	s_add_i32 s1, s1, s13
	s_mov_b32 s2, s8
	s_lshl_b64 s[0:1], s[0:1], 2
	s_ashr_i32 s3, s8, 31
	s_add_u32 s6, s6, s0
	s_addc_u32 s7, s7, s1
	s_lshl_b64 s[0:1], s[2:3], 2
	s_mul_i32 s2, s14, s17
	s_add_u32 s6, s6, s0
	s_addc_u32 s7, s7, s1
	s_ashr_i32 s3, s2, 31
	s_delay_alu instid0(SALU_CYCLE_1) | instskip(SKIP_4) | instid1(SALU_CYCLE_1)
	s_lshl_b64 s[0:1], s[2:3], 2
	s_mul_i32 s2, s12, s9
	s_add_u32 s16, s4, s0
	s_addc_u32 s17, s5, s1
	s_ashr_i32 s3, s2, 31
	s_lshl_b64 s[0:1], s[2:3], 2
	s_delay_alu instid0(SALU_CYCLE_1)
	s_add_u32 s18, s6, s0
	s_addc_u32 s19, s7, s1
	s_add_i32 s20, s45, 1
	s_lshl_b32 s22, s21, 1
	s_lshl_b32 s23, s21, 2
	;; [unrolled: 1-line block ×3, first 2 shown]
	s_branch .LBB43_80
.LBB43_79:                              ;   in Loop: Header=BB43_80 Depth=1
	s_or_b32 exec_lo, exec_lo, s0
	v_add_nc_u32_e32 v0, s30, v0
	s_add_i32 s20, s20, -1
	s_delay_alu instid0(SALU_CYCLE_1)
	s_cmp_eq_u32 s20, 0
	s_cbranch_scc1 .LBB43_144
.LBB43_80:                              ; =>This Inner Loop Header: Depth=1
	s_delay_alu instid0(VALU_DEP_1)
	v_cmp_gt_i32_e32 vcc_lo, s31, v0
	v_ashrrev_i32_e32 v1, 31, v0
	s_and_saveexec_b32 s1, vcc_lo
	s_cbranch_execz .LBB43_82
; %bb.81:                               ;   in Loop: Header=BB43_80 Depth=1
	s_delay_alu instid0(VALU_DEP_1) | instskip(NEXT) | instid1(VALU_DEP_1)
	v_lshlrev_b64 v[18:19], 2, v[0:1]
	v_add_co_u32 v18, s0, s16, v18
	s_delay_alu instid0(VALU_DEP_1)
	v_add_co_ci_u32_e64 v19, s0, s17, v19, s0
	global_load_b32 v2, v[18:19], off
.LBB43_82:                              ;   in Loop: Header=BB43_80 Depth=1
	s_or_b32 exec_lo, exec_lo, s1
	v_add_nc_u32_e32 v18, s21, v0
	s_delay_alu instid0(VALU_DEP_1) | instskip(SKIP_1) | instid1(VALU_DEP_2)
	v_cmp_gt_i32_e64 s0, s31, v18
	v_ashrrev_i32_e32 v19, 31, v18
	s_and_saveexec_b32 s2, s0
	s_cbranch_execz .LBB43_84
; %bb.83:                               ;   in Loop: Header=BB43_80 Depth=1
	s_delay_alu instid0(VALU_DEP_1) | instskip(NEXT) | instid1(VALU_DEP_1)
	v_lshlrev_b64 v[20:21], 2, v[18:19]
	v_add_co_u32 v20, s1, s16, v20
	s_delay_alu instid0(VALU_DEP_1)
	v_add_co_ci_u32_e64 v21, s1, s17, v21, s1
	global_load_b32 v3, v[20:21], off
.LBB43_84:                              ;   in Loop: Header=BB43_80 Depth=1
	s_or_b32 exec_lo, exec_lo, s2
	v_add_nc_u32_e32 v22, s21, v18
	v_add_nc_u32_e32 v20, s22, v0
	s_delay_alu instid0(VALU_DEP_2) | instskip(NEXT) | instid1(VALU_DEP_2)
	v_cmp_gt_i32_e64 s1, s31, v22
	v_ashrrev_i32_e32 v21, 31, v20
	s_delay_alu instid0(VALU_DEP_2)
	s_and_saveexec_b32 s3, s1
	s_cbranch_execz .LBB43_86
; %bb.85:                               ;   in Loop: Header=BB43_80 Depth=1
	s_delay_alu instid0(VALU_DEP_1) | instskip(NEXT) | instid1(VALU_DEP_1)
	v_lshlrev_b64 v[23:24], 2, v[20:21]
	v_add_co_u32 v23, s2, s16, v23
	s_delay_alu instid0(VALU_DEP_1)
	v_add_co_ci_u32_e64 v24, s2, s17, v24, s2
	global_load_b32 v4, v[23:24], off
.LBB43_86:                              ;   in Loop: Header=BB43_80 Depth=1
	s_or_b32 exec_lo, exec_lo, s3
	v_add_nc_u32_e32 v24, s21, v22
	v_add_nc_u32_e32 v22, s33, v0
	s_delay_alu instid0(VALU_DEP_2) | instskip(NEXT) | instid1(VALU_DEP_2)
	v_cmp_gt_i32_e64 s2, s31, v24
	v_ashrrev_i32_e32 v23, 31, v22
	s_delay_alu instid0(VALU_DEP_2)
	;; [unrolled: 17-line block ×8, first 2 shown]
	s_and_saveexec_b32 s10, s8
	s_cbranch_execz .LBB43_100
; %bb.99:                               ;   in Loop: Header=BB43_80 Depth=1
	s_delay_alu instid0(VALU_DEP_1) | instskip(NEXT) | instid1(VALU_DEP_1)
	v_lshlrev_b64 v[37:38], 2, v[34:35]
	v_add_co_u32 v37, s9, s16, v37
	s_delay_alu instid0(VALU_DEP_1)
	v_add_co_ci_u32_e64 v38, s9, s17, v38, s9
	global_load_b32 v11, v[37:38], off
.LBB43_100:                             ;   in Loop: Header=BB43_80 Depth=1
	s_or_b32 exec_lo, exec_lo, s10
	v_add_nc_u32_e32 v38, s21, v36
	v_add_nc_u32_e32 v36, s38, v0
	s_delay_alu instid0(VALU_DEP_2) | instskip(NEXT) | instid1(VALU_DEP_2)
	v_cmp_gt_i32_e64 s9, s31, v38
	v_ashrrev_i32_e32 v37, 31, v36
	s_delay_alu instid0(VALU_DEP_2)
	s_and_saveexec_b32 s11, s9
	s_cbranch_execz .LBB43_102
; %bb.101:                              ;   in Loop: Header=BB43_80 Depth=1
	s_delay_alu instid0(VALU_DEP_1) | instskip(NEXT) | instid1(VALU_DEP_1)
	v_lshlrev_b64 v[39:40], 2, v[36:37]
	v_add_co_u32 v39, s10, s16, v39
	s_delay_alu instid0(VALU_DEP_1)
	v_add_co_ci_u32_e64 v40, s10, s17, v40, s10
	global_load_b32 v12, v[39:40], off
.LBB43_102:                             ;   in Loop: Header=BB43_80 Depth=1
	s_or_b32 exec_lo, exec_lo, s11
	v_add_nc_u32_e32 v40, s21, v38
	v_add_nc_u32_e32 v38, s39, v0
	s_delay_alu instid0(VALU_DEP_2) | instskip(NEXT) | instid1(VALU_DEP_2)
	v_cmp_gt_i32_e64 s10, s31, v40
	v_ashrrev_i32_e32 v39, 31, v38
	s_delay_alu instid0(VALU_DEP_2)
	s_and_saveexec_b32 s12, s10
	s_cbranch_execz .LBB43_104
; %bb.103:                              ;   in Loop: Header=BB43_80 Depth=1
	s_delay_alu instid0(VALU_DEP_1) | instskip(NEXT) | instid1(VALU_DEP_1)
	v_lshlrev_b64 v[41:42], 2, v[38:39]
	v_add_co_u32 v41, s11, s16, v41
	s_delay_alu instid0(VALU_DEP_1)
	v_add_co_ci_u32_e64 v42, s11, s17, v42, s11
	global_load_b32 v13, v[41:42], off
.LBB43_104:                             ;   in Loop: Header=BB43_80 Depth=1
	;; [unrolled: 17-line block ×5, first 2 shown]
	s_or_b32 exec_lo, exec_lo, s15
	v_add_nc_u32_e32 v47, s21, v46
	v_add_nc_u32_e32 v46, s43, v0
	s_delay_alu instid0(VALU_DEP_2) | instskip(NEXT) | instid1(VALU_DEP_2)
	v_cmp_gt_i32_e64 s14, s31, v47
	v_ashrrev_i32_e32 v47, 31, v46
	s_delay_alu instid0(VALU_DEP_2)
	s_and_saveexec_b32 s25, s14
	s_cbranch_execnz .LBB43_127
; %bb.111:                              ;   in Loop: Header=BB43_80 Depth=1
	s_or_b32 exec_lo, exec_lo, s25
	s_and_saveexec_b32 s15, vcc_lo
	s_cbranch_execnz .LBB43_128
.LBB43_112:                             ;   in Loop: Header=BB43_80 Depth=1
	s_or_b32 exec_lo, exec_lo, s15
	s_and_saveexec_b32 s15, s0
	s_cbranch_execnz .LBB43_129
.LBB43_113:                             ;   in Loop: Header=BB43_80 Depth=1
	s_or_b32 exec_lo, exec_lo, s15
	s_and_saveexec_b32 s0, s1
	s_cbranch_execnz .LBB43_130
.LBB43_114:                             ;   in Loop: Header=BB43_80 Depth=1
	s_or_b32 exec_lo, exec_lo, s0
	s_and_saveexec_b32 s0, s2
	s_cbranch_execnz .LBB43_131
.LBB43_115:                             ;   in Loop: Header=BB43_80 Depth=1
	s_or_b32 exec_lo, exec_lo, s0
	s_and_saveexec_b32 s0, s3
	s_cbranch_execnz .LBB43_132
.LBB43_116:                             ;   in Loop: Header=BB43_80 Depth=1
	s_or_b32 exec_lo, exec_lo, s0
	s_and_saveexec_b32 s0, s4
	s_cbranch_execnz .LBB43_133
.LBB43_117:                             ;   in Loop: Header=BB43_80 Depth=1
	s_or_b32 exec_lo, exec_lo, s0
	s_and_saveexec_b32 s0, s5
	s_cbranch_execnz .LBB43_134
.LBB43_118:                             ;   in Loop: Header=BB43_80 Depth=1
	s_or_b32 exec_lo, exec_lo, s0
	s_and_saveexec_b32 s0, s6
	s_cbranch_execnz .LBB43_135
.LBB43_119:                             ;   in Loop: Header=BB43_80 Depth=1
	s_or_b32 exec_lo, exec_lo, s0
	s_and_saveexec_b32 s0, s7
	s_cbranch_execnz .LBB43_136
.LBB43_120:                             ;   in Loop: Header=BB43_80 Depth=1
	s_or_b32 exec_lo, exec_lo, s0
	s_and_saveexec_b32 s0, s8
	s_cbranch_execnz .LBB43_137
.LBB43_121:                             ;   in Loop: Header=BB43_80 Depth=1
	s_or_b32 exec_lo, exec_lo, s0
	s_and_saveexec_b32 s0, s9
	s_cbranch_execnz .LBB43_138
.LBB43_122:                             ;   in Loop: Header=BB43_80 Depth=1
	s_or_b32 exec_lo, exec_lo, s0
	s_and_saveexec_b32 s0, s10
	s_cbranch_execnz .LBB43_139
.LBB43_123:                             ;   in Loop: Header=BB43_80 Depth=1
	s_or_b32 exec_lo, exec_lo, s0
	s_and_saveexec_b32 s0, s11
	s_cbranch_execnz .LBB43_140
.LBB43_124:                             ;   in Loop: Header=BB43_80 Depth=1
	s_or_b32 exec_lo, exec_lo, s0
	s_and_saveexec_b32 s0, s12
	s_cbranch_execnz .LBB43_141
.LBB43_125:                             ;   in Loop: Header=BB43_80 Depth=1
	s_or_b32 exec_lo, exec_lo, s0
	s_and_saveexec_b32 s0, s13
	s_cbranch_execnz .LBB43_142
.LBB43_126:                             ;   in Loop: Header=BB43_80 Depth=1
	s_or_b32 exec_lo, exec_lo, s0
	s_and_saveexec_b32 s0, s14
	s_cbranch_execz .LBB43_79
	s_branch .LBB43_143
.LBB43_127:                             ;   in Loop: Header=BB43_80 Depth=1
	s_delay_alu instid0(VALU_DEP_1) | instskip(NEXT) | instid1(VALU_DEP_1)
	v_lshlrev_b64 v[48:49], 2, v[46:47]
	v_add_co_u32 v48, s15, s16, v48
	s_delay_alu instid0(VALU_DEP_1)
	v_add_co_ci_u32_e64 v49, s15, s17, v49, s15
	global_load_b32 v17, v[48:49], off
	s_or_b32 exec_lo, exec_lo, s25
	s_and_saveexec_b32 s15, vcc_lo
	s_cbranch_execz .LBB43_112
.LBB43_128:                             ;   in Loop: Header=BB43_80 Depth=1
	v_lshlrev_b64 v[48:49], 2, v[0:1]
	s_delay_alu instid0(VALU_DEP_1) | instskip(NEXT) | instid1(VALU_DEP_2)
	v_add_co_u32 v48, vcc_lo, s18, v48
	v_add_co_ci_u32_e32 v49, vcc_lo, s19, v49, vcc_lo
	s_waitcnt vmcnt(0)
	global_store_b32 v[48:49], v2, off
	s_or_b32 exec_lo, exec_lo, s15
	s_and_saveexec_b32 s15, s0
	s_cbranch_execz .LBB43_113
.LBB43_129:                             ;   in Loop: Header=BB43_80 Depth=1
	v_lshlrev_b64 v[18:19], 2, v[18:19]
	s_delay_alu instid0(VALU_DEP_1) | instskip(NEXT) | instid1(VALU_DEP_2)
	v_add_co_u32 v18, vcc_lo, s18, v18
	v_add_co_ci_u32_e32 v19, vcc_lo, s19, v19, vcc_lo
	s_waitcnt vmcnt(0)
	global_store_b32 v[18:19], v3, off
	s_or_b32 exec_lo, exec_lo, s15
	s_and_saveexec_b32 s0, s1
	s_cbranch_execz .LBB43_114
.LBB43_130:                             ;   in Loop: Header=BB43_80 Depth=1
	v_lshlrev_b64 v[18:19], 2, v[20:21]
	s_delay_alu instid0(VALU_DEP_1) | instskip(NEXT) | instid1(VALU_DEP_2)
	v_add_co_u32 v18, vcc_lo, s18, v18
	v_add_co_ci_u32_e32 v19, vcc_lo, s19, v19, vcc_lo
	s_waitcnt vmcnt(0)
	global_store_b32 v[18:19], v4, off
	s_or_b32 exec_lo, exec_lo, s0
	s_and_saveexec_b32 s0, s2
	s_cbranch_execz .LBB43_115
.LBB43_131:                             ;   in Loop: Header=BB43_80 Depth=1
	v_lshlrev_b64 v[18:19], 2, v[22:23]
	s_delay_alu instid0(VALU_DEP_1) | instskip(NEXT) | instid1(VALU_DEP_2)
	v_add_co_u32 v18, vcc_lo, s18, v18
	v_add_co_ci_u32_e32 v19, vcc_lo, s19, v19, vcc_lo
	s_waitcnt vmcnt(0)
	global_store_b32 v[18:19], v5, off
	s_or_b32 exec_lo, exec_lo, s0
	s_and_saveexec_b32 s0, s3
	s_cbranch_execz .LBB43_116
.LBB43_132:                             ;   in Loop: Header=BB43_80 Depth=1
	v_lshlrev_b64 v[18:19], 2, v[24:25]
	s_delay_alu instid0(VALU_DEP_1) | instskip(NEXT) | instid1(VALU_DEP_2)
	v_add_co_u32 v18, vcc_lo, s18, v18
	v_add_co_ci_u32_e32 v19, vcc_lo, s19, v19, vcc_lo
	s_waitcnt vmcnt(0)
	global_store_b32 v[18:19], v6, off
	s_or_b32 exec_lo, exec_lo, s0
	s_and_saveexec_b32 s0, s4
	s_cbranch_execz .LBB43_117
.LBB43_133:                             ;   in Loop: Header=BB43_80 Depth=1
	v_lshlrev_b64 v[18:19], 2, v[26:27]
	s_delay_alu instid0(VALU_DEP_1) | instskip(NEXT) | instid1(VALU_DEP_2)
	v_add_co_u32 v18, vcc_lo, s18, v18
	v_add_co_ci_u32_e32 v19, vcc_lo, s19, v19, vcc_lo
	s_waitcnt vmcnt(0)
	global_store_b32 v[18:19], v7, off
	s_or_b32 exec_lo, exec_lo, s0
	s_and_saveexec_b32 s0, s5
	s_cbranch_execz .LBB43_118
.LBB43_134:                             ;   in Loop: Header=BB43_80 Depth=1
	v_lshlrev_b64 v[18:19], 2, v[28:29]
	s_delay_alu instid0(VALU_DEP_1) | instskip(NEXT) | instid1(VALU_DEP_2)
	v_add_co_u32 v18, vcc_lo, s18, v18
	v_add_co_ci_u32_e32 v19, vcc_lo, s19, v19, vcc_lo
	s_waitcnt vmcnt(0)
	global_store_b32 v[18:19], v8, off
	s_or_b32 exec_lo, exec_lo, s0
	s_and_saveexec_b32 s0, s6
	s_cbranch_execz .LBB43_119
.LBB43_135:                             ;   in Loop: Header=BB43_80 Depth=1
	v_lshlrev_b64 v[18:19], 2, v[30:31]
	s_delay_alu instid0(VALU_DEP_1) | instskip(NEXT) | instid1(VALU_DEP_2)
	v_add_co_u32 v18, vcc_lo, s18, v18
	v_add_co_ci_u32_e32 v19, vcc_lo, s19, v19, vcc_lo
	s_waitcnt vmcnt(0)
	global_store_b32 v[18:19], v9, off
	s_or_b32 exec_lo, exec_lo, s0
	s_and_saveexec_b32 s0, s7
	s_cbranch_execz .LBB43_120
.LBB43_136:                             ;   in Loop: Header=BB43_80 Depth=1
	v_lshlrev_b64 v[18:19], 2, v[32:33]
	s_delay_alu instid0(VALU_DEP_1) | instskip(NEXT) | instid1(VALU_DEP_2)
	v_add_co_u32 v18, vcc_lo, s18, v18
	v_add_co_ci_u32_e32 v19, vcc_lo, s19, v19, vcc_lo
	s_waitcnt vmcnt(0)
	global_store_b32 v[18:19], v10, off
	s_or_b32 exec_lo, exec_lo, s0
	s_and_saveexec_b32 s0, s8
	s_cbranch_execz .LBB43_121
.LBB43_137:                             ;   in Loop: Header=BB43_80 Depth=1
	v_lshlrev_b64 v[18:19], 2, v[34:35]
	s_delay_alu instid0(VALU_DEP_1) | instskip(NEXT) | instid1(VALU_DEP_2)
	v_add_co_u32 v18, vcc_lo, s18, v18
	v_add_co_ci_u32_e32 v19, vcc_lo, s19, v19, vcc_lo
	s_waitcnt vmcnt(0)
	global_store_b32 v[18:19], v11, off
	s_or_b32 exec_lo, exec_lo, s0
	s_and_saveexec_b32 s0, s9
	s_cbranch_execz .LBB43_122
.LBB43_138:                             ;   in Loop: Header=BB43_80 Depth=1
	v_lshlrev_b64 v[18:19], 2, v[36:37]
	s_delay_alu instid0(VALU_DEP_1) | instskip(NEXT) | instid1(VALU_DEP_2)
	v_add_co_u32 v18, vcc_lo, s18, v18
	v_add_co_ci_u32_e32 v19, vcc_lo, s19, v19, vcc_lo
	s_waitcnt vmcnt(0)
	global_store_b32 v[18:19], v12, off
	s_or_b32 exec_lo, exec_lo, s0
	s_and_saveexec_b32 s0, s10
	s_cbranch_execz .LBB43_123
.LBB43_139:                             ;   in Loop: Header=BB43_80 Depth=1
	v_lshlrev_b64 v[18:19], 2, v[38:39]
	s_delay_alu instid0(VALU_DEP_1) | instskip(NEXT) | instid1(VALU_DEP_2)
	v_add_co_u32 v18, vcc_lo, s18, v18
	v_add_co_ci_u32_e32 v19, vcc_lo, s19, v19, vcc_lo
	s_waitcnt vmcnt(0)
	global_store_b32 v[18:19], v13, off
	s_or_b32 exec_lo, exec_lo, s0
	s_and_saveexec_b32 s0, s11
	s_cbranch_execz .LBB43_124
.LBB43_140:                             ;   in Loop: Header=BB43_80 Depth=1
	v_lshlrev_b64 v[18:19], 2, v[40:41]
	s_delay_alu instid0(VALU_DEP_1) | instskip(NEXT) | instid1(VALU_DEP_2)
	v_add_co_u32 v18, vcc_lo, s18, v18
	v_add_co_ci_u32_e32 v19, vcc_lo, s19, v19, vcc_lo
	s_waitcnt vmcnt(0)
	global_store_b32 v[18:19], v14, off
	s_or_b32 exec_lo, exec_lo, s0
	s_and_saveexec_b32 s0, s12
	s_cbranch_execz .LBB43_125
.LBB43_141:                             ;   in Loop: Header=BB43_80 Depth=1
	v_lshlrev_b64 v[18:19], 2, v[42:43]
	s_delay_alu instid0(VALU_DEP_1) | instskip(NEXT) | instid1(VALU_DEP_2)
	v_add_co_u32 v18, vcc_lo, s18, v18
	v_add_co_ci_u32_e32 v19, vcc_lo, s19, v19, vcc_lo
	s_waitcnt vmcnt(0)
	global_store_b32 v[18:19], v15, off
	s_or_b32 exec_lo, exec_lo, s0
	s_and_saveexec_b32 s0, s13
	s_cbranch_execz .LBB43_126
.LBB43_142:                             ;   in Loop: Header=BB43_80 Depth=1
	v_lshlrev_b64 v[18:19], 2, v[44:45]
	s_delay_alu instid0(VALU_DEP_1) | instskip(NEXT) | instid1(VALU_DEP_2)
	v_add_co_u32 v18, vcc_lo, s18, v18
	v_add_co_ci_u32_e32 v19, vcc_lo, s19, v19, vcc_lo
	s_waitcnt vmcnt(0)
	global_store_b32 v[18:19], v16, off
	s_or_b32 exec_lo, exec_lo, s0
	s_and_saveexec_b32 s0, s14
	s_cbranch_execz .LBB43_79
.LBB43_143:                             ;   in Loop: Header=BB43_80 Depth=1
	v_lshlrev_b64 v[18:19], 2, v[46:47]
	s_delay_alu instid0(VALU_DEP_1) | instskip(NEXT) | instid1(VALU_DEP_2)
	v_add_co_u32 v18, vcc_lo, s18, v18
	v_add_co_ci_u32_e32 v19, vcc_lo, s19, v19, vcc_lo
	s_waitcnt vmcnt(0)
	global_store_b32 v[18:19], v17, off
	s_branch .LBB43_79
.LBB43_144:
	s_nop 0
	s_sendmsg sendmsg(MSG_DEALLOC_VGPRS)
	s_endpgm
	.section	.rodata,"a",@progbits
	.p2align	6, 0x0
	.amdhsa_kernel _ZN9rocsolver6v33100L10stedc_sortIffPfS2_EEviPT0_lS4_lT1_iilT2_iil
		.amdhsa_group_segment_fixed_size 2048
		.amdhsa_private_segment_fixed_size 0
		.amdhsa_kernarg_size 344
		.amdhsa_user_sgpr_count 14
		.amdhsa_user_sgpr_dispatch_ptr 0
		.amdhsa_user_sgpr_queue_ptr 0
		.amdhsa_user_sgpr_kernarg_segment_ptr 1
		.amdhsa_user_sgpr_dispatch_id 0
		.amdhsa_user_sgpr_private_segment_size 0
		.amdhsa_wavefront_size32 1
		.amdhsa_uses_dynamic_stack 0
		.amdhsa_enable_private_segment 0
		.amdhsa_system_sgpr_workgroup_id_x 1
		.amdhsa_system_sgpr_workgroup_id_y 1
		.amdhsa_system_sgpr_workgroup_id_z 0
		.amdhsa_system_sgpr_workgroup_info 0
		.amdhsa_system_vgpr_workitem_id 0
		.amdhsa_next_free_vgpr 53
		.amdhsa_next_free_sgpr 55
		.amdhsa_reserve_vcc 1
		.amdhsa_float_round_mode_32 0
		.amdhsa_float_round_mode_16_64 0
		.amdhsa_float_denorm_mode_32 3
		.amdhsa_float_denorm_mode_16_64 3
		.amdhsa_dx10_clamp 1
		.amdhsa_ieee_mode 1
		.amdhsa_fp16_overflow 0
		.amdhsa_workgroup_processor_mode 1
		.amdhsa_memory_ordered 1
		.amdhsa_forward_progress 0
		.amdhsa_shared_vgpr_count 0
		.amdhsa_exception_fp_ieee_invalid_op 0
		.amdhsa_exception_fp_denorm_src 0
		.amdhsa_exception_fp_ieee_div_zero 0
		.amdhsa_exception_fp_ieee_overflow 0
		.amdhsa_exception_fp_ieee_underflow 0
		.amdhsa_exception_fp_ieee_inexact 0
		.amdhsa_exception_int_div_zero 0
	.end_amdhsa_kernel
	.section	.text._ZN9rocsolver6v33100L10stedc_sortIffPfS2_EEviPT0_lS4_lT1_iilT2_iil,"axG",@progbits,_ZN9rocsolver6v33100L10stedc_sortIffPfS2_EEviPT0_lS4_lT1_iilT2_iil,comdat
.Lfunc_end43:
	.size	_ZN9rocsolver6v33100L10stedc_sortIffPfS2_EEviPT0_lS4_lT1_iilT2_iil, .Lfunc_end43-_ZN9rocsolver6v33100L10stedc_sortIffPfS2_EEviPT0_lS4_lT1_iilT2_iil
                                        ; -- End function
	.section	.AMDGPU.csdata,"",@progbits
; Kernel info:
; codeLenInByte = 5896
; NumSgprs: 57
; NumVgprs: 53
; ScratchSize: 0
; MemoryBound: 0
; FloatMode: 240
; IeeeMode: 1
; LDSByteSize: 2048 bytes/workgroup (compile time only)
; SGPRBlocks: 7
; VGPRBlocks: 6
; NumSGPRsForWavesPerEU: 57
; NumVGPRsForWavesPerEU: 53
; Occupancy: 16
; WaveLimiterHint : 0
; COMPUTE_PGM_RSRC2:SCRATCH_EN: 0
; COMPUTE_PGM_RSRC2:USER_SGPR: 14
; COMPUTE_PGM_RSRC2:TRAP_HANDLER: 0
; COMPUTE_PGM_RSRC2:TGID_X_EN: 1
; COMPUTE_PGM_RSRC2:TGID_Y_EN: 1
; COMPUTE_PGM_RSRC2:TGID_Z_EN: 0
; COMPUTE_PGM_RSRC2:TIDIG_COMP_CNT: 0
	.section	.text._ZN9rocsolver6v33100L13conj_in_placeIfiPfTnNSt9enable_ifIXnt18rocblas_is_complexIT_EEiE4typeELi0EEEvT0_S7_T1_lS7_l,"axG",@progbits,_ZN9rocsolver6v33100L13conj_in_placeIfiPfTnNSt9enable_ifIXnt18rocblas_is_complexIT_EEiE4typeELi0EEEvT0_S7_T1_lS7_l,comdat
	.globl	_ZN9rocsolver6v33100L13conj_in_placeIfiPfTnNSt9enable_ifIXnt18rocblas_is_complexIT_EEiE4typeELi0EEEvT0_S7_T1_lS7_l ; -- Begin function _ZN9rocsolver6v33100L13conj_in_placeIfiPfTnNSt9enable_ifIXnt18rocblas_is_complexIT_EEiE4typeELi0EEEvT0_S7_T1_lS7_l
	.p2align	8
	.type	_ZN9rocsolver6v33100L13conj_in_placeIfiPfTnNSt9enable_ifIXnt18rocblas_is_complexIT_EEiE4typeELi0EEEvT0_S7_T1_lS7_l,@function
_ZN9rocsolver6v33100L13conj_in_placeIfiPfTnNSt9enable_ifIXnt18rocblas_is_complexIT_EEiE4typeELi0EEEvT0_S7_T1_lS7_l: ; @_ZN9rocsolver6v33100L13conj_in_placeIfiPfTnNSt9enable_ifIXnt18rocblas_is_complexIT_EEiE4typeELi0EEEvT0_S7_T1_lS7_l
; %bb.0:
	s_endpgm
	.section	.rodata,"a",@progbits
	.p2align	6, 0x0
	.amdhsa_kernel _ZN9rocsolver6v33100L13conj_in_placeIfiPfTnNSt9enable_ifIXnt18rocblas_is_complexIT_EEiE4typeELi0EEEvT0_S7_T1_lS7_l
		.amdhsa_group_segment_fixed_size 0
		.amdhsa_private_segment_fixed_size 0
		.amdhsa_kernarg_size 40
		.amdhsa_user_sgpr_count 15
		.amdhsa_user_sgpr_dispatch_ptr 0
		.amdhsa_user_sgpr_queue_ptr 0
		.amdhsa_user_sgpr_kernarg_segment_ptr 1
		.amdhsa_user_sgpr_dispatch_id 0
		.amdhsa_user_sgpr_private_segment_size 0
		.amdhsa_wavefront_size32 1
		.amdhsa_uses_dynamic_stack 0
		.amdhsa_enable_private_segment 0
		.amdhsa_system_sgpr_workgroup_id_x 1
		.amdhsa_system_sgpr_workgroup_id_y 0
		.amdhsa_system_sgpr_workgroup_id_z 0
		.amdhsa_system_sgpr_workgroup_info 0
		.amdhsa_system_vgpr_workitem_id 0
		.amdhsa_next_free_vgpr 1
		.amdhsa_next_free_sgpr 1
		.amdhsa_reserve_vcc 0
		.amdhsa_float_round_mode_32 0
		.amdhsa_float_round_mode_16_64 0
		.amdhsa_float_denorm_mode_32 3
		.amdhsa_float_denorm_mode_16_64 3
		.amdhsa_dx10_clamp 1
		.amdhsa_ieee_mode 1
		.amdhsa_fp16_overflow 0
		.amdhsa_workgroup_processor_mode 1
		.amdhsa_memory_ordered 1
		.amdhsa_forward_progress 0
		.amdhsa_shared_vgpr_count 0
		.amdhsa_exception_fp_ieee_invalid_op 0
		.amdhsa_exception_fp_denorm_src 0
		.amdhsa_exception_fp_ieee_div_zero 0
		.amdhsa_exception_fp_ieee_overflow 0
		.amdhsa_exception_fp_ieee_underflow 0
		.amdhsa_exception_fp_ieee_inexact 0
		.amdhsa_exception_int_div_zero 0
	.end_amdhsa_kernel
	.section	.text._ZN9rocsolver6v33100L13conj_in_placeIfiPfTnNSt9enable_ifIXnt18rocblas_is_complexIT_EEiE4typeELi0EEEvT0_S7_T1_lS7_l,"axG",@progbits,_ZN9rocsolver6v33100L13conj_in_placeIfiPfTnNSt9enable_ifIXnt18rocblas_is_complexIT_EEiE4typeELi0EEEvT0_S7_T1_lS7_l,comdat
.Lfunc_end44:
	.size	_ZN9rocsolver6v33100L13conj_in_placeIfiPfTnNSt9enable_ifIXnt18rocblas_is_complexIT_EEiE4typeELi0EEEvT0_S7_T1_lS7_l, .Lfunc_end44-_ZN9rocsolver6v33100L13conj_in_placeIfiPfTnNSt9enable_ifIXnt18rocblas_is_complexIT_EEiE4typeELi0EEEvT0_S7_T1_lS7_l
                                        ; -- End function
	.section	.AMDGPU.csdata,"",@progbits
; Kernel info:
; codeLenInByte = 4
; NumSgprs: 0
; NumVgprs: 0
; ScratchSize: 0
; MemoryBound: 0
; FloatMode: 240
; IeeeMode: 1
; LDSByteSize: 0 bytes/workgroup (compile time only)
; SGPRBlocks: 0
; VGPRBlocks: 0
; NumSGPRsForWavesPerEU: 1
; NumVGPRsForWavesPerEU: 1
; Occupancy: 16
; WaveLimiterHint : 0
; COMPUTE_PGM_RSRC2:SCRATCH_EN: 0
; COMPUTE_PGM_RSRC2:USER_SGPR: 15
; COMPUTE_PGM_RSRC2:TRAP_HANDLER: 0
; COMPUTE_PGM_RSRC2:TGID_X_EN: 1
; COMPUTE_PGM_RSRC2:TGID_Y_EN: 0
; COMPUTE_PGM_RSRC2:TGID_Z_EN: 0
; COMPUTE_PGM_RSRC2:TIDIG_COMP_CNT: 0
	.section	.text._ZN9rocsolver6v33100L16larf_left_kernelILi1024EfiPfEEvT1_S3_T2_lS3_lPKT0_lS4_lS3_l,"axG",@progbits,_ZN9rocsolver6v33100L16larf_left_kernelILi1024EfiPfEEvT1_S3_T2_lS3_lPKT0_lS4_lS3_l,comdat
	.globl	_ZN9rocsolver6v33100L16larf_left_kernelILi1024EfiPfEEvT1_S3_T2_lS3_lPKT0_lS4_lS3_l ; -- Begin function _ZN9rocsolver6v33100L16larf_left_kernelILi1024EfiPfEEvT1_S3_T2_lS3_lPKT0_lS4_lS3_l
	.p2align	8
	.type	_ZN9rocsolver6v33100L16larf_left_kernelILi1024EfiPfEEvT1_S3_T2_lS3_lPKT0_lS4_lS3_l,@function
_ZN9rocsolver6v33100L16larf_left_kernelILi1024EfiPfEEvT1_S3_T2_lS3_lPKT0_lS4_lS3_l: ; @_ZN9rocsolver6v33100L16larf_left_kernelILi1024EfiPfEEvT1_S3_T2_lS3_lPKT0_lS4_lS3_l
; %bb.0:
	s_clause 0x4
	s_load_b32 s20, s[0:1], 0x0
	s_load_b64 s[2:3], s[0:1], 0x50
	s_load_b32 s17, s[0:1], 0x48
	s_load_b64 s[12:13], s[0:1], 0x40
	s_load_b256 s[4:11], s[0:1], 0x20
	v_mov_b32_e32 v5, 0
	v_lshlrev_b32_e32 v3, 2, v0
	s_ashr_i32 s24, s15, 31
	s_waitcnt lgkmcnt(0)
	v_cmp_gt_i32_e32 vcc_lo, s20, v0
	s_mul_i32 s21, s2, s24
	s_mul_hi_u32 s22, s2, s15
	s_mul_i32 s23, s3, s15
	s_mul_i32 s16, s2, s15
	s_mul_hi_i32 s19, s14, s17
	s_mul_i32 s18, s14, s17
	s_and_saveexec_b32 s14, vcc_lo
	s_cbranch_execz .LBB45_6
; %bb.1:
	s_clause 0x1
	s_load_b32 s26, s[0:1], 0x18
	s_load_b128 s[0:3], s[0:1], 0x8
	s_sub_i32 s17, 1, s20
	s_mul_i32 s25, s4, s24
	s_mul_hi_u32 s29, s4, s15
	s_mul_i32 s5, s5, s15
	s_mul_i32 s4, s4, s15
	v_add3_u32 v4, v3, 0, 0x80
	v_mov_b32_e32 v6, v0
	s_delay_alu instid0(VALU_DEP_2)
	v_mov_b32_e32 v5, v4
	s_waitcnt lgkmcnt(0)
	s_ashr_i32 s27, s26, 31
	v_mad_i64_i32 v[1:2], null, s26, v0, 0
	v_cmp_lt_i64_e64 s28, s[26:27], 1
	s_mul_i32 s17, s17, s26
	s_delay_alu instid0(VALU_DEP_1)
	s_and_b32 s28, s28, exec_lo
	s_cselect_b32 s28, s17, 0
	s_add_i32 s17, s29, s25
	s_ashr_i32 s29, s28, 31
	s_add_i32 s5, s17, s5
	s_lshl_b64 s[28:29], s[28:29], 2
	s_lshl_b64 s[2:3], s[2:3], 2
	;; [unrolled: 1-line block ×3, first 2 shown]
	v_lshlrev_b64 v[1:2], 2, v[1:2]
	s_add_u32 s0, s0, s28
	s_addc_u32 s1, s1, s29
	s_add_u32 s0, s0, s2
	s_addc_u32 s1, s1, s3
	;; [unrolled: 2-line block ×3, first 2 shown]
	v_add_co_u32 v1, s0, s0, v1
	s_delay_alu instid0(VALU_DEP_1)
	v_add_co_ci_u32_e64 v2, s0, s1, v2, s0
	s_mov_b32 s4, 0
	s_lshl_b64 s[2:3], s[26:27], 12
	.p2align	6
.LBB45_2:                               ; =>This Inner Loop Header: Depth=1
	global_load_b32 v7, v[1:2], off
	v_add_nc_u32_e32 v6, 0x400, v6
	v_add_co_u32 v1, s0, v1, s2
	s_delay_alu instid0(VALU_DEP_1) | instskip(NEXT) | instid1(VALU_DEP_3)
	v_add_co_ci_u32_e64 v2, s0, s3, v2, s0
	v_cmp_le_i32_e64 s1, s20, v6
	s_delay_alu instid0(VALU_DEP_1)
	s_or_b32 s4, s1, s4
	s_waitcnt vmcnt(0)
	ds_store_b32 v5, v7
	v_add_nc_u32_e32 v5, 0x1000, v5
	s_and_not1_b32 exec_lo, exec_lo, s4
	s_cbranch_execnz .LBB45_2
; %bb.3:
	s_or_b32 exec_lo, exec_lo, s4
	s_add_i32 s0, s22, s21
	v_dual_mov_b32 v6, v0 :: v_dual_lshlrev_b32 v1, 2, v0
	s_add_i32 s17, s0, s23
	s_lshl_b64 s[0:1], s[18:19], 2
	s_lshl_b64 s[2:3], s[16:17], 2
	v_mov_b32_e32 v5, 0
	s_add_u32 s2, s2, s0
	s_addc_u32 s3, s3, s1
	s_lshl_b64 s[0:1], s[12:13], 2
	s_delay_alu instid0(SALU_CYCLE_1) | instskip(SKIP_4) | instid1(VALU_DEP_1)
	s_add_u32 s0, s2, s0
	s_addc_u32 s1, s3, s1
	s_add_u32 s0, s10, s0
	s_addc_u32 s1, s11, s1
	v_add_co_u32 v1, s0, s0, v1
	v_add_co_ci_u32_e64 v2, null, s1, 0, s0
	s_mov_b32 s2, 0
	.p2align	6
.LBB45_4:                               ; =>This Inner Loop Header: Depth=1
	global_load_b32 v7, v[1:2], off
	ds_load_b32 v8, v4
	v_add_nc_u32_e32 v6, 0x400, v6
	v_add_co_u32 v1, s0, 0x1000, v1
	s_delay_alu instid0(VALU_DEP_1) | instskip(SKIP_3) | instid1(VALU_DEP_2)
	v_add_co_ci_u32_e64 v2, s0, 0, v2, s0
	s_waitcnt vmcnt(0) lgkmcnt(0)
	v_mul_f32_e32 v7, v7, v8
	v_cmp_le_i32_e64 s1, s20, v6
	v_dual_add_f32 v5, v5, v7 :: v_dual_add_nc_u32 v4, 0x1000, v4
	s_delay_alu instid0(VALU_DEP_2) | instskip(NEXT) | instid1(SALU_CYCLE_1)
	s_or_b32 s2, s1, s2
	s_and_not1_b32 exec_lo, exec_lo, s2
	s_cbranch_execnz .LBB45_4
; %bb.5:
	s_or_b32 exec_lo, exec_lo, s2
.LBB45_6:
	s_delay_alu instid0(SALU_CYCLE_1) | instskip(SKIP_2) | instid1(VALU_DEP_1)
	s_or_b32 exec_lo, exec_lo, s14
	v_mbcnt_lo_u32_b32 v1, -1, 0
	s_mov_b32 s1, exec_lo
	v_cmp_ne_u32_e64 s0, 31, v1
	s_delay_alu instid0(VALU_DEP_1) | instskip(SKIP_1) | instid1(VALU_DEP_2)
	v_add_co_ci_u32_e64 v2, s0, 0, v1, s0
	v_cmp_gt_u32_e64 s0, 30, v1
	v_lshlrev_b32_e32 v2, 2, v2
	s_delay_alu instid0(VALU_DEP_2) | instskip(SKIP_3) | instid1(VALU_DEP_1)
	v_cndmask_b32_e64 v4, 0, 1, s0
	v_cmp_gt_u32_e64 s0, 28, v1
	ds_bpermute_b32 v2, v2, v5
	v_lshlrev_b32_e32 v4, 1, v4
	v_add_lshl_u32 v4, v4, v1, 2
	s_waitcnt lgkmcnt(0)
	v_add_f32_e32 v2, v5, v2
	v_cndmask_b32_e64 v5, 0, 1, s0
	v_cmp_gt_u32_e64 s0, 24, v1
	s_delay_alu instid0(VALU_DEP_2)
	v_lshlrev_b32_e32 v5, 2, v5
	ds_bpermute_b32 v4, v4, v2
	v_add_lshl_u32 v5, v5, v1, 2
	s_waitcnt lgkmcnt(0)
	v_add_f32_e32 v2, v2, v4
	ds_bpermute_b32 v4, v5, v2
	v_cndmask_b32_e64 v5, 0, 1, s0
	v_cmp_gt_u32_e64 s0, 16, v1
	s_delay_alu instid0(VALU_DEP_2) | instskip(NEXT) | instid1(VALU_DEP_1)
	v_lshlrev_b32_e32 v5, 3, v5
	v_add_lshl_u32 v5, v5, v1, 2
	s_waitcnt lgkmcnt(0)
	v_add_f32_e32 v2, v2, v4
	ds_bpermute_b32 v4, v5, v2
	v_cndmask_b32_e64 v5, 0, 1, s0
	s_delay_alu instid0(VALU_DEP_1) | instskip(NEXT) | instid1(VALU_DEP_1)
	v_lshlrev_b32_e32 v5, 4, v5
	v_add_lshl_u32 v1, v5, v1, 2
	s_waitcnt lgkmcnt(0)
	v_add_f32_e32 v2, v2, v4
	v_and_b32_e32 v4, 31, v0
	ds_bpermute_b32 v1, v1, v2
	s_waitcnt lgkmcnt(0)
	v_add_f32_e32 v1, v2, v1
	v_cmpx_eq_u32_e32 0, v4
	s_cbranch_execz .LBB45_8
; %bb.7:
	v_lshrrev_b32_e32 v2, 3, v0
	s_delay_alu instid0(VALU_DEP_1)
	v_add_nc_u32_e32 v2, 0, v2
	ds_store_b32 v2, v1
.LBB45_8:
	s_or_b32 exec_lo, exec_lo, s1
	s_delay_alu instid0(SALU_CYCLE_1)
	s_mov_b32 s1, exec_lo
	s_waitcnt lgkmcnt(0)
	s_barrier
	buffer_gl0_inv
	v_cmpx_eq_u32_e32 0, v0
	s_cbranch_execz .LBB45_10
; %bb.9:
	v_mov_b32_e32 v12, 0
	ds_load_2addr_b32 v[4:5], v12 offset0:1 offset1:2
	ds_load_2addr_b32 v[6:7], v12 offset0:3 offset1:4
	;; [unrolled: 1-line block ×4, first 2 shown]
	s_waitcnt lgkmcnt(3)
	v_add_f32_e32 v1, v1, v4
	s_delay_alu instid0(VALU_DEP_1) | instskip(SKIP_1) | instid1(VALU_DEP_1)
	v_add_f32_e32 v1, v1, v5
	s_waitcnt lgkmcnt(2)
	v_add_f32_e32 v1, v1, v6
	s_delay_alu instid0(VALU_DEP_1) | instskip(SKIP_1) | instid1(VALU_DEP_1)
	v_add_f32_e32 v1, v1, v7
	s_waitcnt lgkmcnt(1)
	v_add_f32_e32 v4, v1, v8
	ds_load_2addr_b32 v[1:2], v12 offset0:9 offset1:10
	v_add_f32_e32 v4, v4, v9
	s_waitcnt lgkmcnt(1)
	s_delay_alu instid0(VALU_DEP_1)
	v_add_f32_e32 v6, v4, v10
	ds_load_2addr_b32 v[4:5], v12 offset0:11 offset1:12
	v_add_f32_e32 v10, v6, v11
	ds_load_2addr_b32 v[6:7], v12 offset0:13 offset1:14
	ds_load_2addr_b32 v[8:9], v12 offset0:15 offset1:16
	s_waitcnt lgkmcnt(3)
	v_add_f32_e32 v1, v10, v1
	s_delay_alu instid0(VALU_DEP_1) | instskip(SKIP_1) | instid1(VALU_DEP_1)
	v_add_f32_e32 v1, v1, v2
	s_waitcnt lgkmcnt(2)
	v_add_f32_e32 v1, v1, v4
	s_delay_alu instid0(VALU_DEP_1) | instskip(SKIP_1) | instid1(VALU_DEP_1)
	v_add_f32_e32 v1, v1, v5
	s_waitcnt lgkmcnt(1)
	v_add_f32_e32 v4, v1, v6
	ds_load_2addr_b32 v[1:2], v12 offset0:17 offset1:18
	v_add_f32_e32 v4, v4, v7
	s_waitcnt lgkmcnt(1)
	s_delay_alu instid0(VALU_DEP_1)
	v_add_f32_e32 v6, v4, v8
	ds_load_2addr_b32 v[4:5], v12 offset0:19 offset1:20
	v_add_f32_e32 v10, v6, v9
	ds_load_2addr_b32 v[6:7], v12 offset0:21 offset1:22
	ds_load_2addr_b32 v[8:9], v12 offset0:23 offset1:24
	s_waitcnt lgkmcnt(3)
	v_add_f32_e32 v1, v10, v1
	s_delay_alu instid0(VALU_DEP_1) | instskip(SKIP_1) | instid1(VALU_DEP_1)
	v_add_f32_e32 v1, v1, v2
	s_waitcnt lgkmcnt(2)
	v_add_f32_e32 v1, v1, v4
	s_delay_alu instid0(VALU_DEP_1) | instskip(SKIP_1) | instid1(VALU_DEP_1)
	v_add_f32_e32 v1, v1, v5
	s_waitcnt lgkmcnt(1)
	v_add_f32_e32 v4, v1, v6
	ds_load_2addr_b32 v[1:2], v12 offset0:25 offset1:26
	v_add_f32_e32 v4, v4, v7
	s_waitcnt lgkmcnt(1)
	s_delay_alu instid0(VALU_DEP_1)
	v_add_f32_e32 v6, v4, v8
	ds_load_2addr_b32 v[4:5], v12 offset0:27 offset1:28
	v_add_f32_e32 v8, v6, v9
	ds_load_2addr_b32 v[6:7], v12 offset0:29 offset1:30
	ds_load_b32 v9, v12 offset:124
	s_waitcnt lgkmcnt(3)
	v_add_f32_e32 v1, v8, v1
	s_delay_alu instid0(VALU_DEP_1) | instskip(SKIP_1) | instid1(VALU_DEP_1)
	v_add_f32_e32 v1, v1, v2
	s_waitcnt lgkmcnt(2)
	v_add_f32_e32 v1, v1, v4
	s_delay_alu instid0(VALU_DEP_1) | instskip(SKIP_1) | instid1(VALU_DEP_1)
	v_add_f32_e32 v1, v1, v5
	;; [unrolled: 4-line block ×3, first 2 shown]
	s_waitcnt lgkmcnt(0)
	v_add_f32_e32 v1, v1, v9
	ds_store_b32 v12, v1
.LBB45_10:
	s_or_b32 exec_lo, exec_lo, s1
	s_waitcnt lgkmcnt(0)
	s_barrier
	buffer_gl0_inv
	s_and_saveexec_b32 s0, vcc_lo
	s_cbranch_execz .LBB45_13
; %bb.11:
	s_mul_i32 s0, s15, s9
	s_mul_hi_u32 s1, s15, s8
	s_mul_i32 s2, s24, s8
	s_add_i32 s0, s1, s0
	v_mov_b32_e32 v1, 0
	s_add_i32 s1, s0, s2
	s_mul_i32 s0, s15, s8
	v_add3_u32 v4, v3, 0, 0x80
	s_lshl_b64 s[0:1], s[0:1], 2
	ds_load_b32 v1, v1
	s_add_u32 s0, s6, s0
	s_addc_u32 s1, s7, s1
	s_load_b32 s4, s[0:1], 0x0
	s_add_i32 s0, s22, s21
	s_delay_alu instid0(SALU_CYCLE_1) | instskip(SKIP_2) | instid1(SALU_CYCLE_1)
	s_add_i32 s17, s0, s23
	s_lshl_b64 s[0:1], s[18:19], 2
	s_lshl_b64 s[2:3], s[16:17], 2
	s_add_u32 s2, s2, s0
	s_addc_u32 s3, s3, s1
	s_lshl_b64 s[0:1], s[12:13], 2
	s_delay_alu instid0(SALU_CYCLE_1)
	s_add_u32 s0, s2, s0
	s_addc_u32 s1, s3, s1
	s_add_u32 s0, s10, s0
	s_addc_u32 s1, s11, s1
	s_waitcnt lgkmcnt(0)
	v_mul_f32_e64 v5, v1, -s4
	v_add_co_u32 v1, s0, s0, v3
	s_delay_alu instid0(VALU_DEP_1)
	v_add_co_ci_u32_e64 v2, null, s1, 0, s0
	s_mov_b32 s1, 0
	.p2align	6
.LBB45_12:                              ; =>This Inner Loop Header: Depth=1
	global_load_b32 v3, v[1:2], off
	ds_load_b32 v6, v4
	v_add_nc_u32_e32 v0, 0x400, v0
	s_waitcnt vmcnt(0) lgkmcnt(0)
	v_dual_fmac_f32 v3, v5, v6 :: v_dual_add_nc_u32 v4, 0x1000, v4
	s_delay_alu instid0(VALU_DEP_2) | instskip(SKIP_2) | instid1(VALU_DEP_1)
	v_cmp_le_i32_e32 vcc_lo, s20, v0
	global_store_b32 v[1:2], v3, off
	v_add_co_u32 v1, s0, 0x1000, v1
	v_add_co_ci_u32_e64 v2, s0, 0, v2, s0
	s_or_b32 s1, vcc_lo, s1
	s_delay_alu instid0(SALU_CYCLE_1)
	s_and_not1_b32 exec_lo, exec_lo, s1
	s_cbranch_execnz .LBB45_12
.LBB45_13:
	s_nop 0
	s_sendmsg sendmsg(MSG_DEALLOC_VGPRS)
	s_endpgm
	.section	.rodata,"a",@progbits
	.p2align	6, 0x0
	.amdhsa_kernel _ZN9rocsolver6v33100L16larf_left_kernelILi1024EfiPfEEvT1_S3_T2_lS3_lPKT0_lS4_lS3_l
		.amdhsa_group_segment_fixed_size 0
		.amdhsa_private_segment_fixed_size 0
		.amdhsa_kernarg_size 88
		.amdhsa_user_sgpr_count 13
		.amdhsa_user_sgpr_dispatch_ptr 0
		.amdhsa_user_sgpr_queue_ptr 0
		.amdhsa_user_sgpr_kernarg_segment_ptr 1
		.amdhsa_user_sgpr_dispatch_id 0
		.amdhsa_user_sgpr_private_segment_size 0
		.amdhsa_wavefront_size32 1
		.amdhsa_uses_dynamic_stack 0
		.amdhsa_enable_private_segment 0
		.amdhsa_system_sgpr_workgroup_id_x 1
		.amdhsa_system_sgpr_workgroup_id_y 1
		.amdhsa_system_sgpr_workgroup_id_z 1
		.amdhsa_system_sgpr_workgroup_info 0
		.amdhsa_system_vgpr_workitem_id 0
		.amdhsa_next_free_vgpr 13
		.amdhsa_next_free_sgpr 30
		.amdhsa_reserve_vcc 1
		.amdhsa_float_round_mode_32 0
		.amdhsa_float_round_mode_16_64 0
		.amdhsa_float_denorm_mode_32 3
		.amdhsa_float_denorm_mode_16_64 3
		.amdhsa_dx10_clamp 1
		.amdhsa_ieee_mode 1
		.amdhsa_fp16_overflow 0
		.amdhsa_workgroup_processor_mode 1
		.amdhsa_memory_ordered 1
		.amdhsa_forward_progress 0
		.amdhsa_shared_vgpr_count 0
		.amdhsa_exception_fp_ieee_invalid_op 0
		.amdhsa_exception_fp_denorm_src 0
		.amdhsa_exception_fp_ieee_div_zero 0
		.amdhsa_exception_fp_ieee_overflow 0
		.amdhsa_exception_fp_ieee_underflow 0
		.amdhsa_exception_fp_ieee_inexact 0
		.amdhsa_exception_int_div_zero 0
	.end_amdhsa_kernel
	.section	.text._ZN9rocsolver6v33100L16larf_left_kernelILi1024EfiPfEEvT1_S3_T2_lS3_lPKT0_lS4_lS3_l,"axG",@progbits,_ZN9rocsolver6v33100L16larf_left_kernelILi1024EfiPfEEvT1_S3_T2_lS3_lPKT0_lS4_lS3_l,comdat
.Lfunc_end45:
	.size	_ZN9rocsolver6v33100L16larf_left_kernelILi1024EfiPfEEvT1_S3_T2_lS3_lPKT0_lS4_lS3_l, .Lfunc_end45-_ZN9rocsolver6v33100L16larf_left_kernelILi1024EfiPfEEvT1_S3_T2_lS3_lPKT0_lS4_lS3_l
                                        ; -- End function
	.section	.AMDGPU.csdata,"",@progbits
; Kernel info:
; codeLenInByte = 1528
; NumSgprs: 32
; NumVgprs: 13
; ScratchSize: 0
; MemoryBound: 0
; FloatMode: 240
; IeeeMode: 1
; LDSByteSize: 0 bytes/workgroup (compile time only)
; SGPRBlocks: 3
; VGPRBlocks: 1
; NumSGPRsForWavesPerEU: 32
; NumVGPRsForWavesPerEU: 13
; Occupancy: 16
; WaveLimiterHint : 0
; COMPUTE_PGM_RSRC2:SCRATCH_EN: 0
; COMPUTE_PGM_RSRC2:USER_SGPR: 13
; COMPUTE_PGM_RSRC2:TRAP_HANDLER: 0
; COMPUTE_PGM_RSRC2:TGID_X_EN: 1
; COMPUTE_PGM_RSRC2:TGID_Y_EN: 1
; COMPUTE_PGM_RSRC2:TGID_Z_EN: 1
; COMPUTE_PGM_RSRC2:TIDIG_COMP_CNT: 0
	.section	.text._ZN9rocsolver6v33100L17larf_right_kernelILi1024EfiPfEEvT1_S3_T2_lS3_lPKT0_lS4_lS3_l,"axG",@progbits,_ZN9rocsolver6v33100L17larf_right_kernelILi1024EfiPfEEvT1_S3_T2_lS3_lPKT0_lS4_lS3_l,comdat
	.globl	_ZN9rocsolver6v33100L17larf_right_kernelILi1024EfiPfEEvT1_S3_T2_lS3_lPKT0_lS4_lS3_l ; -- Begin function _ZN9rocsolver6v33100L17larf_right_kernelILi1024EfiPfEEvT1_S3_T2_lS3_lPKT0_lS4_lS3_l
	.p2align	8
	.type	_ZN9rocsolver6v33100L17larf_right_kernelILi1024EfiPfEEvT1_S3_T2_lS3_lPKT0_lS4_lS3_l,@function
_ZN9rocsolver6v33100L17larf_right_kernelILi1024EfiPfEEvT1_S3_T2_lS3_lPKT0_lS4_lS3_l: ; @_ZN9rocsolver6v33100L17larf_right_kernelILi1024EfiPfEEvT1_S3_T2_lS3_lPKT0_lS4_lS3_l
; %bb.0:
	s_clause 0x4
	s_load_b32 s24, s[0:1], 0x4
	s_load_b64 s[16:17], s[0:1], 0x50
	s_load_b64 s[20:21], s[0:1], 0x40
	s_load_b32 s12, s[0:1], 0x48
	s_load_b256 s[4:11], s[0:1], 0x20
	v_mov_b32_e32 v5, 0
	v_lshlrev_b32_e32 v3, 2, v0
	s_mov_b32 s2, s15
	s_ashr_i32 s27, s15, 31
	s_ashr_i32 s15, s14, 31
	s_waitcnt lgkmcnt(0)
	v_cmp_gt_i32_e32 vcc_lo, s24, v0
	s_mul_i32 s3, s16, s27
	s_mul_hi_u32 s26, s16, s2
	s_mul_i32 s25, s17, s2
	s_mul_i32 s22, s16, s2
	s_and_saveexec_b32 s28, vcc_lo
	s_cbranch_execz .LBB46_6
; %bb.1:
	s_clause 0x1
	s_load_b32 s30, s[0:1], 0x18
	s_load_b128 s[16:19], s[0:1], 0x8
	s_sub_i32 s1, 1, s24
	s_mul_i32 s13, s4, s27
	s_mul_hi_u32 s29, s4, s2
	s_mul_i32 s0, s4, s2
	s_mul_i32 s33, s5, s2
	v_add3_u32 v4, v3, 0, 0x80
	v_mov_b32_e32 v6, v0
	s_delay_alu instid0(VALU_DEP_2)
	v_mov_b32_e32 v5, v4
	s_waitcnt lgkmcnt(0)
	s_ashr_i32 s31, s30, 31
	v_mad_i64_i32 v[1:2], null, s30, v0, 0
	v_cmp_lt_i64_e64 s23, s[30:31], 1
	s_mul_i32 s1, s1, s30
	s_delay_alu instid0(VALU_DEP_1)
	s_and_b32 s4, s23, exec_lo
	s_cselect_b32 s4, s1, 0
	s_add_i32 s1, s29, s13
	s_ashr_i32 s5, s4, 31
	s_add_i32 s1, s1, s33
	s_lshl_b64 s[4:5], s[4:5], 2
	s_lshl_b64 s[18:19], s[18:19], 2
	;; [unrolled: 1-line block ×3, first 2 shown]
	v_lshlrev_b64 v[1:2], 2, v[1:2]
	s_add_u32 s4, s16, s4
	s_addc_u32 s5, s17, s5
	s_add_u32 s4, s4, s18
	s_addc_u32 s5, s5, s19
	;; [unrolled: 2-line block ×3, first 2 shown]
	v_add_co_u32 v1, s0, s0, v1
	s_delay_alu instid0(VALU_DEP_1)
	v_add_co_ci_u32_e64 v2, s0, s1, v2, s0
	s_mov_b32 s13, 0
	s_lshl_b64 s[4:5], s[30:31], 12
	.p2align	6
.LBB46_2:                               ; =>This Inner Loop Header: Depth=1
	global_load_b32 v7, v[1:2], off
	v_add_nc_u32_e32 v6, 0x400, v6
	v_add_co_u32 v1, s0, v1, s4
	s_delay_alu instid0(VALU_DEP_1) | instskip(NEXT) | instid1(VALU_DEP_3)
	v_add_co_ci_u32_e64 v2, s0, s5, v2, s0
	v_cmp_le_i32_e64 s1, s24, v6
	s_delay_alu instid0(VALU_DEP_1)
	s_or_b32 s13, s1, s13
	s_waitcnt vmcnt(0)
	ds_store_b32 v5, v7
	v_add_nc_u32_e32 v5, 0x1000, v5
	s_and_not1_b32 exec_lo, exec_lo, s13
	s_cbranch_execnz .LBB46_2
; %bb.3:
	s_or_b32 exec_lo, exec_lo, s13
	v_mad_i64_i32 v[1:2], null, s12, v0, 0
	s_add_i32 s4, s26, s3
	s_ashr_i32 s13, s12, 31
	s_add_i32 s23, s4, s25
	s_lshl_b64 s[4:5], s[14:15], 2
	s_lshl_b64 s[0:1], s[20:21], 2
	;; [unrolled: 1-line block ×3, first 2 shown]
	s_delay_alu instid0(VALU_DEP_1)
	v_lshlrev_b64 v[1:2], 2, v[1:2]
	s_add_u32 s4, s10, s4
	s_addc_u32 s5, s11, s5
	s_add_u32 s0, s4, s0
	s_addc_u32 s1, s5, s1
	;; [unrolled: 2-line block ×3, first 2 shown]
	v_add_co_u32 v1, s0, s0, v1
	s_delay_alu instid0(VALU_DEP_1)
	v_add_co_ci_u32_e64 v2, s0, s1, v2, s0
	v_dual_mov_b32 v5, 0 :: v_dual_mov_b32 v6, v0
	s_lshl_b64 s[4:5], s[12:13], 12
	s_mov_b32 s13, 0
	.p2align	6
.LBB46_4:                               ; =>This Inner Loop Header: Depth=1
	global_load_b32 v7, v[1:2], off
	ds_load_b32 v8, v4
	v_add_nc_u32_e32 v6, 0x400, v6
	v_add_co_u32 v1, s0, v1, s4
	s_delay_alu instid0(VALU_DEP_1) | instskip(SKIP_3) | instid1(VALU_DEP_2)
	v_add_co_ci_u32_e64 v2, s0, s5, v2, s0
	s_waitcnt vmcnt(0) lgkmcnt(0)
	v_mul_f32_e32 v7, v7, v8
	v_cmp_le_i32_e64 s1, s24, v6
	v_dual_add_f32 v5, v5, v7 :: v_dual_add_nc_u32 v4, 0x1000, v4
	s_delay_alu instid0(VALU_DEP_2) | instskip(NEXT) | instid1(SALU_CYCLE_1)
	s_or_b32 s13, s1, s13
	s_and_not1_b32 exec_lo, exec_lo, s13
	s_cbranch_execnz .LBB46_4
; %bb.5:
	s_or_b32 exec_lo, exec_lo, s13
.LBB46_6:
	s_delay_alu instid0(SALU_CYCLE_1) | instskip(SKIP_2) | instid1(VALU_DEP_1)
	s_or_b32 exec_lo, exec_lo, s28
	v_mbcnt_lo_u32_b32 v1, -1, 0
	s_mov_b32 s1, exec_lo
	v_cmp_ne_u32_e64 s0, 31, v1
	s_delay_alu instid0(VALU_DEP_1) | instskip(SKIP_1) | instid1(VALU_DEP_2)
	v_add_co_ci_u32_e64 v2, s0, 0, v1, s0
	v_cmp_gt_u32_e64 s0, 30, v1
	v_lshlrev_b32_e32 v2, 2, v2
	s_delay_alu instid0(VALU_DEP_2) | instskip(SKIP_3) | instid1(VALU_DEP_1)
	v_cndmask_b32_e64 v4, 0, 1, s0
	v_cmp_gt_u32_e64 s0, 28, v1
	ds_bpermute_b32 v2, v2, v5
	v_lshlrev_b32_e32 v4, 1, v4
	v_add_lshl_u32 v4, v4, v1, 2
	s_waitcnt lgkmcnt(0)
	v_add_f32_e32 v2, v5, v2
	v_cndmask_b32_e64 v5, 0, 1, s0
	v_cmp_gt_u32_e64 s0, 24, v1
	s_delay_alu instid0(VALU_DEP_2)
	v_lshlrev_b32_e32 v5, 2, v5
	ds_bpermute_b32 v4, v4, v2
	v_add_lshl_u32 v5, v5, v1, 2
	s_waitcnt lgkmcnt(0)
	v_add_f32_e32 v2, v2, v4
	ds_bpermute_b32 v4, v5, v2
	v_cndmask_b32_e64 v5, 0, 1, s0
	v_cmp_gt_u32_e64 s0, 16, v1
	s_delay_alu instid0(VALU_DEP_2) | instskip(NEXT) | instid1(VALU_DEP_1)
	v_lshlrev_b32_e32 v5, 3, v5
	v_add_lshl_u32 v5, v5, v1, 2
	s_waitcnt lgkmcnt(0)
	v_add_f32_e32 v2, v2, v4
	ds_bpermute_b32 v4, v5, v2
	v_cndmask_b32_e64 v5, 0, 1, s0
	s_delay_alu instid0(VALU_DEP_1) | instskip(NEXT) | instid1(VALU_DEP_1)
	v_lshlrev_b32_e32 v5, 4, v5
	v_add_lshl_u32 v1, v5, v1, 2
	s_waitcnt lgkmcnt(0)
	v_add_f32_e32 v2, v2, v4
	v_and_b32_e32 v4, 31, v0
	ds_bpermute_b32 v1, v1, v2
	s_waitcnt lgkmcnt(0)
	v_add_f32_e32 v1, v2, v1
	v_cmpx_eq_u32_e32 0, v4
	s_cbranch_execz .LBB46_8
; %bb.7:
	v_lshrrev_b32_e32 v2, 3, v0
	s_delay_alu instid0(VALU_DEP_1)
	v_add_nc_u32_e32 v2, 0, v2
	ds_store_b32 v2, v1
.LBB46_8:
	s_or_b32 exec_lo, exec_lo, s1
	s_delay_alu instid0(SALU_CYCLE_1)
	s_mov_b32 s1, exec_lo
	s_waitcnt lgkmcnt(0)
	s_barrier
	buffer_gl0_inv
	v_cmpx_eq_u32_e32 0, v0
	s_cbranch_execz .LBB46_10
; %bb.9:
	v_mov_b32_e32 v12, 0
	ds_load_2addr_b32 v[4:5], v12 offset0:1 offset1:2
	ds_load_2addr_b32 v[6:7], v12 offset0:3 offset1:4
	;; [unrolled: 1-line block ×4, first 2 shown]
	s_waitcnt lgkmcnt(3)
	v_add_f32_e32 v1, v1, v4
	s_delay_alu instid0(VALU_DEP_1) | instskip(SKIP_1) | instid1(VALU_DEP_1)
	v_add_f32_e32 v1, v1, v5
	s_waitcnt lgkmcnt(2)
	v_add_f32_e32 v1, v1, v6
	s_delay_alu instid0(VALU_DEP_1) | instskip(SKIP_1) | instid1(VALU_DEP_1)
	v_add_f32_e32 v1, v1, v7
	s_waitcnt lgkmcnt(1)
	v_add_f32_e32 v4, v1, v8
	ds_load_2addr_b32 v[1:2], v12 offset0:9 offset1:10
	v_add_f32_e32 v4, v4, v9
	s_waitcnt lgkmcnt(1)
	s_delay_alu instid0(VALU_DEP_1)
	v_add_f32_e32 v6, v4, v10
	ds_load_2addr_b32 v[4:5], v12 offset0:11 offset1:12
	v_add_f32_e32 v10, v6, v11
	ds_load_2addr_b32 v[6:7], v12 offset0:13 offset1:14
	ds_load_2addr_b32 v[8:9], v12 offset0:15 offset1:16
	s_waitcnt lgkmcnt(3)
	v_add_f32_e32 v1, v10, v1
	s_delay_alu instid0(VALU_DEP_1) | instskip(SKIP_1) | instid1(VALU_DEP_1)
	v_add_f32_e32 v1, v1, v2
	s_waitcnt lgkmcnt(2)
	v_add_f32_e32 v1, v1, v4
	s_delay_alu instid0(VALU_DEP_1) | instskip(SKIP_1) | instid1(VALU_DEP_1)
	v_add_f32_e32 v1, v1, v5
	s_waitcnt lgkmcnt(1)
	v_add_f32_e32 v4, v1, v6
	ds_load_2addr_b32 v[1:2], v12 offset0:17 offset1:18
	v_add_f32_e32 v4, v4, v7
	s_waitcnt lgkmcnt(1)
	s_delay_alu instid0(VALU_DEP_1)
	v_add_f32_e32 v6, v4, v8
	ds_load_2addr_b32 v[4:5], v12 offset0:19 offset1:20
	v_add_f32_e32 v10, v6, v9
	ds_load_2addr_b32 v[6:7], v12 offset0:21 offset1:22
	ds_load_2addr_b32 v[8:9], v12 offset0:23 offset1:24
	s_waitcnt lgkmcnt(3)
	v_add_f32_e32 v1, v10, v1
	s_delay_alu instid0(VALU_DEP_1) | instskip(SKIP_1) | instid1(VALU_DEP_1)
	v_add_f32_e32 v1, v1, v2
	s_waitcnt lgkmcnt(2)
	v_add_f32_e32 v1, v1, v4
	s_delay_alu instid0(VALU_DEP_1) | instskip(SKIP_1) | instid1(VALU_DEP_1)
	v_add_f32_e32 v1, v1, v5
	s_waitcnt lgkmcnt(1)
	v_add_f32_e32 v4, v1, v6
	ds_load_2addr_b32 v[1:2], v12 offset0:25 offset1:26
	v_add_f32_e32 v4, v4, v7
	s_waitcnt lgkmcnt(1)
	s_delay_alu instid0(VALU_DEP_1)
	v_add_f32_e32 v6, v4, v8
	ds_load_2addr_b32 v[4:5], v12 offset0:27 offset1:28
	v_add_f32_e32 v8, v6, v9
	ds_load_2addr_b32 v[6:7], v12 offset0:29 offset1:30
	ds_load_b32 v9, v12 offset:124
	s_waitcnt lgkmcnt(3)
	v_add_f32_e32 v1, v8, v1
	s_delay_alu instid0(VALU_DEP_1) | instskip(SKIP_1) | instid1(VALU_DEP_1)
	v_add_f32_e32 v1, v1, v2
	s_waitcnt lgkmcnt(2)
	v_add_f32_e32 v1, v1, v4
	s_delay_alu instid0(VALU_DEP_1) | instskip(SKIP_1) | instid1(VALU_DEP_1)
	v_add_f32_e32 v1, v1, v5
	;; [unrolled: 4-line block ×3, first 2 shown]
	s_waitcnt lgkmcnt(0)
	v_add_f32_e32 v1, v1, v9
	ds_store_b32 v12, v1
.LBB46_10:
	s_or_b32 exec_lo, exec_lo, s1
	s_waitcnt lgkmcnt(0)
	s_barrier
	buffer_gl0_inv
	s_and_saveexec_b32 s0, vcc_lo
	s_cbranch_execz .LBB46_13
; %bb.11:
	s_mul_i32 s0, s2, s9
	s_mul_hi_u32 s1, s2, s8
	s_mul_i32 s4, s27, s8
	s_add_i32 s0, s1, s0
	v_mov_b32_e32 v1, 0
	s_add_i32 s1, s0, s4
	s_mul_i32 s0, s2, s8
	v_add3_u32 v3, v3, 0, 0x80
	s_lshl_b64 s[0:1], s[0:1], 2
	ds_load_b32 v4, v1
	s_add_u32 s0, s6, s0
	s_addc_u32 s1, s7, s1
	v_mad_i64_i32 v[1:2], null, s12, v0, 0
	s_load_b32 s6, s[0:1], 0x0
	s_add_i32 s2, s26, s3
	s_ashr_i32 s13, s12, 31
	s_add_i32 s23, s2, s25
	s_lshl_b64 s[2:3], s[14:15], 2
	s_lshl_b64 s[0:1], s[20:21], 2
	;; [unrolled: 1-line block ×3, first 2 shown]
	v_lshlrev_b64 v[1:2], 2, v[1:2]
	s_add_u32 s2, s10, s2
	s_addc_u32 s3, s11, s3
	s_add_u32 s0, s2, s0
	s_addc_u32 s1, s3, s1
	;; [unrolled: 2-line block ×3, first 2 shown]
	v_add_co_u32 v1, vcc_lo, s0, v1
	v_add_co_ci_u32_e32 v2, vcc_lo, s1, v2, vcc_lo
	s_mov_b32 s1, 0
	s_lshl_b64 s[2:3], s[12:13], 12
	s_waitcnt lgkmcnt(0)
	v_mul_f32_e64 v4, v4, -s6
	.p2align	6
.LBB46_12:                              ; =>This Inner Loop Header: Depth=1
	global_load_b32 v5, v[1:2], off
	ds_load_b32 v6, v3
	v_add_nc_u32_e32 v0, 0x400, v0
	v_add_nc_u32_e32 v3, 0x1000, v3
	s_waitcnt vmcnt(0) lgkmcnt(0)
	v_fmac_f32_e32 v5, v4, v6
	s_delay_alu instid0(VALU_DEP_3) | instskip(SKIP_2) | instid1(VALU_DEP_1)
	v_cmp_le_i32_e32 vcc_lo, s24, v0
	global_store_b32 v[1:2], v5, off
	v_add_co_u32 v1, s0, v1, s2
	v_add_co_ci_u32_e64 v2, s0, s3, v2, s0
	s_or_b32 s1, vcc_lo, s1
	s_delay_alu instid0(SALU_CYCLE_1)
	s_and_not1_b32 exec_lo, exec_lo, s1
	s_cbranch_execnz .LBB46_12
.LBB46_13:
	s_nop 0
	s_sendmsg sendmsg(MSG_DEALLOC_VGPRS)
	s_endpgm
	.section	.rodata,"a",@progbits
	.p2align	6, 0x0
	.amdhsa_kernel _ZN9rocsolver6v33100L17larf_right_kernelILi1024EfiPfEEvT1_S3_T2_lS3_lPKT0_lS4_lS3_l
		.amdhsa_group_segment_fixed_size 0
		.amdhsa_private_segment_fixed_size 0
		.amdhsa_kernarg_size 88
		.amdhsa_user_sgpr_count 13
		.amdhsa_user_sgpr_dispatch_ptr 0
		.amdhsa_user_sgpr_queue_ptr 0
		.amdhsa_user_sgpr_kernarg_segment_ptr 1
		.amdhsa_user_sgpr_dispatch_id 0
		.amdhsa_user_sgpr_private_segment_size 0
		.amdhsa_wavefront_size32 1
		.amdhsa_uses_dynamic_stack 0
		.amdhsa_enable_private_segment 0
		.amdhsa_system_sgpr_workgroup_id_x 1
		.amdhsa_system_sgpr_workgroup_id_y 1
		.amdhsa_system_sgpr_workgroup_id_z 1
		.amdhsa_system_sgpr_workgroup_info 0
		.amdhsa_system_vgpr_workitem_id 0
		.amdhsa_next_free_vgpr 13
		.amdhsa_next_free_sgpr 34
		.amdhsa_reserve_vcc 1
		.amdhsa_float_round_mode_32 0
		.amdhsa_float_round_mode_16_64 0
		.amdhsa_float_denorm_mode_32 3
		.amdhsa_float_denorm_mode_16_64 3
		.amdhsa_dx10_clamp 1
		.amdhsa_ieee_mode 1
		.amdhsa_fp16_overflow 0
		.amdhsa_workgroup_processor_mode 1
		.amdhsa_memory_ordered 1
		.amdhsa_forward_progress 0
		.amdhsa_shared_vgpr_count 0
		.amdhsa_exception_fp_ieee_invalid_op 0
		.amdhsa_exception_fp_denorm_src 0
		.amdhsa_exception_fp_ieee_div_zero 0
		.amdhsa_exception_fp_ieee_overflow 0
		.amdhsa_exception_fp_ieee_underflow 0
		.amdhsa_exception_fp_ieee_inexact 0
		.amdhsa_exception_int_div_zero 0
	.end_amdhsa_kernel
	.section	.text._ZN9rocsolver6v33100L17larf_right_kernelILi1024EfiPfEEvT1_S3_T2_lS3_lPKT0_lS4_lS3_l,"axG",@progbits,_ZN9rocsolver6v33100L17larf_right_kernelILi1024EfiPfEEvT1_S3_T2_lS3_lPKT0_lS4_lS3_l,comdat
.Lfunc_end46:
	.size	_ZN9rocsolver6v33100L17larf_right_kernelILi1024EfiPfEEvT1_S3_T2_lS3_lPKT0_lS4_lS3_l, .Lfunc_end46-_ZN9rocsolver6v33100L17larf_right_kernelILi1024EfiPfEEvT1_S3_T2_lS3_lPKT0_lS4_lS3_l
                                        ; -- End function
	.section	.AMDGPU.csdata,"",@progbits
; Kernel info:
; codeLenInByte = 1552
; NumSgprs: 36
; NumVgprs: 13
; ScratchSize: 0
; MemoryBound: 0
; FloatMode: 240
; IeeeMode: 1
; LDSByteSize: 0 bytes/workgroup (compile time only)
; SGPRBlocks: 4
; VGPRBlocks: 1
; NumSGPRsForWavesPerEU: 36
; NumVGPRsForWavesPerEU: 13
; Occupancy: 16
; WaveLimiterHint : 0
; COMPUTE_PGM_RSRC2:SCRATCH_EN: 0
; COMPUTE_PGM_RSRC2:USER_SGPR: 13
; COMPUTE_PGM_RSRC2:TRAP_HANDLER: 0
; COMPUTE_PGM_RSRC2:TGID_X_EN: 1
; COMPUTE_PGM_RSRC2:TGID_Y_EN: 1
; COMPUTE_PGM_RSRC2:TGID_Z_EN: 1
; COMPUTE_PGM_RSRC2:TIDIG_COMP_CNT: 0
	.section	.text._ZN9rocsolver6v33100L12restore_diagIfifPfEEvPT1_llT2_lT0_lS6_,"axG",@progbits,_ZN9rocsolver6v33100L12restore_diagIfifPfEEvPT1_llT2_lT0_lS6_,comdat
	.globl	_ZN9rocsolver6v33100L12restore_diagIfifPfEEvPT1_llT2_lT0_lS6_ ; -- Begin function _ZN9rocsolver6v33100L12restore_diagIfifPfEEvPT1_llT2_lT0_lS6_
	.p2align	8
	.type	_ZN9rocsolver6v33100L12restore_diagIfifPfEEvPT1_llT2_lT0_lS6_,@function
_ZN9rocsolver6v33100L12restore_diagIfifPfEEvPT1_llT2_lT0_lS6_: ; @_ZN9rocsolver6v33100L12restore_diagIfifPfEEvPT1_llT2_lT0_lS6_
; %bb.0:
	s_clause 0x1
	s_load_b32 s2, s[0:1], 0x4c
	s_load_b32 s3, s[0:1], 0x38
	v_bfe_u32 v2, v0, 10, 10
	s_waitcnt lgkmcnt(0)
	s_lshr_b32 s2, s2, 16
	s_delay_alu instid0(VALU_DEP_1) | instid1(SALU_CYCLE_1)
	v_mad_u64_u32 v[0:1], null, s15, s2, v[2:3]
	s_mov_b32 s2, exec_lo
	s_delay_alu instid0(VALU_DEP_1)
	v_cmpx_gt_i32_e64 s3, v0
	s_cbranch_execz .LBB47_2
; %bb.1:
	s_clause 0x3
	s_load_b64 s[2:3], s[0:1], 0x30
	s_load_b256 s[4:11], s[0:1], 0x0
	s_load_b32 s12, s[0:1], 0x28
	s_load_b64 s[0:1], s[0:1], 0x20
	s_ashr_i32 s13, s14, 31
	s_waitcnt lgkmcnt(0)
	s_mul_i32 s3, s14, s3
	s_mul_hi_u32 s15, s14, s2
	s_mul_i32 s16, s13, s2
	s_add_i32 s3, s15, s3
	s_mul_i32 s2, s14, s2
	s_add_i32 s3, s3, s16
	s_mul_i32 s9, s14, s9
	s_lshl_b64 s[2:3], s[2:3], 2
	s_mul_hi_u32 s15, s14, s8
	s_add_u32 s2, s10, s2
	s_addc_u32 s3, s11, s3
	s_lshl_b64 s[0:1], s[0:1], 2
	s_mul_i32 s13, s13, s8
	s_add_u32 s2, s2, s0
	v_mad_u64_u32 v[2:3], null, v0, s12, v[0:1]
	v_ashrrev_i32_e32 v1, 31, v0
	s_addc_u32 s3, s3, s1
	s_add_i32 s1, s15, s9
	s_mul_i32 s0, s14, s8
	s_add_i32 s1, s1, s13
	v_lshlrev_b64 v[0:1], 2, v[0:1]
	s_lshl_b64 s[0:1], s[0:1], 2
	v_ashrrev_i32_e32 v3, 31, v2
	s_add_u32 s4, s4, s0
	s_addc_u32 s5, s5, s1
	s_lshl_b64 s[0:1], s[6:7], 2
	s_delay_alu instid0(SALU_CYCLE_1)
	s_add_u32 s0, s4, s0
	s_addc_u32 s1, s5, s1
	v_add_co_u32 v0, vcc_lo, s0, v0
	v_add_co_ci_u32_e32 v1, vcc_lo, s1, v1, vcc_lo
	global_load_b32 v4, v[0:1], off
	v_lshlrev_b64 v[0:1], 2, v[2:3]
	s_delay_alu instid0(VALU_DEP_1) | instskip(NEXT) | instid1(VALU_DEP_2)
	v_add_co_u32 v0, vcc_lo, s2, v0
	v_add_co_ci_u32_e32 v1, vcc_lo, s3, v1, vcc_lo
	s_waitcnt vmcnt(0)
	global_store_b32 v[0:1], v4, off
.LBB47_2:
	s_nop 0
	s_sendmsg sendmsg(MSG_DEALLOC_VGPRS)
	s_endpgm
	.section	.rodata,"a",@progbits
	.p2align	6, 0x0
	.amdhsa_kernel _ZN9rocsolver6v33100L12restore_diagIfifPfEEvPT1_llT2_lT0_lS6_
		.amdhsa_group_segment_fixed_size 0
		.amdhsa_private_segment_fixed_size 0
		.amdhsa_kernarg_size 320
		.amdhsa_user_sgpr_count 14
		.amdhsa_user_sgpr_dispatch_ptr 0
		.amdhsa_user_sgpr_queue_ptr 0
		.amdhsa_user_sgpr_kernarg_segment_ptr 1
		.amdhsa_user_sgpr_dispatch_id 0
		.amdhsa_user_sgpr_private_segment_size 0
		.amdhsa_wavefront_size32 1
		.amdhsa_uses_dynamic_stack 0
		.amdhsa_enable_private_segment 0
		.amdhsa_system_sgpr_workgroup_id_x 1
		.amdhsa_system_sgpr_workgroup_id_y 1
		.amdhsa_system_sgpr_workgroup_id_z 0
		.amdhsa_system_sgpr_workgroup_info 0
		.amdhsa_system_vgpr_workitem_id 1
		.amdhsa_next_free_vgpr 5
		.amdhsa_next_free_sgpr 17
		.amdhsa_reserve_vcc 1
		.amdhsa_float_round_mode_32 0
		.amdhsa_float_round_mode_16_64 0
		.amdhsa_float_denorm_mode_32 3
		.amdhsa_float_denorm_mode_16_64 3
		.amdhsa_dx10_clamp 1
		.amdhsa_ieee_mode 1
		.amdhsa_fp16_overflow 0
		.amdhsa_workgroup_processor_mode 1
		.amdhsa_memory_ordered 1
		.amdhsa_forward_progress 0
		.amdhsa_shared_vgpr_count 0
		.amdhsa_exception_fp_ieee_invalid_op 0
		.amdhsa_exception_fp_denorm_src 0
		.amdhsa_exception_fp_ieee_div_zero 0
		.amdhsa_exception_fp_ieee_overflow 0
		.amdhsa_exception_fp_ieee_underflow 0
		.amdhsa_exception_fp_ieee_inexact 0
		.amdhsa_exception_int_div_zero 0
	.end_amdhsa_kernel
	.section	.text._ZN9rocsolver6v33100L12restore_diagIfifPfEEvPT1_llT2_lT0_lS6_,"axG",@progbits,_ZN9rocsolver6v33100L12restore_diagIfifPfEEvPT1_llT2_lT0_lS6_,comdat
.Lfunc_end47:
	.size	_ZN9rocsolver6v33100L12restore_diagIfifPfEEvPT1_llT2_lT0_lS6_, .Lfunc_end47-_ZN9rocsolver6v33100L12restore_diagIfifPfEEvPT1_llT2_lT0_lS6_
                                        ; -- End function
	.section	.AMDGPU.csdata,"",@progbits
; Kernel info:
; codeLenInByte = 304
; NumSgprs: 19
; NumVgprs: 5
; ScratchSize: 0
; MemoryBound: 0
; FloatMode: 240
; IeeeMode: 1
; LDSByteSize: 0 bytes/workgroup (compile time only)
; SGPRBlocks: 2
; VGPRBlocks: 0
; NumSGPRsForWavesPerEU: 19
; NumVGPRsForWavesPerEU: 5
; Occupancy: 16
; WaveLimiterHint : 0
; COMPUTE_PGM_RSRC2:SCRATCH_EN: 0
; COMPUTE_PGM_RSRC2:USER_SGPR: 14
; COMPUTE_PGM_RSRC2:TRAP_HANDLER: 0
; COMPUTE_PGM_RSRC2:TGID_X_EN: 1
; COMPUTE_PGM_RSRC2:TGID_Y_EN: 1
; COMPUTE_PGM_RSRC2:TGID_Z_EN: 0
; COMPUTE_PGM_RSRC2:TIDIG_COMP_CNT: 1
	.section	.text._ZN9rocsolver6v33100L14set_triangularIfPfTnNSt9enable_ifIXnt18rocblas_is_complexIT_EEiE4typeELi0EEEviiT0_iilPS4_lS8_il15rocblas_direct_15rocblas_storev_b,"axG",@progbits,_ZN9rocsolver6v33100L14set_triangularIfPfTnNSt9enable_ifIXnt18rocblas_is_complexIT_EEiE4typeELi0EEEviiT0_iilPS4_lS8_il15rocblas_direct_15rocblas_storev_b,comdat
	.globl	_ZN9rocsolver6v33100L14set_triangularIfPfTnNSt9enable_ifIXnt18rocblas_is_complexIT_EEiE4typeELi0EEEviiT0_iilPS4_lS8_il15rocblas_direct_15rocblas_storev_b ; -- Begin function _ZN9rocsolver6v33100L14set_triangularIfPfTnNSt9enable_ifIXnt18rocblas_is_complexIT_EEiE4typeELi0EEEviiT0_iilPS4_lS8_il15rocblas_direct_15rocblas_storev_b
	.p2align	8
	.type	_ZN9rocsolver6v33100L14set_triangularIfPfTnNSt9enable_ifIXnt18rocblas_is_complexIT_EEiE4typeELi0EEEviiT0_iilPS4_lS8_il15rocblas_direct_15rocblas_storev_b,@function
_ZN9rocsolver6v33100L14set_triangularIfPfTnNSt9enable_ifIXnt18rocblas_is_complexIT_EEiE4typeELi0EEEviiT0_iilPS4_lS8_il15rocblas_direct_15rocblas_storev_b: ; @_ZN9rocsolver6v33100L14set_triangularIfPfTnNSt9enable_ifIXnt18rocblas_is_complexIT_EEiE4typeELi0EEEviiT0_iilPS4_lS8_il15rocblas_direct_15rocblas_storev_b
; %bb.0:
	s_clause 0x1
	s_load_b32 s2, s[0:1], 0x64
	s_load_b64 s[16:17], s[0:1], 0x0
	v_and_b32_e32 v2, 0x3ff, v0
	v_bfe_u32 v4, v0, 10, 10
	s_waitcnt lgkmcnt(0)
	s_lshr_b32 s3, s2, 16
	s_and_b32 s2, s2, 0xffff
	s_delay_alu instid0(SALU_CYCLE_1) | instskip(SKIP_2) | instid1(VALU_DEP_1)
	v_mad_u64_u32 v[0:1], null, s13, s2, v[2:3]
	v_mad_u64_u32 v[2:3], null, s14, s3, v[4:5]
	s_mov_b32 s2, exec_lo
	v_max_u32_e32 v1, v0, v2
	s_delay_alu instid0(VALU_DEP_1)
	v_cmpx_gt_u32_e64 s17, v1
	s_cbranch_execz .LBB48_36
; %bb.1:
	s_clause 0x2
	s_load_b256 s[4:11], s[0:1], 0x18
	s_load_b64 s[2:3], s[0:1], 0x40
	s_load_b32 s12, s[0:1], 0x38
	s_waitcnt lgkmcnt(0)
	s_mul_i32 s9, s15, s9
	s_mul_hi_u32 s13, s15, s8
	s_mul_i32 s8, s15, s8
	s_add_i32 s9, s13, s9
	s_mul_i32 s3, s15, s3
	s_lshl_b64 s[8:9], s[8:9], 2
	s_mul_hi_u32 s18, s15, s2
	s_add_u32 s13, s6, s8
	s_mul_i32 s2, s15, s2
	s_addc_u32 s14, s7, s9
	s_add_i32 s3, s18, s3
	s_delay_alu instid0(SALU_CYCLE_1) | instskip(NEXT) | instid1(SALU_CYCLE_1)
	s_lshl_b64 s[2:3], s[2:3], 2
	s_add_u32 s6, s10, s2
	s_addc_u32 s7, s11, s3
	s_mov_b32 s2, exec_lo
	v_cmpx_ne_u32_e64 v2, v0
	s_xor_b32 s18, exec_lo, s2
	s_cbranch_execz .LBB48_34
; %bb.2:
	s_clause 0x1
	s_load_b128 s[8:11], s[0:1], 0x8
	s_load_b128 s[0:3], s[0:1], 0x48
	s_waitcnt lgkmcnt(0)
	s_mul_i32 s3, s15, s5
	s_mul_hi_u32 s5, s15, s4
	s_mul_i32 s4, s15, s4
	s_add_i32 s5, s5, s3
	v_mov_b32_e32 v1, 0
	s_lshl_b64 s[4:5], s[4:5], 2
	s_ashr_i32 s21, s10, 31
	s_mov_b32 s20, s10
	s_add_u32 s3, s8, s4
	s_addc_u32 s8, s9, s5
	s_lshl_b64 s[4:5], s[20:21], 2
	s_delay_alu instid0(SALU_CYCLE_1) | instskip(SKIP_3) | instid1(SALU_CYCLE_1)
	s_add_u32 s3, s3, s4
	s_addc_u32 s4, s8, s5
	s_bitcmp1_b32 s2, 0
	s_cselect_b32 s2, -1, 0
	s_xor_b32 s2, s2, -1
	s_cmpk_lg_i32 s0, 0xab
	s_mov_b32 s0, -1
	s_cbranch_scc0 .LBB48_18
; %bb.3:
	s_mov_b32 s0, exec_lo
	v_cmpx_le_u32_e64 v2, v0
	s_xor_b32 s0, exec_lo, s0
	s_cbranch_execz .LBB48_5
; %bb.4:
	v_mad_u64_u32 v[4:5], null, v0, s12, 0
	s_ashr_i32 s5, s12, 31
	s_delay_alu instid0(VALU_DEP_1) | instskip(NEXT) | instid1(VALU_DEP_1)
	v_mov_b32_e32 v3, v5
	v_mad_u64_u32 v[5:6], null, v0, s5, v[3:4]
	v_mov_b32_e32 v3, 0
	s_delay_alu instid0(VALU_DEP_1) | instskip(NEXT) | instid1(VALU_DEP_3)
	v_lshlrev_b64 v[6:7], 2, v[2:3]
	v_lshlrev_b64 v[4:5], 2, v[4:5]
	s_delay_alu instid0(VALU_DEP_1) | instskip(NEXT) | instid1(VALU_DEP_2)
	v_add_co_u32 v4, vcc_lo, s6, v4
	v_add_co_ci_u32_e32 v5, vcc_lo, s7, v5, vcc_lo
	s_delay_alu instid0(VALU_DEP_2) | instskip(NEXT) | instid1(VALU_DEP_2)
	v_add_co_u32 v4, vcc_lo, v4, v6
	v_add_co_ci_u32_e32 v5, vcc_lo, v5, v7, vcc_lo
	global_store_b32 v[4:5], v3, off
.LBB48_5:
	s_and_not1_saveexec_b32 s0, s0
	s_cbranch_execz .LBB48_17
; %bb.6:
	v_lshlrev_b64 v[3:4], 2, v[0:1]
	s_cmpk_lg_i32 s1, 0xb5
	s_mov_b32 s5, -1
	s_delay_alu instid0(VALU_DEP_1) | instskip(NEXT) | instid1(VALU_DEP_2)
	v_add_co_u32 v3, vcc_lo, s13, v3
	v_add_co_ci_u32_e32 v4, vcc_lo, s14, v4, vcc_lo
	global_load_b32 v5, v[3:4], off
	s_cbranch_scc0 .LBB48_12
; %bb.7:
	v_mov_b32_e32 v3, 0
	s_and_not1_b32 vcc_lo, exec_lo, s2
	s_delay_alu instid0(VALU_DEP_1)
	v_lshlrev_b64 v[3:4], 2, v[2:3]
	s_cbranch_vccnz .LBB48_9
; %bb.8:
	s_sub_i32 s5, s16, s17
	s_delay_alu instid0(SALU_CYCLE_1) | instskip(SKIP_1) | instid1(VALU_DEP_1)
	v_add_nc_u32_e32 v10, s5, v0
	s_ashr_i32 s5, s11, 31
	v_mad_u64_u32 v[6:7], null, v10, s11, 0
	s_delay_alu instid0(VALU_DEP_1) | instskip(SKIP_1) | instid1(VALU_DEP_1)
	v_mad_u64_u32 v[8:9], null, v10, s5, v[7:8]
	s_ashr_i32 s5, s12, 31
	v_mov_b32_e32 v7, v8
	s_delay_alu instid0(VALU_DEP_1) | instskip(NEXT) | instid1(VALU_DEP_1)
	v_lshlrev_b64 v[6:7], 2, v[6:7]
	v_add_co_u32 v6, vcc_lo, s3, v6
	s_delay_alu instid0(VALU_DEP_2) | instskip(NEXT) | instid1(VALU_DEP_2)
	v_add_co_ci_u32_e32 v7, vcc_lo, s4, v7, vcc_lo
	v_add_co_u32 v6, vcc_lo, v6, v3
	s_delay_alu instid0(VALU_DEP_2) | instskip(SKIP_2) | instid1(VALU_DEP_1)
	v_add_co_ci_u32_e32 v7, vcc_lo, v7, v4, vcc_lo
	global_load_b32 v10, v[6:7], off
	v_mad_u64_u32 v[6:7], null, v0, s12, 0
	v_mad_u64_u32 v[8:9], null, v0, s5, v[7:8]
	s_mov_b32 s5, 0
	s_delay_alu instid0(VALU_DEP_1) | instskip(NEXT) | instid1(VALU_DEP_1)
	v_mov_b32_e32 v7, v8
	v_lshlrev_b64 v[6:7], 2, v[6:7]
	s_delay_alu instid0(VALU_DEP_1) | instskip(NEXT) | instid1(VALU_DEP_2)
	v_add_co_u32 v6, vcc_lo, s6, v6
	v_add_co_ci_u32_e32 v7, vcc_lo, s7, v7, vcc_lo
	s_delay_alu instid0(VALU_DEP_2) | instskip(NEXT) | instid1(VALU_DEP_2)
	v_add_co_u32 v6, vcc_lo, v6, v3
	v_add_co_ci_u32_e32 v7, vcc_lo, v7, v4, vcc_lo
	s_waitcnt vmcnt(0)
	v_mul_f32_e64 v8, v10, -v5
	global_store_b32 v[6:7], v8, off
.LBB48_9:
	s_and_not1_b32 vcc_lo, exec_lo, s5
	s_cbranch_vccnz .LBB48_11
; %bb.10:
	s_sub_i32 s5, s16, s17
	v_mad_u64_u32 v[6:7], null, v0, s12, 0
	v_add_nc_u32_e32 v13, s5, v0
	s_ashr_i32 s5, s12, 31
	s_delay_alu instid0(VALU_DEP_1) | instskip(NEXT) | instid1(VALU_DEP_1)
	v_mad_u64_u32 v[8:9], null, v13, s11, 0
	v_mad_u64_u32 v[10:11], null, v0, s5, v[7:8]
	s_ashr_i32 s5, s11, 31
	s_delay_alu instid0(VALU_DEP_1) | instid1(SALU_CYCLE_1)
	v_mad_u64_u32 v[11:12], null, v13, s5, v[9:10]
	v_mov_b32_e32 v7, v10
	s_delay_alu instid0(VALU_DEP_1) | instskip(NEXT) | instid1(VALU_DEP_3)
	v_lshlrev_b64 v[6:7], 2, v[6:7]
	v_mov_b32_e32 v9, v11
	s_delay_alu instid0(VALU_DEP_2) | instskip(NEXT) | instid1(VALU_DEP_2)
	v_add_co_u32 v6, vcc_lo, s6, v6
	v_lshlrev_b64 v[8:9], 2, v[8:9]
	s_delay_alu instid0(VALU_DEP_4) | instskip(NEXT) | instid1(VALU_DEP_2)
	v_add_co_ci_u32_e32 v7, vcc_lo, s7, v7, vcc_lo
	v_add_co_u32 v8, vcc_lo, s3, v8
	s_delay_alu instid0(VALU_DEP_3) | instskip(SKIP_1) | instid1(VALU_DEP_4)
	v_add_co_ci_u32_e32 v9, vcc_lo, s4, v9, vcc_lo
	v_add_co_u32 v6, vcc_lo, v6, v3
	v_add_co_ci_u32_e32 v7, vcc_lo, v7, v4, vcc_lo
	s_delay_alu instid0(VALU_DEP_4) | instskip(NEXT) | instid1(VALU_DEP_4)
	v_add_co_u32 v3, vcc_lo, v8, v3
	v_add_co_ci_u32_e32 v4, vcc_lo, v9, v4, vcc_lo
	global_load_b32 v8, v[6:7], off
	global_load_b32 v3, v[3:4], off
	s_waitcnt vmcnt(0)
	v_add_f32_e32 v3, v8, v3
	s_delay_alu instid0(VALU_DEP_1)
	v_mul_f32_e64 v3, v3, -v5
	global_store_b32 v[6:7], v3, off
.LBB48_11:
	s_mov_b32 s5, 0
.LBB48_12:
	s_delay_alu instid0(SALU_CYCLE_1)
	s_and_not1_b32 vcc_lo, exec_lo, s5
	s_cbranch_vccnz .LBB48_17
; %bb.13:
	s_and_not1_b32 vcc_lo, exec_lo, s2
	s_mov_b32 s5, -1
	s_cbranch_vccnz .LBB48_15
; %bb.14:
	v_mad_u64_u32 v[3:4], null, v2, s11, 0
	s_ashr_i32 s5, s11, 31
	s_waitcnt vmcnt(0)
	s_delay_alu instid0(VALU_DEP_1) | instskip(SKIP_1) | instid1(VALU_DEP_1)
	v_mad_u64_u32 v[6:7], null, v2, s5, v[4:5]
	s_sub_i32 s5, s16, s17
	v_dual_mov_b32 v7, 0 :: v_dual_mov_b32 v4, v6
	v_add_nc_u32_e32 v6, s5, v0
	s_ashr_i32 s5, s12, 31
	s_delay_alu instid0(VALU_DEP_2) | instskip(NEXT) | instid1(VALU_DEP_2)
	v_lshlrev_b64 v[3:4], 2, v[3:4]
	v_lshlrev_b64 v[8:9], 2, v[6:7]
	s_delay_alu instid0(VALU_DEP_2) | instskip(NEXT) | instid1(VALU_DEP_3)
	v_add_co_u32 v3, vcc_lo, s3, v3
	v_add_co_ci_u32_e32 v4, vcc_lo, s4, v4, vcc_lo
	s_delay_alu instid0(VALU_DEP_2) | instskip(NEXT) | instid1(VALU_DEP_2)
	v_add_co_u32 v3, vcc_lo, v3, v8
	v_add_co_ci_u32_e32 v4, vcc_lo, v4, v9, vcc_lo
	v_mad_u64_u32 v[8:9], null, v0, s12, 0
	global_load_b32 v11, v[3:4], off
	v_mov_b32_e32 v3, v9
	s_delay_alu instid0(VALU_DEP_1) | instskip(SKIP_2) | instid1(VALU_DEP_1)
	v_mad_u64_u32 v[9:10], null, v0, s5, v[3:4]
	v_mov_b32_e32 v3, v7
	s_mov_b32 s5, 0
	v_lshlrev_b64 v[3:4], 2, v[2:3]
	s_delay_alu instid0(VALU_DEP_3) | instskip(NEXT) | instid1(VALU_DEP_1)
	v_lshlrev_b64 v[6:7], 2, v[8:9]
	v_add_co_u32 v6, vcc_lo, s6, v6
	s_delay_alu instid0(VALU_DEP_2) | instskip(NEXT) | instid1(VALU_DEP_2)
	v_add_co_ci_u32_e32 v7, vcc_lo, s7, v7, vcc_lo
	v_add_co_u32 v3, vcc_lo, v6, v3
	s_delay_alu instid0(VALU_DEP_2)
	v_add_co_ci_u32_e32 v4, vcc_lo, v7, v4, vcc_lo
	s_waitcnt vmcnt(0)
	v_mul_f32_e64 v8, v11, -v5
	global_store_b32 v[3:4], v8, off
.LBB48_15:
	s_and_not1_b32 vcc_lo, exec_lo, s5
	s_cbranch_vccnz .LBB48_17
; %bb.16:
	v_mad_u64_u32 v[6:7], null, v0, s12, 0
	v_mad_u64_u32 v[8:9], null, v2, s11, 0
	s_ashr_i32 s5, s12, 31
	s_delay_alu instid0(VALU_DEP_1) | instskip(NEXT) | instid1(VALU_DEP_1)
	v_dual_mov_b32 v3, v7 :: v_dual_mov_b32 v4, v9
	v_mad_u64_u32 v[9:10], null, v0, s5, v[3:4]
	s_ashr_i32 s5, s11, 31
	v_mov_b32_e32 v3, 0
	s_waitcnt vmcnt(0)
	v_mad_u64_u32 v[10:11], null, v2, s5, v[4:5]
	s_sub_i32 s5, s16, s17
	s_delay_alu instid0(VALU_DEP_2) | instskip(SKIP_2) | instid1(VALU_DEP_4)
	v_dual_mov_b32 v7, v9 :: v_dual_mov_b32 v12, v3
	v_add_nc_u32_e32 v11, s5, v0
	v_lshlrev_b64 v[3:4], 2, v[2:3]
	v_mov_b32_e32 v9, v10
	s_delay_alu instid0(VALU_DEP_4) | instskip(NEXT) | instid1(VALU_DEP_4)
	v_lshlrev_b64 v[6:7], 2, v[6:7]
	v_lshlrev_b64 v[10:11], 2, v[11:12]
	s_delay_alu instid0(VALU_DEP_3) | instskip(NEXT) | instid1(VALU_DEP_3)
	v_lshlrev_b64 v[8:9], 2, v[8:9]
	v_add_co_u32 v6, vcc_lo, s6, v6
	s_delay_alu instid0(VALU_DEP_4) | instskip(NEXT) | instid1(VALU_DEP_3)
	v_add_co_ci_u32_e32 v7, vcc_lo, s7, v7, vcc_lo
	v_add_co_u32 v8, vcc_lo, s3, v8
	s_delay_alu instid0(VALU_DEP_4) | instskip(NEXT) | instid1(VALU_DEP_4)
	v_add_co_ci_u32_e32 v9, vcc_lo, s4, v9, vcc_lo
	v_add_co_u32 v3, vcc_lo, v6, v3
	s_delay_alu instid0(VALU_DEP_4) | instskip(NEXT) | instid1(VALU_DEP_4)
	v_add_co_ci_u32_e32 v4, vcc_lo, v7, v4, vcc_lo
	v_add_co_u32 v6, vcc_lo, v8, v10
	s_delay_alu instid0(VALU_DEP_4) | instskip(SKIP_4) | instid1(VALU_DEP_1)
	v_add_co_ci_u32_e32 v7, vcc_lo, v9, v11, vcc_lo
	global_load_b32 v8, v[3:4], off
	global_load_b32 v6, v[6:7], off
	s_waitcnt vmcnt(0)
	v_add_f32_e32 v6, v8, v6
	v_mul_f32_e64 v5, v6, -v5
	global_store_b32 v[3:4], v5, off
.LBB48_17:
	s_or_b32 exec_lo, exec_lo, s0
	s_mov_b32 s0, 0
.LBB48_18:
	s_delay_alu instid0(SALU_CYCLE_1)
	s_and_not1_b32 vcc_lo, exec_lo, s0
	s_cbranch_vccnz .LBB48_34
; %bb.19:
	s_mov_b32 s0, exec_lo
	v_cmpx_ge_u32_e64 v2, v0
	s_xor_b32 s0, exec_lo, s0
	s_cbranch_execz .LBB48_21
; %bb.20:
	s_waitcnt vmcnt(0)
	v_mad_u64_u32 v[4:5], null, v0, s12, 0
	s_ashr_i32 s5, s12, 31
	v_mov_b32_e32 v3, 0
	s_delay_alu instid0(VALU_DEP_2) | instskip(NEXT) | instid1(VALU_DEP_1)
	v_mov_b32_e32 v1, v5
	v_mad_u64_u32 v[5:6], null, v0, s5, v[1:2]
	s_delay_alu instid0(VALU_DEP_1) | instskip(NEXT) | instid1(VALU_DEP_4)
	v_lshlrev_b64 v[0:1], 2, v[4:5]
	v_lshlrev_b64 v[4:5], 2, v[2:3]
	s_delay_alu instid0(VALU_DEP_2) | instskip(NEXT) | instid1(VALU_DEP_3)
	v_add_co_u32 v0, vcc_lo, s6, v0
	v_add_co_ci_u32_e32 v1, vcc_lo, s7, v1, vcc_lo
	s_delay_alu instid0(VALU_DEP_2) | instskip(NEXT) | instid1(VALU_DEP_2)
	v_add_co_u32 v0, vcc_lo, v0, v4
	v_add_co_ci_u32_e32 v1, vcc_lo, v1, v5, vcc_lo
	global_store_b32 v[0:1], v3, off
                                        ; implicit-def: $vgpr0_vgpr1
                                        ; implicit-def: $vgpr2_vgpr3
.LBB48_21:
	s_and_not1_saveexec_b32 s0, s0
	s_cbranch_execz .LBB48_33
; %bb.22:
	s_waitcnt vmcnt(0)
	v_lshlrev_b64 v[4:5], 2, v[0:1]
	v_mov_b32_e32 v3, 0
	s_cmpk_lg_i32 s1, 0xb5
	s_mov_b32 s1, -1
	s_delay_alu instid0(VALU_DEP_2) | instskip(NEXT) | instid1(VALU_DEP_3)
	v_add_co_u32 v6, vcc_lo, s13, v4
	v_add_co_ci_u32_e32 v7, vcc_lo, s14, v5, vcc_lo
	global_load_b32 v1, v[6:7], off
	v_cndmask_b32_e64 v6, 0, 1, s2
	s_delay_alu instid0(VALU_DEP_1)
	v_cmp_ne_u32_e32 vcc_lo, 1, v6
	s_cbranch_scc0 .LBB48_28
; %bb.23:
	s_and_b32 vcc_lo, exec_lo, vcc_lo
	s_cbranch_vccnz .LBB48_25
; %bb.24:
	v_mad_u64_u32 v[6:7], null, v0, s11, 0
	s_ashr_i32 s1, s11, 31
	s_delay_alu instid0(VALU_DEP_1) | instid1(SALU_CYCLE_1)
	v_mad_u64_u32 v[8:9], null, v0, s1, v[7:8]
	s_ashr_i32 s1, s12, 31
	s_delay_alu instid0(VALU_DEP_1) | instskip(SKIP_1) | instid1(VALU_DEP_2)
	v_mov_b32_e32 v7, v8
	v_lshlrev_b64 v[8:9], 2, v[2:3]
	v_lshlrev_b64 v[6:7], 2, v[6:7]
	s_delay_alu instid0(VALU_DEP_1) | instskip(NEXT) | instid1(VALU_DEP_2)
	v_add_co_u32 v6, vcc_lo, s3, v6
	v_add_co_ci_u32_e32 v7, vcc_lo, s4, v7, vcc_lo
	s_delay_alu instid0(VALU_DEP_2) | instskip(NEXT) | instid1(VALU_DEP_2)
	v_add_co_u32 v6, vcc_lo, v6, v8
	v_add_co_ci_u32_e32 v7, vcc_lo, v7, v9, vcc_lo
	global_load_b32 v12, v[6:7], off
	v_mad_u64_u32 v[6:7], null, v0, s12, 0
	s_delay_alu instid0(VALU_DEP_1) | instskip(SKIP_1) | instid1(VALU_DEP_1)
	v_mad_u64_u32 v[10:11], null, v0, s1, v[7:8]
	s_mov_b32 s1, 0
	v_mov_b32_e32 v7, v10
	s_delay_alu instid0(VALU_DEP_1) | instskip(NEXT) | instid1(VALU_DEP_1)
	v_lshlrev_b64 v[6:7], 2, v[6:7]
	v_add_co_u32 v6, vcc_lo, s6, v6
	s_delay_alu instid0(VALU_DEP_2) | instskip(NEXT) | instid1(VALU_DEP_2)
	v_add_co_ci_u32_e32 v7, vcc_lo, s7, v7, vcc_lo
	v_add_co_u32 v6, vcc_lo, v6, v8
	s_delay_alu instid0(VALU_DEP_2)
	v_add_co_ci_u32_e32 v7, vcc_lo, v7, v9, vcc_lo
	s_waitcnt vmcnt(0)
	v_mul_f32_e64 v10, v12, -v1
	global_store_b32 v[6:7], v10, off
.LBB48_25:
	s_and_not1_b32 vcc_lo, exec_lo, s1
	s_cbranch_vccnz .LBB48_27
; %bb.26:
	v_mad_u64_u32 v[6:7], null, v0, s12, 0
	v_mad_u64_u32 v[8:9], null, v0, s11, 0
	s_ashr_i32 s1, s12, 31
	s_delay_alu instid0(VALU_DEP_1) | instid1(SALU_CYCLE_1)
	v_mad_u64_u32 v[10:11], null, v0, s1, v[7:8]
	s_ashr_i32 s1, s11, 31
	s_delay_alu instid0(VALU_DEP_1) | instid1(SALU_CYCLE_1)
	v_mad_u64_u32 v[11:12], null, v0, s1, v[9:10]
	v_mov_b32_e32 v7, v10
	s_delay_alu instid0(VALU_DEP_1) | instskip(NEXT) | instid1(VALU_DEP_3)
	v_lshlrev_b64 v[6:7], 2, v[6:7]
	v_mov_b32_e32 v9, v11
	v_lshlrev_b64 v[10:11], 2, v[2:3]
	s_delay_alu instid0(VALU_DEP_3) | instskip(NEXT) | instid1(VALU_DEP_3)
	v_add_co_u32 v6, vcc_lo, s6, v6
	v_lshlrev_b64 v[8:9], 2, v[8:9]
	v_add_co_ci_u32_e32 v7, vcc_lo, s7, v7, vcc_lo
	s_delay_alu instid0(VALU_DEP_2) | instskip(NEXT) | instid1(VALU_DEP_3)
	v_add_co_u32 v8, vcc_lo, s3, v8
	v_add_co_ci_u32_e32 v9, vcc_lo, s4, v9, vcc_lo
	v_add_co_u32 v6, vcc_lo, v6, v10
	s_delay_alu instid0(VALU_DEP_4) | instskip(NEXT) | instid1(VALU_DEP_4)
	v_add_co_ci_u32_e32 v7, vcc_lo, v7, v11, vcc_lo
	v_add_co_u32 v8, vcc_lo, v8, v10
	s_delay_alu instid0(VALU_DEP_4) | instskip(SKIP_4) | instid1(VALU_DEP_1)
	v_add_co_ci_u32_e32 v9, vcc_lo, v9, v11, vcc_lo
	global_load_b32 v10, v[6:7], off
	global_load_b32 v8, v[8:9], off
	s_waitcnt vmcnt(0)
	v_add_f32_e32 v8, v10, v8
	v_mul_f32_e64 v8, v8, -v1
	global_store_b32 v[6:7], v8, off
.LBB48_27:
	s_mov_b32 s1, 0
.LBB48_28:
	s_delay_alu instid0(SALU_CYCLE_1)
	s_and_not1_b32 vcc_lo, exec_lo, s1
	s_cbranch_vccnz .LBB48_33
; %bb.29:
	v_lshlrev_b64 v[6:7], 2, v[2:3]
	s_and_not1_b32 vcc_lo, exec_lo, s2
	s_mov_b32 s1, -1
	s_cbranch_vccnz .LBB48_31
; %bb.30:
	v_mad_u64_u32 v[8:9], null, v2, s11, 0
	s_ashr_i32 s1, s11, 31
	s_delay_alu instid0(VALU_DEP_1) | instskip(NEXT) | instid1(VALU_DEP_1)
	v_mov_b32_e32 v3, v9
	v_mad_u64_u32 v[9:10], null, v2, s1, v[3:4]
	s_ashr_i32 s1, s12, 31
	s_delay_alu instid0(VALU_DEP_1) | instskip(NEXT) | instid1(VALU_DEP_1)
	v_lshlrev_b64 v[8:9], 2, v[8:9]
	v_add_co_u32 v3, vcc_lo, s3, v8
	s_delay_alu instid0(VALU_DEP_2) | instskip(NEXT) | instid1(VALU_DEP_2)
	v_add_co_ci_u32_e32 v9, vcc_lo, s4, v9, vcc_lo
	v_add_co_u32 v8, vcc_lo, v3, v4
	s_delay_alu instid0(VALU_DEP_2) | instskip(SKIP_2) | instid1(VALU_DEP_1)
	v_add_co_ci_u32_e32 v9, vcc_lo, v9, v5, vcc_lo
	global_load_b32 v11, v[8:9], off
	v_mad_u64_u32 v[8:9], null, v0, s12, 0
	v_mov_b32_e32 v3, v9
	s_delay_alu instid0(VALU_DEP_1) | instskip(SKIP_1) | instid1(VALU_DEP_1)
	v_mad_u64_u32 v[9:10], null, v0, s1, v[3:4]
	s_mov_b32 s1, 0
	v_lshlrev_b64 v[8:9], 2, v[8:9]
	s_delay_alu instid0(VALU_DEP_1) | instskip(NEXT) | instid1(VALU_DEP_2)
	v_add_co_u32 v3, vcc_lo, s6, v8
	v_add_co_ci_u32_e32 v9, vcc_lo, s7, v9, vcc_lo
	s_delay_alu instid0(VALU_DEP_2) | instskip(NEXT) | instid1(VALU_DEP_2)
	v_add_co_u32 v8, vcc_lo, v3, v6
	v_add_co_ci_u32_e32 v9, vcc_lo, v9, v7, vcc_lo
	s_waitcnt vmcnt(0)
	v_mul_f32_e64 v10, v11, -v1
	global_store_b32 v[8:9], v10, off
.LBB48_31:
	s_and_not1_b32 vcc_lo, exec_lo, s1
	s_cbranch_vccnz .LBB48_33
; %bb.32:
	v_mad_u64_u32 v[8:9], null, v0, s12, 0
	v_mad_u64_u32 v[10:11], null, v2, s11, 0
	s_ashr_i32 s1, s12, 31
	s_delay_alu instid0(VALU_DEP_2) | instskip(NEXT) | instid1(VALU_DEP_2)
	v_mov_b32_e32 v3, v9
	v_mov_b32_e32 v9, v11
	s_delay_alu instid0(VALU_DEP_2)
	v_mad_u64_u32 v[11:12], null, v0, s1, v[3:4]
	s_ashr_i32 s1, s11, 31
	s_delay_alu instid0(VALU_DEP_2) | instid1(SALU_CYCLE_1)
	v_mad_u64_u32 v[12:13], null, v2, s1, v[9:10]
	s_delay_alu instid0(VALU_DEP_2) | instskip(NEXT) | instid1(VALU_DEP_2)
	v_mov_b32_e32 v9, v11
	v_mov_b32_e32 v11, v12
	s_delay_alu instid0(VALU_DEP_2) | instskip(NEXT) | instid1(VALU_DEP_2)
	v_lshlrev_b64 v[2:3], 2, v[8:9]
	v_lshlrev_b64 v[8:9], 2, v[10:11]
	s_delay_alu instid0(VALU_DEP_2) | instskip(NEXT) | instid1(VALU_DEP_3)
	v_add_co_u32 v0, vcc_lo, s6, v2
	v_add_co_ci_u32_e32 v3, vcc_lo, s7, v3, vcc_lo
	s_delay_alu instid0(VALU_DEP_3) | instskip(NEXT) | instid1(VALU_DEP_4)
	v_add_co_u32 v8, vcc_lo, s3, v8
	v_add_co_ci_u32_e32 v9, vcc_lo, s4, v9, vcc_lo
	s_delay_alu instid0(VALU_DEP_4) | instskip(NEXT) | instid1(VALU_DEP_4)
	v_add_co_u32 v2, vcc_lo, v0, v6
	v_add_co_ci_u32_e32 v3, vcc_lo, v3, v7, vcc_lo
	s_delay_alu instid0(VALU_DEP_4) | instskip(NEXT) | instid1(VALU_DEP_4)
	v_add_co_u32 v4, vcc_lo, v8, v4
	v_add_co_ci_u32_e32 v5, vcc_lo, v9, v5, vcc_lo
	global_load_b32 v0, v[2:3], off
	global_load_b32 v4, v[4:5], off
	s_waitcnt vmcnt(0)
	v_add_f32_e32 v0, v0, v4
	s_delay_alu instid0(VALU_DEP_1)
	v_mul_f32_e64 v0, v0, -v1
	global_store_b32 v[2:3], v0, off
.LBB48_33:
	s_or_b32 exec_lo, exec_lo, s0
                                        ; implicit-def: $vgpr0_vgpr1
.LBB48_34:
	s_and_not1_saveexec_b32 s0, s18
	s_cbranch_execz .LBB48_36
; %bb.35:
	s_waitcnt vmcnt(0)
	v_mov_b32_e32 v1, 0
	s_ashr_i32 s0, s12, 31
	s_delay_alu instid0(VALU_DEP_1) | instskip(NEXT) | instid1(VALU_DEP_1)
	v_lshlrev_b64 v[1:2], 2, v[0:1]
	v_add_co_u32 v3, vcc_lo, s13, v1
	s_delay_alu instid0(VALU_DEP_2) | instskip(SKIP_2) | instid1(VALU_DEP_1)
	v_add_co_ci_u32_e32 v4, vcc_lo, s14, v2, vcc_lo
	global_load_b32 v7, v[3:4], off
	v_mad_u64_u32 v[3:4], null, v0, s12, 0
	v_mad_u64_u32 v[5:6], null, v0, s0, v[4:5]
	s_delay_alu instid0(VALU_DEP_1) | instskip(NEXT) | instid1(VALU_DEP_1)
	v_mov_b32_e32 v4, v5
	v_lshlrev_b64 v[3:4], 2, v[3:4]
	s_delay_alu instid0(VALU_DEP_1) | instskip(NEXT) | instid1(VALU_DEP_2)
	v_add_co_u32 v0, vcc_lo, s6, v3
	v_add_co_ci_u32_e32 v3, vcc_lo, s7, v4, vcc_lo
	s_delay_alu instid0(VALU_DEP_2) | instskip(NEXT) | instid1(VALU_DEP_2)
	v_add_co_u32 v0, vcc_lo, v0, v1
	v_add_co_ci_u32_e32 v1, vcc_lo, v3, v2, vcc_lo
	s_waitcnt vmcnt(0)
	global_store_b32 v[0:1], v7, off
.LBB48_36:
	s_nop 0
	s_sendmsg sendmsg(MSG_DEALLOC_VGPRS)
	s_endpgm
	.section	.rodata,"a",@progbits
	.p2align	6, 0x0
	.amdhsa_kernel _ZN9rocsolver6v33100L14set_triangularIfPfTnNSt9enable_ifIXnt18rocblas_is_complexIT_EEiE4typeELi0EEEviiT0_iilPS4_lS8_il15rocblas_direct_15rocblas_storev_b
		.amdhsa_group_segment_fixed_size 0
		.amdhsa_private_segment_fixed_size 0
		.amdhsa_kernarg_size 344
		.amdhsa_user_sgpr_count 13
		.amdhsa_user_sgpr_dispatch_ptr 0
		.amdhsa_user_sgpr_queue_ptr 0
		.amdhsa_user_sgpr_kernarg_segment_ptr 1
		.amdhsa_user_sgpr_dispatch_id 0
		.amdhsa_user_sgpr_private_segment_size 0
		.amdhsa_wavefront_size32 1
		.amdhsa_uses_dynamic_stack 0
		.amdhsa_enable_private_segment 0
		.amdhsa_system_sgpr_workgroup_id_x 1
		.amdhsa_system_sgpr_workgroup_id_y 1
		.amdhsa_system_sgpr_workgroup_id_z 1
		.amdhsa_system_sgpr_workgroup_info 0
		.amdhsa_system_vgpr_workitem_id 1
		.amdhsa_next_free_vgpr 14
		.amdhsa_next_free_sgpr 22
		.amdhsa_reserve_vcc 1
		.amdhsa_float_round_mode_32 0
		.amdhsa_float_round_mode_16_64 0
		.amdhsa_float_denorm_mode_32 3
		.amdhsa_float_denorm_mode_16_64 3
		.amdhsa_dx10_clamp 1
		.amdhsa_ieee_mode 1
		.amdhsa_fp16_overflow 0
		.amdhsa_workgroup_processor_mode 1
		.amdhsa_memory_ordered 1
		.amdhsa_forward_progress 0
		.amdhsa_shared_vgpr_count 0
		.amdhsa_exception_fp_ieee_invalid_op 0
		.amdhsa_exception_fp_denorm_src 0
		.amdhsa_exception_fp_ieee_div_zero 0
		.amdhsa_exception_fp_ieee_overflow 0
		.amdhsa_exception_fp_ieee_underflow 0
		.amdhsa_exception_fp_ieee_inexact 0
		.amdhsa_exception_int_div_zero 0
	.end_amdhsa_kernel
	.section	.text._ZN9rocsolver6v33100L14set_triangularIfPfTnNSt9enable_ifIXnt18rocblas_is_complexIT_EEiE4typeELi0EEEviiT0_iilPS4_lS8_il15rocblas_direct_15rocblas_storev_b,"axG",@progbits,_ZN9rocsolver6v33100L14set_triangularIfPfTnNSt9enable_ifIXnt18rocblas_is_complexIT_EEiE4typeELi0EEEviiT0_iilPS4_lS8_il15rocblas_direct_15rocblas_storev_b,comdat
.Lfunc_end48:
	.size	_ZN9rocsolver6v33100L14set_triangularIfPfTnNSt9enable_ifIXnt18rocblas_is_complexIT_EEiE4typeELi0EEEviiT0_iilPS4_lS8_il15rocblas_direct_15rocblas_storev_b, .Lfunc_end48-_ZN9rocsolver6v33100L14set_triangularIfPfTnNSt9enable_ifIXnt18rocblas_is_complexIT_EEiE4typeELi0EEEviiT0_iilPS4_lS8_il15rocblas_direct_15rocblas_storev_b
                                        ; -- End function
	.section	.AMDGPU.csdata,"",@progbits
; Kernel info:
; codeLenInByte = 2524
; NumSgprs: 24
; NumVgprs: 14
; ScratchSize: 0
; MemoryBound: 0
; FloatMode: 240
; IeeeMode: 1
; LDSByteSize: 0 bytes/workgroup (compile time only)
; SGPRBlocks: 2
; VGPRBlocks: 1
; NumSGPRsForWavesPerEU: 24
; NumVGPRsForWavesPerEU: 14
; Occupancy: 16
; WaveLimiterHint : 0
; COMPUTE_PGM_RSRC2:SCRATCH_EN: 0
; COMPUTE_PGM_RSRC2:USER_SGPR: 13
; COMPUTE_PGM_RSRC2:TRAP_HANDLER: 0
; COMPUTE_PGM_RSRC2:TGID_X_EN: 1
; COMPUTE_PGM_RSRC2:TGID_Y_EN: 1
; COMPUTE_PGM_RSRC2:TGID_Z_EN: 1
; COMPUTE_PGM_RSRC2:TIDIG_COMP_CNT: 1
	.section	.text._ZN9rocsolver6v33100L7set_tauIfEEviPT_l,"axG",@progbits,_ZN9rocsolver6v33100L7set_tauIfEEviPT_l,comdat
	.globl	_ZN9rocsolver6v33100L7set_tauIfEEviPT_l ; -- Begin function _ZN9rocsolver6v33100L7set_tauIfEEviPT_l
	.p2align	8
	.type	_ZN9rocsolver6v33100L7set_tauIfEEviPT_l,@function
_ZN9rocsolver6v33100L7set_tauIfEEviPT_l: ; @_ZN9rocsolver6v33100L7set_tauIfEEviPT_l
; %bb.0:
	s_clause 0x1
	s_load_b32 s2, s[0:1], 0x24
	s_load_b32 s3, s[0:1], 0x0
	s_waitcnt lgkmcnt(0)
	s_and_b32 s2, s2, 0xffff
	s_delay_alu instid0(SALU_CYCLE_1) | instskip(SKIP_1) | instid1(VALU_DEP_1)
	v_mad_u64_u32 v[1:2], null, s14, s2, v[0:1]
	s_mov_b32 s2, exec_lo
	v_cmpx_gt_u32_e64 s3, v1
	s_cbranch_execz .LBB49_2
; %bb.1:
	s_load_b128 s[0:3], s[0:1], 0x8
	v_mov_b32_e32 v2, 0
	s_delay_alu instid0(VALU_DEP_1)
	v_lshlrev_b64 v[0:1], 2, v[1:2]
	s_waitcnt lgkmcnt(0)
	s_mul_i32 s3, s15, s3
	s_mul_hi_u32 s4, s15, s2
	s_mul_i32 s2, s15, s2
	s_add_i32 s3, s4, s3
	s_delay_alu instid0(SALU_CYCLE_1) | instskip(NEXT) | instid1(SALU_CYCLE_1)
	s_lshl_b64 s[2:3], s[2:3], 2
	s_add_u32 s0, s0, s2
	s_addc_u32 s1, s1, s3
	v_add_co_u32 v0, vcc_lo, s0, v0
	v_add_co_ci_u32_e32 v1, vcc_lo, s1, v1, vcc_lo
	global_load_b32 v2, v[0:1], off
	s_waitcnt vmcnt(0)
	v_xor_b32_e32 v2, 0x80000000, v2
	global_store_b32 v[0:1], v2, off
.LBB49_2:
	s_nop 0
	s_sendmsg sendmsg(MSG_DEALLOC_VGPRS)
	s_endpgm
	.section	.rodata,"a",@progbits
	.p2align	6, 0x0
	.amdhsa_kernel _ZN9rocsolver6v33100L7set_tauIfEEviPT_l
		.amdhsa_group_segment_fixed_size 0
		.amdhsa_private_segment_fixed_size 0
		.amdhsa_kernarg_size 280
		.amdhsa_user_sgpr_count 14
		.amdhsa_user_sgpr_dispatch_ptr 0
		.amdhsa_user_sgpr_queue_ptr 0
		.amdhsa_user_sgpr_kernarg_segment_ptr 1
		.amdhsa_user_sgpr_dispatch_id 0
		.amdhsa_user_sgpr_private_segment_size 0
		.amdhsa_wavefront_size32 1
		.amdhsa_uses_dynamic_stack 0
		.amdhsa_enable_private_segment 0
		.amdhsa_system_sgpr_workgroup_id_x 1
		.amdhsa_system_sgpr_workgroup_id_y 1
		.amdhsa_system_sgpr_workgroup_id_z 0
		.amdhsa_system_sgpr_workgroup_info 0
		.amdhsa_system_vgpr_workitem_id 0
		.amdhsa_next_free_vgpr 3
		.amdhsa_next_free_sgpr 16
		.amdhsa_reserve_vcc 1
		.amdhsa_float_round_mode_32 0
		.amdhsa_float_round_mode_16_64 0
		.amdhsa_float_denorm_mode_32 3
		.amdhsa_float_denorm_mode_16_64 3
		.amdhsa_dx10_clamp 1
		.amdhsa_ieee_mode 1
		.amdhsa_fp16_overflow 0
		.amdhsa_workgroup_processor_mode 1
		.amdhsa_memory_ordered 1
		.amdhsa_forward_progress 0
		.amdhsa_shared_vgpr_count 0
		.amdhsa_exception_fp_ieee_invalid_op 0
		.amdhsa_exception_fp_denorm_src 0
		.amdhsa_exception_fp_ieee_div_zero 0
		.amdhsa_exception_fp_ieee_overflow 0
		.amdhsa_exception_fp_ieee_underflow 0
		.amdhsa_exception_fp_ieee_inexact 0
		.amdhsa_exception_int_div_zero 0
	.end_amdhsa_kernel
	.section	.text._ZN9rocsolver6v33100L7set_tauIfEEviPT_l,"axG",@progbits,_ZN9rocsolver6v33100L7set_tauIfEEviPT_l,comdat
.Lfunc_end49:
	.size	_ZN9rocsolver6v33100L7set_tauIfEEviPT_l, .Lfunc_end49-_ZN9rocsolver6v33100L7set_tauIfEEviPT_l
                                        ; -- End function
	.section	.AMDGPU.csdata,"",@progbits
; Kernel info:
; codeLenInByte = 172
; NumSgprs: 18
; NumVgprs: 3
; ScratchSize: 0
; MemoryBound: 0
; FloatMode: 240
; IeeeMode: 1
; LDSByteSize: 0 bytes/workgroup (compile time only)
; SGPRBlocks: 2
; VGPRBlocks: 0
; NumSGPRsForWavesPerEU: 18
; NumVGPRsForWavesPerEU: 3
; Occupancy: 16
; WaveLimiterHint : 0
; COMPUTE_PGM_RSRC2:SCRATCH_EN: 0
; COMPUTE_PGM_RSRC2:USER_SGPR: 14
; COMPUTE_PGM_RSRC2:TRAP_HANDLER: 0
; COMPUTE_PGM_RSRC2:TGID_X_EN: 1
; COMPUTE_PGM_RSRC2:TGID_Y_EN: 1
; COMPUTE_PGM_RSRC2:TGID_Z_EN: 0
; COMPUTE_PGM_RSRC2:TIDIG_COMP_CNT: 0
	.section	.text._ZN9rocsolver6v33100L20larft_kernel_forwardIfPfEEv15rocblas_storev_iiT0_iilPT_lS6_il,"axG",@progbits,_ZN9rocsolver6v33100L20larft_kernel_forwardIfPfEEv15rocblas_storev_iiT0_iilPT_lS6_il,comdat
	.globl	_ZN9rocsolver6v33100L20larft_kernel_forwardIfPfEEv15rocblas_storev_iiT0_iilPT_lS6_il ; -- Begin function _ZN9rocsolver6v33100L20larft_kernel_forwardIfPfEEv15rocblas_storev_iiT0_iilPT_lS6_il
	.p2align	8
	.type	_ZN9rocsolver6v33100L20larft_kernel_forwardIfPfEEv15rocblas_storev_iiT0_iilPT_lS6_il,@function
_ZN9rocsolver6v33100L20larft_kernel_forwardIfPfEEv15rocblas_storev_iiT0_iilPT_lS6_il: ; @_ZN9rocsolver6v33100L20larft_kernel_forwardIfPfEEv15rocblas_storev_iiT0_iilPT_lS6_il
; %bb.0:
	s_clause 0x4
	s_load_b64 s[20:21], s[0:1], 0x48
	s_load_b128 s[16:19], s[0:1], 0x0
	s_load_b32 s13, s[0:1], 0x5c
	s_load_b256 s[4:11], s[0:1], 0x20
	s_load_b32 s3, s[0:1], 0x40
	s_ashr_i32 s12, s15, 31
	v_lshlrev_b32_e32 v6, 2, v0
	s_waitcnt lgkmcnt(0)
	s_mul_i32 s2, s15, s21
	s_mul_hi_u32 s14, s15, s20
	s_mul_i32 s19, s12, s20
	s_add_i32 s2, s14, s2
	s_mul_i32 s20, s15, s20
	s_add_i32 s21, s2, s19
	v_cmp_gt_i32_e64 s2, s18, v0
	s_lshl_b64 s[20:21], s[20:21], 2
	s_and_b32 s14, s13, 0xffff
	s_add_u32 s19, s10, s20
	s_addc_u32 s24, s11, s21
	s_and_saveexec_b32 s10, s2
	s_cbranch_execz .LBB50_5
; %bb.1:
	v_add_nc_u32_e32 v1, 4, v6
	s_lshl_b32 s13, s18, 2
	v_mov_b32_e32 v5, v0
	s_add_i32 s20, s13, 4
	s_add_i32 s21, s3, 1
	v_mul_lo_u32 v3, s18, v1
	v_mad_u64_u32 v[1:2], null, v0, s3, v[0:1]
	s_mov_b32 s11, 0
	s_mul_i32 s20, s20, s14
	s_mul_i32 s21, s21, s14
	s_delay_alu instid0(VALU_DEP_2)
	v_add3_u32 v4, v3, v6, 0
	.p2align	6
.LBB50_2:                               ; =>This Loop Header: Depth=1
                                        ;     Child Loop BB50_3 Depth 2
	s_delay_alu instid0(VALU_DEP_1)
	v_dual_mov_b32 v2, v1 :: v_dual_mov_b32 v7, v4
	v_mov_b32_e32 v8, v5
	s_mov_b32 s22, 0
	.p2align	6
.LBB50_3:                               ;   Parent Loop BB50_2 Depth=1
                                        ; =>  This Inner Loop Header: Depth=2
	s_delay_alu instid0(VALU_DEP_2) | instskip(NEXT) | instid1(VALU_DEP_2)
	v_ashrrev_i32_e32 v3, 31, v2
	v_add_nc_u32_e32 v8, 1, v8
	s_delay_alu instid0(VALU_DEP_2) | instskip(SKIP_1) | instid1(VALU_DEP_2)
	v_lshlrev_b64 v[9:10], 2, v[2:3]
	v_add_nc_u32_e32 v2, s3, v2
	v_add_co_u32 v9, vcc_lo, s19, v9
	s_delay_alu instid0(VALU_DEP_3)
	v_add_co_ci_u32_e32 v10, vcc_lo, s24, v10, vcc_lo
	v_cmp_le_i32_e32 vcc_lo, s18, v8
	global_load_b32 v3, v[9:10], off
	s_or_b32 s22, vcc_lo, s22
	s_waitcnt vmcnt(0)
	ds_store_b32 v7, v3
	v_add_nc_u32_e32 v7, s13, v7
	s_and_not1_b32 exec_lo, exec_lo, s22
	s_cbranch_execnz .LBB50_3
; %bb.4:                                ;   in Loop: Header=BB50_2 Depth=1
	s_or_b32 exec_lo, exec_lo, s22
	v_add_nc_u32_e32 v5, s14, v5
	v_add_nc_u32_e32 v4, s20, v4
	;; [unrolled: 1-line block ×3, first 2 shown]
	s_delay_alu instid0(VALU_DEP_3) | instskip(SKIP_1) | instid1(SALU_CYCLE_1)
	v_cmp_le_i32_e32 vcc_lo, s18, v5
	s_or_b32 s11, vcc_lo, s11
	s_and_not1_b32 exec_lo, exec_lo, s11
	s_cbranch_execnz .LBB50_2
.LBB50_5:
	s_or_b32 exec_lo, exec_lo, s10
	s_cmp_lt_i32 s18, 2
	s_waitcnt lgkmcnt(0)
	s_barrier
	buffer_gl0_inv
	s_cbranch_scc1 .LBB50_30
; %bb.6:
	s_load_b128 s[20:23], s[0:1], 0x10
	s_mul_i32 s1, s15, s9
	s_mul_hi_u32 s10, s15, s8
	s_mul_i32 s11, s12, s8
	s_add_i32 s1, s10, s1
	s_mul_i32 s0, s15, s8
	s_add_i32 s1, s1, s11
	s_mul_i32 s11, s5, s15
	s_lshl_b64 s[0:1], s[0:1], 2
	s_mul_hi_u32 s10, s4, s15
	s_mul_i32 s12, s4, s12
	v_add_nc_u32_e32 v3, 4, v6
	v_add_nc_u32_e32 v9, 0, v6
	s_mov_b32 s9, 0
	s_mov_b32 s8, 1
	s_delay_alu instid0(VALU_DEP_2)
	v_mul_lo_u32 v3, s18, v3
	s_waitcnt lgkmcnt(0)
	s_ashr_i32 s5, s22, 31
	s_add_u32 s25, s6, s0
	s_addc_u32 s26, s7, s1
	s_lshl_b32 s27, s18, 2
	s_mul_i32 s0, s4, s15
	s_add_i32 s15, s27, 0
	s_cmpk_lg_i32 s16, 0xb5
	s_mov_b32 s4, s22
	s_cselect_b32 s16, -1, 0
	s_add_i32 s1, s10, s12
	s_mov_b32 s6, s23
	s_add_i32 s1, s1, s11
	v_mul_lo_u32 v7, v0, s23
	s_lshl_b64 s[0:1], s[0:1], 2
	v_add3_u32 v8, v3, v6, 0
	s_add_u32 s22, s0, 4
	s_addc_u32 s28, s1, 0
	s_lshl_b64 s[10:11], s[4:5], 2
	v_add_co_u32 v1, s4, s0, v6
	s_add_u32 s29, s20, s10
	s_addc_u32 s30, s21, s11
	s_ashr_i32 s7, s23, 31
	v_add_co_ci_u32_e64 v2, null, s1, 0, s4
	s_lshl_b32 s4, s23, 1
	s_lshl_b32 s31, s14, 2
	s_lshl_b64 s[6:7], s[6:7], 2
	s_add_u32 s0, s0, s10
	s_addc_u32 s1, s1, s11
	s_add_u32 s0, s0, s20
	s_addc_u32 s1, s1, s21
	;; [unrolled: 2-line block ×3, first 2 shown]
	s_add_i32 s34, s27, 4
	s_mul_i32 s33, s23, s14
	s_mul_i32 s34, s34, s14
	s_mov_b32 s10, s23
	s_branch .LBB50_8
.LBB50_7:                               ;   in Loop: Header=BB50_8 Depth=1
	s_or_b32 exec_lo, exec_lo, s0
	s_add_i32 s8, s8, 1
	s_add_u32 s22, s22, 4
	s_addc_u32 s28, s28, 0
	s_add_i32 s4, s4, s23
	s_add_u32 s20, s20, 4
	s_addc_u32 s21, s21, 0
	s_add_i32 s10, s10, s23
	s_cmp_eq_u32 s8, s18
	s_waitcnt lgkmcnt(0)
	s_barrier
	buffer_gl0_inv
	s_cbranch_scc1 .LBB50_30
.LBB50_8:                               ; =>This Loop Header: Depth=1
                                        ;     Child Loop BB50_12 Depth 2
                                        ;       Child Loop BB50_14 Depth 3
                                        ;     Child Loop BB50_21 Depth 2
                                        ;       Child Loop BB50_23 Depth 3
	;; [unrolled: 2-line block ×3, first 2 shown]
	s_mul_i32 s0, s8, s18
	s_not_b32 s36, s8
	s_lshl_b32 s0, s0, 2
	s_add_i32 s36, s36, s17
	s_add_i32 s35, s15, s0
	v_cmp_gt_u32_e64 s0, s8, v0
	s_and_b32 vcc_lo, exec_lo, s16
	s_mov_b32 s1, -1
	s_cbranch_vccz .LBB50_16
; %bb.9:                                ;   in Loop: Header=BB50_8 Depth=1
	s_delay_alu instid0(VALU_DEP_1)
	s_and_saveexec_b32 s11, s0
	s_cbranch_execz .LBB50_15
; %bb.10:                               ;   in Loop: Header=BB50_8 Depth=1
	s_ashr_i32 s5, s4, 31
	v_dual_mov_b32 v4, v2 :: v_dual_mov_b32 v3, v1
	s_lshl_b64 s[0:1], s[4:5], 2
	v_mov_b32_e32 v5, v0
	s_add_u32 s12, s29, s0
	s_addc_u32 s13, s30, s1
	s_cmp_gt_i32 s36, 0
	s_mov_b32 s38, 0
	s_cselect_b32 s5, -1, 0
	s_lshl_b64 s[0:1], s[8:9], 2
	s_delay_alu instid0(SALU_CYCLE_1)
	s_add_u32 s0, s25, s0
	s_addc_u32 s1, s26, s1
	s_load_b32 s37, s[0:1], 0x0
	s_set_inst_prefetch_distance 0x1
	s_branch .LBB50_12
	.p2align	6
.LBB50_11:                              ;   in Loop: Header=BB50_12 Depth=2
	v_lshlrev_b32_e32 v11, 2, v5
	v_add_nc_u32_e32 v5, s14, v5
	v_add_co_u32 v3, s0, v3, s31
	s_delay_alu instid0(VALU_DEP_1) | instskip(NEXT) | instid1(VALU_DEP_4)
	v_add_co_ci_u32_e64 v4, s0, 0, v4, s0
	v_add_nc_u32_e32 v12, s35, v11
	s_delay_alu instid0(VALU_DEP_4)
	v_cmp_le_u32_e32 vcc_lo, s8, v5
	ds_load_b32 v12, v12
	s_or_b32 s38, vcc_lo, s38
	s_waitcnt lgkmcnt(0)
	v_dual_fmac_f32 v12, s37, v10 :: v_dual_add_nc_u32 v11, 0, v11
	ds_store_b32 v11, v12
	s_and_not1_b32 exec_lo, exec_lo, s38
	s_cbranch_execz .LBB50_15
.LBB50_12:                              ;   Parent Loop BB50_8 Depth=1
                                        ; =>  This Loop Header: Depth=2
                                        ;       Child Loop BB50_14 Depth 3
	v_mov_b32_e32 v10, 0
	s_and_not1_b32 vcc_lo, exec_lo, s5
	s_cbranch_vccnz .LBB50_11
; %bb.13:                               ;   in Loop: Header=BB50_12 Depth=2
	s_mov_b32 s39, 0
	s_mov_b64 s[0:1], s[12:13]
.LBB50_14:                              ;   Parent Loop BB50_8 Depth=1
                                        ;     Parent Loop BB50_12 Depth=2
                                        ; =>    This Inner Loop Header: Depth=3
	s_delay_alu instid0(SALU_CYCLE_1)
	v_add_co_u32 v11, vcc_lo, s0, v3
	v_add_co_ci_u32_e32 v12, vcc_lo, s1, v4, vcc_lo
	s_add_u32 s40, s0, s22
	s_addc_u32 s41, s1, s28
	s_add_i32 s39, s39, 1
	global_load_b32 v11, v[11:12], off
	s_load_b32 s40, s[40:41], 0x0
	s_add_u32 s0, s0, s6
	s_addc_u32 s1, s1, s7
	s_cmp_ge_i32 s39, s36
	s_waitcnt vmcnt(0) lgkmcnt(0)
	v_fmac_f32_e32 v10, s40, v11
	s_cbranch_scc0 .LBB50_14
	s_branch .LBB50_11
.LBB50_15:                              ;   in Loop: Header=BB50_8 Depth=1
	s_set_inst_prefetch_distance 0x2
	s_or_b32 exec_lo, exec_lo, s11
	s_mov_b32 s1, 0
.LBB50_16:                              ;   in Loop: Header=BB50_8 Depth=1
	s_delay_alu instid0(SALU_CYCLE_1)
	s_and_not1_b32 vcc_lo, exec_lo, s1
	s_cbranch_vccnz .LBB50_25
; %bb.17:                               ;   in Loop: Header=BB50_8 Depth=1
	s_mov_b32 s5, exec_lo
	v_cmpx_gt_u32_e64 s8, v0
	s_cbranch_execz .LBB50_24
; %bb.18:                               ;   in Loop: Header=BB50_8 Depth=1
	s_ashr_i32 s11, s10, 31
	v_dual_mov_b32 v3, v7 :: v_dual_mov_b32 v10, v0
	s_lshl_b64 s[0:1], s[10:11], 2
	s_mov_b32 s38, 0
	s_add_u32 s0, s20, s0
	s_addc_u32 s1, s21, s1
	s_cmp_gt_i32 s36, 0
	s_cselect_b32 s11, -1, 0
	s_lshl_b64 s[12:13], s[8:9], 2
	s_delay_alu instid0(SALU_CYCLE_1)
	s_add_u32 s12, s25, s12
	s_addc_u32 s13, s26, s13
	s_load_b32 s37, s[12:13], 0x0
	s_set_inst_prefetch_distance 0x1
	s_branch .LBB50_21
	.p2align	6
.LBB50_19:                              ;   in Loop: Header=BB50_21 Depth=2
	v_mov_b32_e32 v11, 0
.LBB50_20:                              ;   in Loop: Header=BB50_21 Depth=2
	v_lshlrev_b32_e32 v4, 2, v10
	v_add_nc_u32_e32 v10, s14, v10
	v_add_nc_u32_e32 v3, s33, v3
	s_delay_alu instid0(VALU_DEP_3) | instskip(NEXT) | instid1(VALU_DEP_3)
	v_add_nc_u32_e32 v5, s35, v4
	v_cmp_le_u32_e32 vcc_lo, s8, v10
	ds_load_b32 v5, v5
	s_or_b32 s38, vcc_lo, s38
	s_waitcnt lgkmcnt(0)
	v_dual_fmac_f32 v5, s37, v11 :: v_dual_add_nc_u32 v4, 0, v4
	ds_store_b32 v4, v5
	s_and_not1_b32 exec_lo, exec_lo, s38
	s_cbranch_execz .LBB50_24
.LBB50_21:                              ;   Parent Loop BB50_8 Depth=1
                                        ; =>  This Loop Header: Depth=2
                                        ;       Child Loop BB50_23 Depth 3
	s_and_not1_b32 vcc_lo, exec_lo, s11
	s_cbranch_vccnz .LBB50_19
; %bb.22:                               ;   in Loop: Header=BB50_21 Depth=2
	v_ashrrev_i32_e32 v4, 31, v3
	v_mov_b32_e32 v11, 0
	s_mov_b32 s39, 0
	s_mov_b64 s[12:13], s[0:1]
	s_delay_alu instid0(VALU_DEP_2) | instskip(NEXT) | instid1(VALU_DEP_1)
	v_lshlrev_b64 v[4:5], 2, v[3:4]
	v_add_co_u32 v4, vcc_lo, s20, v4
	s_delay_alu instid0(VALU_DEP_2)
	v_add_co_ci_u32_e32 v5, vcc_lo, s21, v5, vcc_lo
.LBB50_23:                              ;   Parent Loop BB50_8 Depth=1
                                        ;     Parent Loop BB50_21 Depth=2
                                        ; =>    This Inner Loop Header: Depth=3
	global_load_b32 v12, v[4:5], off
	s_load_b32 s40, s[12:13], 0x0
	v_add_co_u32 v4, vcc_lo, v4, 4
	s_add_i32 s39, s39, 1
	v_add_co_ci_u32_e32 v5, vcc_lo, 0, v5, vcc_lo
	s_add_u32 s12, s12, 4
	s_addc_u32 s13, s13, 0
	s_cmp_ge_i32 s39, s36
	s_waitcnt vmcnt(0) lgkmcnt(0)
	v_fmac_f32_e32 v11, s40, v12
	s_cbranch_scc0 .LBB50_23
	s_branch .LBB50_20
.LBB50_24:                              ;   in Loop: Header=BB50_8 Depth=1
	s_set_inst_prefetch_distance 0x2
	s_or_b32 exec_lo, exec_lo, s5
.LBB50_25:                              ;   in Loop: Header=BB50_8 Depth=1
	s_delay_alu instid0(SALU_CYCLE_1)
	s_mov_b32 s0, exec_lo
	s_waitcnt lgkmcnt(0)
	s_barrier
	buffer_gl0_inv
	v_cmpx_gt_u32_e64 s8, v0
	s_cbranch_execz .LBB50_7
; %bb.26:                               ;   in Loop: Header=BB50_8 Depth=1
	v_dual_mov_b32 v3, v9 :: v_dual_mov_b32 v4, v8
	v_mov_b32_e32 v5, v0
	s_mov_b32 s1, 0
	.p2align	6
.LBB50_27:                              ;   Parent Loop BB50_8 Depth=1
                                        ; =>  This Loop Header: Depth=2
                                        ;       Child Loop BB50_28 Depth 3
	s_delay_alu instid0(VALU_DEP_2) | instskip(NEXT) | instid1(VALU_DEP_2)
	v_dual_mov_b32 v10, 0 :: v_dual_mov_b32 v11, v3
	v_dual_mov_b32 v12, v4 :: v_dual_mov_b32 v13, v5
	s_mov_b32 s5, 0
.LBB50_28:                              ;   Parent Loop BB50_8 Depth=1
                                        ;     Parent Loop BB50_27 Depth=2
                                        ; =>    This Inner Loop Header: Depth=3
	ds_load_b32 v14, v12
	ds_load_b32 v15, v11
	v_add_nc_u32_e32 v13, 1, v13
	v_add_nc_u32_e32 v12, s27, v12
	;; [unrolled: 1-line block ×3, first 2 shown]
	s_waitcnt lgkmcnt(0)
	v_fmac_f32_e32 v10, v14, v15
	v_cmp_le_u32_e32 vcc_lo, s8, v13
	s_or_b32 s5, vcc_lo, s5
	s_delay_alu instid0(SALU_CYCLE_1)
	s_and_not1_b32 exec_lo, exec_lo, s5
	s_cbranch_execnz .LBB50_28
; %bb.29:                               ;   in Loop: Header=BB50_27 Depth=2
	s_or_b32 exec_lo, exec_lo, s5
	v_lshl_add_u32 v11, v5, 2, s35
	v_add_nc_u32_e32 v5, s14, v5
	v_add_nc_u32_e32 v4, s34, v4
	;; [unrolled: 1-line block ×3, first 2 shown]
	ds_store_b32 v11, v10
	v_cmp_le_u32_e32 vcc_lo, s8, v5
	s_or_b32 s1, vcc_lo, s1
	s_delay_alu instid0(SALU_CYCLE_1)
	s_and_not1_b32 exec_lo, exec_lo, s1
	s_cbranch_execnz .LBB50_27
	s_branch .LBB50_7
.LBB50_30:
	s_and_saveexec_b32 s0, s2
	s_cbranch_execz .LBB50_35
; %bb.31:
	v_add_nc_u32_e32 v1, 4, v6
	s_lshl_b32 s2, s18, 2
	s_add_i32 s1, s3, 1
	s_add_i32 s5, s2, 4
	s_mul_i32 s1, s1, s14
	v_mul_lo_u32 v3, s18, v1
	v_mad_u64_u32 v[1:2], null, v0, s3, v[0:1]
	s_mov_b32 s4, 0
	s_mul_i32 s5, s5, s14
	s_delay_alu instid0(VALU_DEP_2)
	v_add3_u32 v4, v3, v6, 0
	.p2align	6
.LBB50_32:                              ; =>This Loop Header: Depth=1
                                        ;     Child Loop BB50_33 Depth 2
	s_delay_alu instid0(VALU_DEP_1)
	v_dual_mov_b32 v5, v4 :: v_dual_mov_b32 v2, v1
	v_mov_b32_e32 v6, v0
	s_mov_b32 s6, 0
	.p2align	6
.LBB50_33:                              ;   Parent Loop BB50_32 Depth=1
                                        ; =>  This Inner Loop Header: Depth=2
	ds_load_b32 v9, v5
	v_ashrrev_i32_e32 v3, 31, v2
	v_add_nc_u32_e32 v6, 1, v6
	v_add_nc_u32_e32 v5, s2, v5
	s_delay_alu instid0(VALU_DEP_3) | instskip(NEXT) | instid1(VALU_DEP_3)
	v_lshlrev_b64 v[7:8], 2, v[2:3]
	v_cmp_le_i32_e32 vcc_lo, s18, v6
	v_add_nc_u32_e32 v2, s3, v2
	s_or_b32 s6, vcc_lo, s6
	s_delay_alu instid0(VALU_DEP_3) | instskip(NEXT) | instid1(VALU_DEP_1)
	v_add_co_u32 v7, s0, s19, v7
	v_add_co_ci_u32_e64 v8, s0, s24, v8, s0
	s_waitcnt lgkmcnt(0)
	global_store_b32 v[7:8], v9, off
	s_and_not1_b32 exec_lo, exec_lo, s6
	s_cbranch_execnz .LBB50_33
; %bb.34:                               ;   in Loop: Header=BB50_32 Depth=1
	s_or_b32 exec_lo, exec_lo, s6
	v_add_nc_u32_e32 v0, s14, v0
	v_add_nc_u32_e32 v1, s1, v1
	v_add_nc_u32_e32 v4, s5, v4
	s_delay_alu instid0(VALU_DEP_3) | instskip(SKIP_1) | instid1(SALU_CYCLE_1)
	v_cmp_le_i32_e32 vcc_lo, s18, v0
	s_or_b32 s4, vcc_lo, s4
	s_and_not1_b32 exec_lo, exec_lo, s4
	s_cbranch_execnz .LBB50_32
.LBB50_35:
	s_nop 0
	s_sendmsg sendmsg(MSG_DEALLOC_VGPRS)
	s_endpgm
	.section	.rodata,"a",@progbits
	.p2align	6, 0x0
	.amdhsa_kernel _ZN9rocsolver6v33100L20larft_kernel_forwardIfPfEEv15rocblas_storev_iiT0_iilPT_lS6_il
		.amdhsa_group_segment_fixed_size 0
		.amdhsa_private_segment_fixed_size 0
		.amdhsa_kernarg_size 336
		.amdhsa_user_sgpr_count 14
		.amdhsa_user_sgpr_dispatch_ptr 0
		.amdhsa_user_sgpr_queue_ptr 0
		.amdhsa_user_sgpr_kernarg_segment_ptr 1
		.amdhsa_user_sgpr_dispatch_id 0
		.amdhsa_user_sgpr_private_segment_size 0
		.amdhsa_wavefront_size32 1
		.amdhsa_uses_dynamic_stack 0
		.amdhsa_enable_private_segment 0
		.amdhsa_system_sgpr_workgroup_id_x 1
		.amdhsa_system_sgpr_workgroup_id_y 1
		.amdhsa_system_sgpr_workgroup_id_z 0
		.amdhsa_system_sgpr_workgroup_info 0
		.amdhsa_system_vgpr_workitem_id 0
		.amdhsa_next_free_vgpr 16
		.amdhsa_next_free_sgpr 42
		.amdhsa_reserve_vcc 1
		.amdhsa_float_round_mode_32 0
		.amdhsa_float_round_mode_16_64 0
		.amdhsa_float_denorm_mode_32 3
		.amdhsa_float_denorm_mode_16_64 3
		.amdhsa_dx10_clamp 1
		.amdhsa_ieee_mode 1
		.amdhsa_fp16_overflow 0
		.amdhsa_workgroup_processor_mode 1
		.amdhsa_memory_ordered 1
		.amdhsa_forward_progress 0
		.amdhsa_shared_vgpr_count 0
		.amdhsa_exception_fp_ieee_invalid_op 0
		.amdhsa_exception_fp_denorm_src 0
		.amdhsa_exception_fp_ieee_div_zero 0
		.amdhsa_exception_fp_ieee_overflow 0
		.amdhsa_exception_fp_ieee_underflow 0
		.amdhsa_exception_fp_ieee_inexact 0
		.amdhsa_exception_int_div_zero 0
	.end_amdhsa_kernel
	.section	.text._ZN9rocsolver6v33100L20larft_kernel_forwardIfPfEEv15rocblas_storev_iiT0_iilPT_lS6_il,"axG",@progbits,_ZN9rocsolver6v33100L20larft_kernel_forwardIfPfEEv15rocblas_storev_iiT0_iilPT_lS6_il,comdat
.Lfunc_end50:
	.size	_ZN9rocsolver6v33100L20larft_kernel_forwardIfPfEEv15rocblas_storev_iiT0_iilPT_lS6_il, .Lfunc_end50-_ZN9rocsolver6v33100L20larft_kernel_forwardIfPfEEv15rocblas_storev_iiT0_iilPT_lS6_il
                                        ; -- End function
	.section	.AMDGPU.csdata,"",@progbits
; Kernel info:
; codeLenInByte = 1640
; NumSgprs: 44
; NumVgprs: 16
; ScratchSize: 0
; MemoryBound: 0
; FloatMode: 240
; IeeeMode: 1
; LDSByteSize: 0 bytes/workgroup (compile time only)
; SGPRBlocks: 5
; VGPRBlocks: 1
; NumSGPRsForWavesPerEU: 44
; NumVGPRsForWavesPerEU: 16
; Occupancy: 16
; WaveLimiterHint : 0
; COMPUTE_PGM_RSRC2:SCRATCH_EN: 0
; COMPUTE_PGM_RSRC2:USER_SGPR: 14
; COMPUTE_PGM_RSRC2:TRAP_HANDLER: 0
; COMPUTE_PGM_RSRC2:TGID_X_EN: 1
; COMPUTE_PGM_RSRC2:TGID_Y_EN: 1
; COMPUTE_PGM_RSRC2:TGID_Z_EN: 0
; COMPUTE_PGM_RSRC2:TIDIG_COMP_CNT: 0
	.section	.text._ZN9rocsolver6v33100L21larft_kernel_backwardIfPfEEv15rocblas_storev_iiT0_iilPT_lS6_il,"axG",@progbits,_ZN9rocsolver6v33100L21larft_kernel_backwardIfPfEEv15rocblas_storev_iiT0_iilPT_lS6_il,comdat
	.globl	_ZN9rocsolver6v33100L21larft_kernel_backwardIfPfEEv15rocblas_storev_iiT0_iilPT_lS6_il ; -- Begin function _ZN9rocsolver6v33100L21larft_kernel_backwardIfPfEEv15rocblas_storev_iiT0_iilPT_lS6_il
	.p2align	8
	.type	_ZN9rocsolver6v33100L21larft_kernel_backwardIfPfEEv15rocblas_storev_iiT0_iilPT_lS6_il,@function
_ZN9rocsolver6v33100L21larft_kernel_backwardIfPfEEv15rocblas_storev_iiT0_iilPT_lS6_il: ; @_ZN9rocsolver6v33100L21larft_kernel_backwardIfPfEEv15rocblas_storev_iiT0_iilPT_lS6_il
; %bb.0:
	s_clause 0x4
	s_load_b64 s[20:21], s[0:1], 0x48
	s_load_b128 s[16:19], s[0:1], 0x0
	s_load_b32 s13, s[0:1], 0x5c
	s_load_b256 s[4:11], s[0:1], 0x20
	s_load_b32 s3, s[0:1], 0x40
	s_ashr_i32 s12, s15, 31
	v_add_nc_u32_e32 v6, 1, v0
	v_lshlrev_b32_e32 v7, 2, v0
	s_waitcnt lgkmcnt(0)
	s_mul_i32 s2, s15, s21
	s_mul_hi_u32 s14, s15, s20
	s_mul_i32 s19, s12, s20
	s_add_i32 s2, s14, s2
	s_mul_i32 s20, s15, s20
	s_add_i32 s21, s2, s19
	v_cmp_gt_i32_e64 s2, s18, v0
	s_lshl_b64 s[20:21], s[20:21], 2
	s_and_b32 s14, s13, 0xffff
	s_add_u32 s19, s10, s20
	s_addc_u32 s24, s11, s21
	s_and_saveexec_b32 s10, s2
	s_cbranch_execz .LBB51_5
; %bb.1:
	s_lshl_b32 s11, s18, 2
	v_add_nc_u32_e32 v3, 1, v0
	v_add3_u32 v4, 0, s11, v7
	v_mov_b32_e32 v5, v0
	s_mov_b32 s13, 0
	s_lshl_b32 s20, s14, 2
	.p2align	6
.LBB51_2:                               ; =>This Loop Header: Depth=1
                                        ;     Child Loop BB51_3 Depth 2
	s_delay_alu instid0(VALU_DEP_1)
	v_dual_mov_b32 v1, v5 :: v_dual_mov_b32 v8, v4
	s_mov_b32 s21, 0
	s_mov_b32 s22, 0
	.p2align	6
.LBB51_3:                               ;   Parent Loop BB51_2 Depth=1
                                        ; =>  This Inner Loop Header: Depth=2
	s_delay_alu instid0(VALU_DEP_1) | instskip(SKIP_1) | instid1(VALU_DEP_1)
	v_ashrrev_i32_e32 v2, 31, v1
	s_add_i32 s22, s22, 1
	v_lshlrev_b64 v[9:10], 2, v[1:2]
	v_add_nc_u32_e32 v1, s3, v1
	s_delay_alu instid0(VALU_DEP_2) | instskip(NEXT) | instid1(VALU_DEP_3)
	v_add_co_u32 v9, vcc_lo, s19, v9
	v_add_co_ci_u32_e32 v10, vcc_lo, s24, v10, vcc_lo
	v_cmp_eq_u32_e32 vcc_lo, s22, v3
	global_load_b32 v2, v[9:10], off
	s_or_b32 s21, vcc_lo, s21
	s_waitcnt vmcnt(0)
	ds_store_b32 v8, v2
	v_add_nc_u32_e32 v8, s11, v8
	s_and_not1_b32 exec_lo, exec_lo, s21
	s_cbranch_execnz .LBB51_3
; %bb.4:                                ;   in Loop: Header=BB51_2 Depth=1
	s_or_b32 exec_lo, exec_lo, s21
	v_add_nc_u32_e32 v5, s14, v5
	v_add_nc_u32_e32 v3, s14, v3
	;; [unrolled: 1-line block ×3, first 2 shown]
	s_delay_alu instid0(VALU_DEP_3) | instskip(SKIP_1) | instid1(SALU_CYCLE_1)
	v_cmp_le_i32_e32 vcc_lo, s18, v5
	s_or_b32 s13, vcc_lo, s13
	s_and_not1_b32 exec_lo, exec_lo, s13
	s_cbranch_execnz .LBB51_2
.LBB51_5:
	s_or_b32 exec_lo, exec_lo, s10
	s_cmp_lt_i32 s18, 2
	s_waitcnt lgkmcnt(0)
	s_barrier
	buffer_gl0_inv
	s_cbranch_scc1 .LBB51_30
; %bb.6:
	s_load_b128 s[20:23], s[0:1], 0x10
	s_mul_i32 s1, s15, s9
	s_mul_hi_u32 s9, s15, s8
	s_mul_i32 s10, s12, s8
	s_add_i32 s1, s9, s1
	s_mul_i32 s0, s15, s8
	s_add_i32 s1, s1, s10
	s_mul_i32 s10, s5, s15
	s_lshl_b64 s[0:1], s[0:1], 2
	s_mul_i32 s8, s4, s12
	s_mul_hi_u32 s9, s4, s15
	s_waitcnt lgkmcnt(0)
	s_ashr_i32 s5, s22, 31
	s_add_u32 s25, s6, s0
	s_addc_u32 s26, s7, s1
	s_lshl_b32 s27, s18, 2
	s_add_i32 s6, s18, -2
	s_sub_i32 s17, s17, s18
	s_add_i32 s28, s27, 0
	s_cmpk_lg_i32 s16, 0xb5
	s_mul_i32 s0, s4, s15
	s_cselect_b32 s15, -1, 0
	s_add_i32 s1, s9, s8
	s_mov_b32 s4, s22
	s_add_i32 s1, s1, s10
	s_lshl_b64 s[4:5], s[4:5], 2
	s_lshl_b64 s[0:1], s[0:1], 2
	s_mov_b32 s7, 0
	s_add_u32 s8, s0, s4
	s_addc_u32 s9, s1, s5
	s_lshl_b64 s[0:1], s[6:7], 2
	s_mov_b32 s4, s23
	s_add_u32 s5, s8, s0
	s_addc_u32 s10, s9, s1
	s_add_u32 s16, s20, s5
	s_addc_u32 s22, s21, s10
	s_ashr_i32 s5, s23, 31
	v_mul_lo_u32 v8, v0, s23
	s_lshl_b64 s[4:5], s[4:5], 2
	s_add_u32 s20, s20, s8
	s_addc_u32 s21, s21, s9
	s_add_u32 s0, s20, s0
	s_addc_u32 s1, s21, s1
	v_add_co_u32 v1, s0, s0, v7
	s_add_i32 s9, s27, 4
	v_add_co_ci_u32_e64 v2, null, s1, 0, s0
	s_mul_i32 s0, s18, s9
	s_delay_alu instid0(VALU_DEP_2) | instskip(SKIP_1) | instid1(VALU_DEP_2)
	v_add_co_u32 v1, vcc_lo, v1, 4
	s_add_i32 s0, s0, 0
	v_add_co_ci_u32_e32 v2, vcc_lo, 0, v2, vcc_lo
	v_add3_u32 v9, s0, v7, -4
	s_add_i32 s8, s18, -1
	s_lshl_b32 s29, s14, 2
	s_mul_i32 s8, s23, s8
	s_mul_i32 s30, s23, s14
	;; [unrolled: 1-line block ×3, first 2 shown]
	s_xor_b32 s31, s27, -4
	s_branch .LBB51_8
.LBB51_7:                               ;   in Loop: Header=BB51_8 Depth=1
	s_or_b32 exec_lo, exec_lo, s0
	v_add_co_u32 v1, vcc_lo, v1, -4
	s_add_i32 s0, s6, -1
	v_add_co_ci_u32_e32 v2, vcc_lo, -1, v2, vcc_lo
	v_add_nc_u32_e32 v9, s31, v9
	s_add_u32 s16, s16, -4
	s_addc_u32 s22, s22, -1
	s_sub_i32 s8, s8, s23
	s_sub_i32 s10, s10, s23
	s_cmp_lt_i32 s6, 1
	s_mov_b32 s6, s0
	s_waitcnt lgkmcnt(0)
	s_barrier
	buffer_gl0_inv
	s_cbranch_scc1 .LBB51_30
.LBB51_8:                               ; =>This Loop Header: Depth=1
                                        ;     Child Loop BB51_12 Depth 2
                                        ;       Child Loop BB51_14 Depth 3
                                        ;     Child Loop BB51_21 Depth 2
                                        ;       Child Loop BB51_23 Depth 3
	;; [unrolled: 2-line block ×3, first 2 shown]
	s_not_b32 s33, s6
	s_lshl_b32 s0, s6, 2
	s_mul_i32 s1, s6, s18
	s_add_i32 s33, s33, s18
	s_add_i32 s34, s28, s0
	s_lshl_b32 s0, s1, 2
	s_add_i32 s35, s6, s17
	s_add_i32 s34, s34, s0
	v_cmp_gt_i32_e64 s0, s33, v0
	s_and_b32 vcc_lo, exec_lo, s15
	s_mov_b32 s1, -1
	s_cbranch_vccz .LBB51_16
; %bb.9:                                ;   in Loop: Header=BB51_8 Depth=1
	s_delay_alu instid0(VALU_DEP_1)
	s_and_saveexec_b32 s9, s0
	s_cbranch_execz .LBB51_15
; %bb.10:                               ;   in Loop: Header=BB51_8 Depth=1
	s_cmp_gt_i32 s35, 0
	v_dual_mov_b32 v4, v2 :: v_dual_mov_b32 v3, v1
	s_cselect_b32 s11, -1, 0
	s_lshl_b64 s[0:1], s[6:7], 2
	v_mov_b32_e32 v5, v0
	s_add_u32 s0, s25, s0
	s_addc_u32 s1, s26, s1
	s_mov_b32 s13, 0
	s_load_b32 s12, s[0:1], 0x0
	s_add_i32 s36, s34, 4
	s_set_inst_prefetch_distance 0x1
	s_branch .LBB51_12
	.p2align	6
.LBB51_11:                              ;   in Loop: Header=BB51_12 Depth=2
	v_lshlrev_b32_e32 v11, 2, v5
	v_add_nc_u32_e32 v5, s14, v5
	v_add_co_u32 v3, s0, v3, s29
	s_delay_alu instid0(VALU_DEP_1) | instskip(NEXT) | instid1(VALU_DEP_4)
	v_add_co_ci_u32_e64 v4, s0, 0, v4, s0
	v_add_nc_u32_e32 v12, s36, v11
	s_delay_alu instid0(VALU_DEP_4)
	v_cmp_le_i32_e32 vcc_lo, s33, v5
	ds_load_b32 v12, v12
	s_or_b32 s13, vcc_lo, s13
	s_waitcnt lgkmcnt(0)
	v_dual_fmac_f32 v12, s12, v10 :: v_dual_add_nc_u32 v11, 0, v11
	ds_store_b32 v11, v12
	s_and_not1_b32 exec_lo, exec_lo, s13
	s_cbranch_execz .LBB51_15
.LBB51_12:                              ;   Parent Loop BB51_8 Depth=1
                                        ; =>  This Loop Header: Depth=2
                                        ;       Child Loop BB51_14 Depth 3
	v_mov_b32_e32 v10, 0
	s_and_not1_b32 vcc_lo, exec_lo, s11
	s_cbranch_vccnz .LBB51_11
; %bb.13:                               ;   in Loop: Header=BB51_12 Depth=2
	s_mov_b32 s37, 0
	s_mov_b64 s[0:1], 0
.LBB51_14:                              ;   Parent Loop BB51_8 Depth=1
                                        ;     Parent Loop BB51_12 Depth=2
                                        ; =>    This Inner Loop Header: Depth=3
	s_delay_alu instid0(SALU_CYCLE_1)
	v_add_co_u32 v11, vcc_lo, v3, s0
	v_add_co_ci_u32_e32 v12, vcc_lo, s1, v4, vcc_lo
	s_add_u32 s38, s16, s0
	s_addc_u32 s39, s22, s1
	s_add_i32 s37, s37, 1
	global_load_b32 v11, v[11:12], off
	s_load_b32 s38, s[38:39], 0x0
	s_add_u32 s0, s0, s4
	s_addc_u32 s1, s1, s5
	s_cmp_ge_i32 s37, s35
	s_waitcnt vmcnt(0) lgkmcnt(0)
	v_fmac_f32_e32 v10, s38, v11
	s_cbranch_scc0 .LBB51_14
	s_branch .LBB51_11
.LBB51_15:                              ;   in Loop: Header=BB51_8 Depth=1
	s_set_inst_prefetch_distance 0x2
	s_or_b32 exec_lo, exec_lo, s9
	s_mov_b32 s1, 0
.LBB51_16:                              ;   in Loop: Header=BB51_8 Depth=1
	s_delay_alu instid0(SALU_CYCLE_1)
	s_and_not1_b32 vcc_lo, exec_lo, s1
	s_cbranch_vccnz .LBB51_25
; %bb.17:                               ;   in Loop: Header=BB51_8 Depth=1
	s_mov_b32 s36, exec_lo
	v_cmpx_gt_i32_e64 s33, v0
	s_cbranch_execz .LBB51_24
; %bb.18:                               ;   in Loop: Header=BB51_8 Depth=1
	s_ashr_i32 s11, s10, 31
	s_ashr_i32 s9, s8, 31
	s_lshl_b64 s[0:1], s[10:11], 2
	s_lshl_b64 s[12:13], s[8:9], 2
	s_add_u32 s0, s20, s0
	s_addc_u32 s1, s21, s1
	s_cmp_gt_i32 s35, 0
	v_mov_b32_e32 v3, v8
	s_cselect_b32 s9, -1, 0
	s_lshl_b64 s[38:39], s[6:7], 2
	v_mov_b32_e32 v10, v0
	s_add_u32 s38, s25, s38
	s_addc_u32 s39, s26, s39
	s_mov_b32 s37, 0
	s_load_b32 s11, s[38:39], 0x0
	s_add_i32 s38, s34, 4
	s_add_u32 s39, s20, s12
	s_addc_u32 s40, s21, s13
	s_set_inst_prefetch_distance 0x1
	s_branch .LBB51_21
	.p2align	6
.LBB51_19:                              ;   in Loop: Header=BB51_21 Depth=2
	v_mov_b32_e32 v11, 0
.LBB51_20:                              ;   in Loop: Header=BB51_21 Depth=2
	v_lshlrev_b32_e32 v4, 2, v10
	v_add_nc_u32_e32 v10, s14, v10
	v_add_nc_u32_e32 v3, s30, v3
	s_delay_alu instid0(VALU_DEP_3) | instskip(NEXT) | instid1(VALU_DEP_3)
	v_add_nc_u32_e32 v5, s38, v4
	v_cmp_le_i32_e32 vcc_lo, s33, v10
	ds_load_b32 v5, v5
	s_or_b32 s37, vcc_lo, s37
	s_waitcnt lgkmcnt(0)
	v_dual_fmac_f32 v5, s11, v11 :: v_dual_add_nc_u32 v4, 0, v4
	ds_store_b32 v4, v5
	s_and_not1_b32 exec_lo, exec_lo, s37
	s_cbranch_execz .LBB51_24
.LBB51_21:                              ;   Parent Loop BB51_8 Depth=1
                                        ; =>  This Loop Header: Depth=2
                                        ;       Child Loop BB51_23 Depth 3
	s_and_not1_b32 vcc_lo, exec_lo, s9
	s_cbranch_vccnz .LBB51_19
; %bb.22:                               ;   in Loop: Header=BB51_21 Depth=2
	v_ashrrev_i32_e32 v4, 31, v3
	v_mov_b32_e32 v11, 0
	s_mov_b32 s41, 0
	s_mov_b64 s[12:13], s[0:1]
	s_delay_alu instid0(VALU_DEP_2) | instskip(NEXT) | instid1(VALU_DEP_1)
	v_lshlrev_b64 v[4:5], 2, v[3:4]
	v_add_co_u32 v4, vcc_lo, s39, v4
	s_delay_alu instid0(VALU_DEP_2)
	v_add_co_ci_u32_e32 v5, vcc_lo, s40, v5, vcc_lo
.LBB51_23:                              ;   Parent Loop BB51_8 Depth=1
                                        ;     Parent Loop BB51_21 Depth=2
                                        ; =>    This Inner Loop Header: Depth=3
	global_load_b32 v12, v[4:5], off
	s_load_b32 s42, s[12:13], 0x0
	v_add_co_u32 v4, vcc_lo, v4, 4
	s_add_i32 s41, s41, 1
	v_add_co_ci_u32_e32 v5, vcc_lo, 0, v5, vcc_lo
	s_add_u32 s12, s12, 4
	s_addc_u32 s13, s13, 0
	s_cmp_ge_i32 s41, s35
	s_waitcnt vmcnt(0) lgkmcnt(0)
	v_fmac_f32_e32 v11, s42, v12
	s_cbranch_scc0 .LBB51_23
	s_branch .LBB51_20
.LBB51_24:                              ;   in Loop: Header=BB51_8 Depth=1
	s_set_inst_prefetch_distance 0x2
	s_or_b32 exec_lo, exec_lo, s36
.LBB51_25:                              ;   in Loop: Header=BB51_8 Depth=1
	s_delay_alu instid0(SALU_CYCLE_1)
	s_mov_b32 s0, exec_lo
	s_waitcnt lgkmcnt(0)
	s_barrier
	buffer_gl0_inv
	v_cmpx_gt_i32_e64 s33, v0
	s_cbranch_execz .LBB51_7
; %bb.26:                               ;   in Loop: Header=BB51_8 Depth=1
	v_dual_mov_b32 v3, v9 :: v_dual_mov_b32 v4, v0
	s_add_i32 s34, s34, 4
	s_mov_b32 s1, 0
	.p2align	6
.LBB51_27:                              ;   Parent Loop BB51_8 Depth=1
                                        ; =>  This Loop Header: Depth=2
                                        ;       Child Loop BB51_28 Depth 3
	s_delay_alu instid0(VALU_DEP_1)
	v_dual_mov_b32 v5, 0 :: v_dual_mov_b32 v10, v3
	s_mov_b32 s11, -1
	s_mov_b32 s9, 0
	s_mov_b32 s12, 0
.LBB51_28:                              ;   Parent Loop BB51_8 Depth=1
                                        ;     Parent Loop BB51_27 Depth=2
                                        ; =>    This Inner Loop Header: Depth=3
	s_delay_alu instid0(SALU_CYCLE_1)
	v_mov_b32_e32 v11, s12
	s_add_i32 s11, s11, 1
	s_add_i32 s12, s12, 4
	v_cmp_eq_u32_e32 vcc_lo, s11, v4
	ds_load_b32 v12, v10
	ds_load_b32 v11, v11
	v_add_nc_u32_e32 v10, s27, v10
	s_or_b32 s9, vcc_lo, s9
	s_waitcnt lgkmcnt(0)
	v_fmac_f32_e32 v5, v12, v11
	s_and_not1_b32 exec_lo, exec_lo, s9
	s_cbranch_execnz .LBB51_28
; %bb.29:                               ;   in Loop: Header=BB51_27 Depth=2
	s_or_b32 exec_lo, exec_lo, s9
	v_lshl_add_u32 v10, v4, 2, s34
	v_add_nc_u32_e32 v4, s14, v4
	v_add_nc_u32_e32 v3, s29, v3
	ds_store_b32 v10, v5
	v_cmp_le_i32_e32 vcc_lo, s33, v4
	s_or_b32 s1, vcc_lo, s1
	s_delay_alu instid0(SALU_CYCLE_1)
	s_and_not1_b32 exec_lo, exec_lo, s1
	s_cbranch_execnz .LBB51_27
	s_branch .LBB51_7
.LBB51_30:
	s_and_saveexec_b32 s0, s2
	s_cbranch_execz .LBB51_35
; %bb.31:
	s_lshl_b32 s1, s18, 2
	s_mov_b32 s2, 0
	v_add3_u32 v3, 0, s1, v7
	s_lshl_b32 s4, s14, 2
	.p2align	6
.LBB51_32:                              ; =>This Loop Header: Depth=1
                                        ;     Child Loop BB51_33 Depth 2
	s_delay_alu instid0(VALU_DEP_1)
	v_dual_mov_b32 v4, v3 :: v_dual_mov_b32 v1, v0
	s_mov_b32 s5, 0
	s_mov_b32 s6, 0
	.p2align	6
.LBB51_33:                              ;   Parent Loop BB51_32 Depth=1
                                        ; =>  This Inner Loop Header: Depth=2
	ds_load_b32 v5, v4
	v_ashrrev_i32_e32 v2, 31, v1
	s_add_i32 s6, s6, 1
	v_add_nc_u32_e32 v4, s1, v4
	v_cmp_eq_u32_e32 vcc_lo, s6, v6
	s_delay_alu instid0(VALU_DEP_3) | instskip(SKIP_2) | instid1(VALU_DEP_2)
	v_lshlrev_b64 v[7:8], 2, v[1:2]
	v_add_nc_u32_e32 v1, s3, v1
	s_or_b32 s5, vcc_lo, s5
	v_add_co_u32 v7, s0, s19, v7
	s_delay_alu instid0(VALU_DEP_1)
	v_add_co_ci_u32_e64 v8, s0, s24, v8, s0
	s_waitcnt lgkmcnt(0)
	global_store_b32 v[7:8], v5, off
	s_and_not1_b32 exec_lo, exec_lo, s5
	s_cbranch_execnz .LBB51_33
; %bb.34:                               ;   in Loop: Header=BB51_32 Depth=1
	s_or_b32 exec_lo, exec_lo, s5
	v_add_nc_u32_e32 v0, s14, v0
	v_add_nc_u32_e32 v6, s14, v6
	;; [unrolled: 1-line block ×3, first 2 shown]
	s_delay_alu instid0(VALU_DEP_3) | instskip(SKIP_1) | instid1(SALU_CYCLE_1)
	v_cmp_le_i32_e32 vcc_lo, s18, v0
	s_or_b32 s2, vcc_lo, s2
	s_and_not1_b32 exec_lo, exec_lo, s2
	s_cbranch_execnz .LBB51_32
.LBB51_35:
	s_nop 0
	s_sendmsg sendmsg(MSG_DEALLOC_VGPRS)
	s_endpgm
	.section	.rodata,"a",@progbits
	.p2align	6, 0x0
	.amdhsa_kernel _ZN9rocsolver6v33100L21larft_kernel_backwardIfPfEEv15rocblas_storev_iiT0_iilPT_lS6_il
		.amdhsa_group_segment_fixed_size 0
		.amdhsa_private_segment_fixed_size 0
		.amdhsa_kernarg_size 336
		.amdhsa_user_sgpr_count 14
		.amdhsa_user_sgpr_dispatch_ptr 0
		.amdhsa_user_sgpr_queue_ptr 0
		.amdhsa_user_sgpr_kernarg_segment_ptr 1
		.amdhsa_user_sgpr_dispatch_id 0
		.amdhsa_user_sgpr_private_segment_size 0
		.amdhsa_wavefront_size32 1
		.amdhsa_uses_dynamic_stack 0
		.amdhsa_enable_private_segment 0
		.amdhsa_system_sgpr_workgroup_id_x 1
		.amdhsa_system_sgpr_workgroup_id_y 1
		.amdhsa_system_sgpr_workgroup_id_z 0
		.amdhsa_system_sgpr_workgroup_info 0
		.amdhsa_system_vgpr_workitem_id 0
		.amdhsa_next_free_vgpr 13
		.amdhsa_next_free_sgpr 43
		.amdhsa_reserve_vcc 1
		.amdhsa_float_round_mode_32 0
		.amdhsa_float_round_mode_16_64 0
		.amdhsa_float_denorm_mode_32 3
		.amdhsa_float_denorm_mode_16_64 3
		.amdhsa_dx10_clamp 1
		.amdhsa_ieee_mode 1
		.amdhsa_fp16_overflow 0
		.amdhsa_workgroup_processor_mode 1
		.amdhsa_memory_ordered 1
		.amdhsa_forward_progress 0
		.amdhsa_shared_vgpr_count 0
		.amdhsa_exception_fp_ieee_invalid_op 0
		.amdhsa_exception_fp_denorm_src 0
		.amdhsa_exception_fp_ieee_div_zero 0
		.amdhsa_exception_fp_ieee_overflow 0
		.amdhsa_exception_fp_ieee_underflow 0
		.amdhsa_exception_fp_ieee_inexact 0
		.amdhsa_exception_int_div_zero 0
	.end_amdhsa_kernel
	.section	.text._ZN9rocsolver6v33100L21larft_kernel_backwardIfPfEEv15rocblas_storev_iiT0_iilPT_lS6_il,"axG",@progbits,_ZN9rocsolver6v33100L21larft_kernel_backwardIfPfEEv15rocblas_storev_iiT0_iilPT_lS6_il,comdat
.Lfunc_end51:
	.size	_ZN9rocsolver6v33100L21larft_kernel_backwardIfPfEEv15rocblas_storev_iiT0_iilPT_lS6_il, .Lfunc_end51-_ZN9rocsolver6v33100L21larft_kernel_backwardIfPfEEv15rocblas_storev_iiT0_iilPT_lS6_il
                                        ; -- End function
	.section	.AMDGPU.csdata,"",@progbits
; Kernel info:
; codeLenInByte = 1612
; NumSgprs: 45
; NumVgprs: 13
; ScratchSize: 0
; MemoryBound: 0
; FloatMode: 240
; IeeeMode: 1
; LDSByteSize: 0 bytes/workgroup (compile time only)
; SGPRBlocks: 5
; VGPRBlocks: 1
; NumSGPRsForWavesPerEU: 45
; NumVGPRsForWavesPerEU: 13
; Occupancy: 16
; WaveLimiterHint : 0
; COMPUTE_PGM_RSRC2:SCRATCH_EN: 0
; COMPUTE_PGM_RSRC2:USER_SGPR: 14
; COMPUTE_PGM_RSRC2:TRAP_HANDLER: 0
; COMPUTE_PGM_RSRC2:TGID_X_EN: 1
; COMPUTE_PGM_RSRC2:TGID_Y_EN: 1
; COMPUTE_PGM_RSRC2:TGID_Z_EN: 0
; COMPUTE_PGM_RSRC2:TIDIG_COMP_CNT: 0
	.section	.text._ZN9rocsolver6v33100L9copymatA1IfPfEEviiT0_iilPT_,"axG",@progbits,_ZN9rocsolver6v33100L9copymatA1IfPfEEviiT0_iilPT_,comdat
	.globl	_ZN9rocsolver6v33100L9copymatA1IfPfEEviiT0_iilPT_ ; -- Begin function _ZN9rocsolver6v33100L9copymatA1IfPfEEviiT0_iilPT_
	.p2align	8
	.type	_ZN9rocsolver6v33100L9copymatA1IfPfEEviiT0_iilPT_,@function
_ZN9rocsolver6v33100L9copymatA1IfPfEEviiT0_iilPT_: ; @_ZN9rocsolver6v33100L9copymatA1IfPfEEviiT0_iilPT_
; %bb.0:
	s_clause 0x1
	s_load_b32 s2, s[0:1], 0x34
	s_load_b64 s[8:9], s[0:1], 0x0
	v_bfe_u32 v2, v0, 10, 10
	v_and_b32_e32 v3, 0x3ff, v0
	s_waitcnt lgkmcnt(0)
	s_lshr_b32 s3, s2, 16
	s_and_b32 s2, s2, 0xffff
	s_delay_alu instid0(VALU_DEP_1) | instskip(SKIP_1) | instid1(VALU_DEP_2)
	v_mad_u64_u32 v[0:1], null, s14, s3, v[2:3]
	v_mad_u64_u32 v[1:2], null, s13, s2, v[3:4]
	v_cmp_gt_u32_e32 vcc_lo, s8, v0
	s_delay_alu instid0(VALU_DEP_2) | instskip(NEXT) | instid1(VALU_DEP_1)
	v_cmp_gt_u32_e64 s2, s9, v1
	s_and_b32 s2, s2, vcc_lo
	s_delay_alu instid0(SALU_CYCLE_1)
	s_and_saveexec_b32 s3, s2
	s_cbranch_execz .LBB52_2
; %bb.1:
	s_load_b256 s[0:7], s[0:1], 0x8
	s_ashr_i32 s10, s8, 31
	s_ashr_i32 s11, s9, 31
	s_mul_hi_u32 s12, s8, s15
	s_mul_i32 s13, s8, s15
	s_mul_i32 s10, s10, s15
	;; [unrolled: 1-line block ×3, first 2 shown]
	s_mul_hi_u32 s14, s13, s9
	s_add_i32 s10, s12, s10
	s_add_i32 s11, s14, s11
	s_mul_i32 s12, s10, s9
	s_mul_i32 s10, s13, s9
	s_add_i32 s11, s11, s12
	s_delay_alu instid0(SALU_CYCLE_1)
	s_lshl_b64 s[10:11], s[10:11], 2
	s_waitcnt lgkmcnt(0)
	v_mad_u64_u32 v[2:3], null, v1, s3, v[0:1]
	s_add_u32 s9, s6, s10
	s_mul_i32 s5, s15, s5
	s_mul_hi_u32 s10, s15, s4
	v_mov_b32_e32 v3, 0
	s_mul_i32 s4, s15, s4
	s_addc_u32 s3, s7, s11
	s_add_i32 s5, s10, s5
	s_mov_b32 s6, s2
	s_lshl_b64 s[4:5], s[4:5], 2
	s_ashr_i32 s7, s2, 31
	v_lshlrev_b64 v[4:5], 2, v[2:3]
	s_add_u32 s2, s0, s4
	s_addc_u32 s4, s1, s5
	s_lshl_b64 s[0:1], s[6:7], 2
	s_delay_alu instid0(SALU_CYCLE_1)
	s_add_u32 s0, s2, s0
	s_addc_u32 s1, s4, s1
	v_add_co_u32 v4, vcc_lo, s0, v4
	v_add_co_ci_u32_e32 v5, vcc_lo, s1, v5, vcc_lo
	global_load_b32 v2, v[4:5], off
	v_mad_u64_u32 v[4:5], null, v1, s8, v[0:1]
	v_mov_b32_e32 v5, v3
	s_delay_alu instid0(VALU_DEP_1) | instskip(NEXT) | instid1(VALU_DEP_1)
	v_lshlrev_b64 v[0:1], 2, v[4:5]
	v_add_co_u32 v0, vcc_lo, s9, v0
	s_delay_alu instid0(VALU_DEP_2)
	v_add_co_ci_u32_e32 v1, vcc_lo, s3, v1, vcc_lo
	s_waitcnt vmcnt(0)
	global_store_b32 v[0:1], v2, off
.LBB52_2:
	s_nop 0
	s_sendmsg sendmsg(MSG_DEALLOC_VGPRS)
	s_endpgm
	.section	.rodata,"a",@progbits
	.p2align	6, 0x0
	.amdhsa_kernel _ZN9rocsolver6v33100L9copymatA1IfPfEEviiT0_iilPT_
		.amdhsa_group_segment_fixed_size 0
		.amdhsa_private_segment_fixed_size 0
		.amdhsa_kernarg_size 296
		.amdhsa_user_sgpr_count 13
		.amdhsa_user_sgpr_dispatch_ptr 0
		.amdhsa_user_sgpr_queue_ptr 0
		.amdhsa_user_sgpr_kernarg_segment_ptr 1
		.amdhsa_user_sgpr_dispatch_id 0
		.amdhsa_user_sgpr_private_segment_size 0
		.amdhsa_wavefront_size32 1
		.amdhsa_uses_dynamic_stack 0
		.amdhsa_enable_private_segment 0
		.amdhsa_system_sgpr_workgroup_id_x 1
		.amdhsa_system_sgpr_workgroup_id_y 1
		.amdhsa_system_sgpr_workgroup_id_z 1
		.amdhsa_system_sgpr_workgroup_info 0
		.amdhsa_system_vgpr_workitem_id 1
		.amdhsa_next_free_vgpr 6
		.amdhsa_next_free_sgpr 16
		.amdhsa_reserve_vcc 1
		.amdhsa_float_round_mode_32 0
		.amdhsa_float_round_mode_16_64 0
		.amdhsa_float_denorm_mode_32 3
		.amdhsa_float_denorm_mode_16_64 3
		.amdhsa_dx10_clamp 1
		.amdhsa_ieee_mode 1
		.amdhsa_fp16_overflow 0
		.amdhsa_workgroup_processor_mode 1
		.amdhsa_memory_ordered 1
		.amdhsa_forward_progress 0
		.amdhsa_shared_vgpr_count 0
		.amdhsa_exception_fp_ieee_invalid_op 0
		.amdhsa_exception_fp_denorm_src 0
		.amdhsa_exception_fp_ieee_div_zero 0
		.amdhsa_exception_fp_ieee_overflow 0
		.amdhsa_exception_fp_ieee_underflow 0
		.amdhsa_exception_fp_ieee_inexact 0
		.amdhsa_exception_int_div_zero 0
	.end_amdhsa_kernel
	.section	.text._ZN9rocsolver6v33100L9copymatA1IfPfEEviiT0_iilPT_,"axG",@progbits,_ZN9rocsolver6v33100L9copymatA1IfPfEEviiT0_iilPT_,comdat
.Lfunc_end52:
	.size	_ZN9rocsolver6v33100L9copymatA1IfPfEEviiT0_iilPT_, .Lfunc_end52-_ZN9rocsolver6v33100L9copymatA1IfPfEEviiT0_iilPT_
                                        ; -- End function
	.section	.AMDGPU.csdata,"",@progbits
; Kernel info:
; codeLenInByte = 336
; NumSgprs: 18
; NumVgprs: 6
; ScratchSize: 0
; MemoryBound: 0
; FloatMode: 240
; IeeeMode: 1
; LDSByteSize: 0 bytes/workgroup (compile time only)
; SGPRBlocks: 2
; VGPRBlocks: 0
; NumSGPRsForWavesPerEU: 18
; NumVGPRsForWavesPerEU: 6
; Occupancy: 16
; WaveLimiterHint : 0
; COMPUTE_PGM_RSRC2:SCRATCH_EN: 0
; COMPUTE_PGM_RSRC2:USER_SGPR: 13
; COMPUTE_PGM_RSRC2:TRAP_HANDLER: 0
; COMPUTE_PGM_RSRC2:TGID_X_EN: 1
; COMPUTE_PGM_RSRC2:TGID_Y_EN: 1
; COMPUTE_PGM_RSRC2:TGID_Z_EN: 1
; COMPUTE_PGM_RSRC2:TIDIG_COMP_CNT: 1
	.section	.text._ZN9rocsolver6v33100L8addmatA1IfPfEEviiT0_iilPT_,"axG",@progbits,_ZN9rocsolver6v33100L8addmatA1IfPfEEviiT0_iilPT_,comdat
	.globl	_ZN9rocsolver6v33100L8addmatA1IfPfEEviiT0_iilPT_ ; -- Begin function _ZN9rocsolver6v33100L8addmatA1IfPfEEviiT0_iilPT_
	.p2align	8
	.type	_ZN9rocsolver6v33100L8addmatA1IfPfEEviiT0_iilPT_,@function
_ZN9rocsolver6v33100L8addmatA1IfPfEEviiT0_iilPT_: ; @_ZN9rocsolver6v33100L8addmatA1IfPfEEviiT0_iilPT_
; %bb.0:
	s_clause 0x1
	s_load_b32 s2, s[0:1], 0x34
	s_load_b64 s[8:9], s[0:1], 0x0
	v_bfe_u32 v2, v0, 10, 10
	v_and_b32_e32 v3, 0x3ff, v0
	s_waitcnt lgkmcnt(0)
	s_lshr_b32 s3, s2, 16
	s_and_b32 s2, s2, 0xffff
	s_delay_alu instid0(VALU_DEP_1) | instskip(SKIP_1) | instid1(VALU_DEP_2)
	v_mad_u64_u32 v[0:1], null, s14, s3, v[2:3]
	v_mad_u64_u32 v[1:2], null, s13, s2, v[3:4]
	v_cmp_gt_u32_e32 vcc_lo, s8, v0
	s_delay_alu instid0(VALU_DEP_2) | instskip(NEXT) | instid1(VALU_DEP_1)
	v_cmp_gt_u32_e64 s2, s9, v1
	s_and_b32 s2, s2, vcc_lo
	s_delay_alu instid0(SALU_CYCLE_1)
	s_and_saveexec_b32 s3, s2
	s_cbranch_execz .LBB53_2
; %bb.1:
	s_load_b256 s[0:7], s[0:1], 0x8
	s_ashr_i32 s10, s8, 31
	s_ashr_i32 s11, s9, 31
	s_mul_hi_u32 s12, s8, s15
	s_mul_i32 s13, s8, s15
	s_mul_i32 s10, s10, s15
	;; [unrolled: 1-line block ×3, first 2 shown]
	s_mul_hi_u32 s14, s13, s9
	s_add_i32 s10, s12, s10
	s_add_i32 s11, s14, s11
	s_mul_i32 s12, s10, s9
	v_mad_u64_u32 v[2:3], null, v1, s8, v[0:1]
	v_mov_b32_e32 v3, 0
	s_mul_i32 s10, s13, s9
	s_add_i32 s11, s11, s12
	s_delay_alu instid0(SALU_CYCLE_1)
	s_lshl_b64 s[8:9], s[10:11], 2
	s_waitcnt lgkmcnt(0)
	v_mad_u64_u32 v[4:5], null, v1, s3, v[0:1]
	s_add_u32 s8, s6, s8
	s_mul_i32 s5, s15, s5
	s_mul_hi_u32 s6, s15, s4
	v_mov_b32_e32 v5, v3
	s_mul_i32 s4, s15, s4
	s_addc_u32 s9, s7, s9
	s_add_i32 s5, s6, s5
	v_lshlrev_b64 v[0:1], 2, v[2:3]
	s_lshl_b64 s[4:5], s[4:5], 2
	s_mov_b32 s6, s2
	s_ashr_i32 s7, s2, 31
	v_lshlrev_b64 v[2:3], 2, v[4:5]
	s_add_u32 s2, s0, s4
	s_addc_u32 s3, s1, s5
	s_lshl_b64 s[0:1], s[6:7], 2
	v_add_co_u32 v0, vcc_lo, s8, v0
	s_add_u32 s0, s2, s0
	v_add_co_ci_u32_e32 v1, vcc_lo, s9, v1, vcc_lo
	s_addc_u32 s1, s3, s1
	v_add_co_u32 v2, vcc_lo, s0, v2
	v_add_co_ci_u32_e32 v3, vcc_lo, s1, v3, vcc_lo
	global_load_b32 v0, v[0:1], off
	global_load_b32 v1, v[2:3], off
	s_waitcnt vmcnt(0)
	v_sub_f32_e32 v0, v1, v0
	global_store_b32 v[2:3], v0, off
.LBB53_2:
	s_nop 0
	s_sendmsg sendmsg(MSG_DEALLOC_VGPRS)
	s_endpgm
	.section	.rodata,"a",@progbits
	.p2align	6, 0x0
	.amdhsa_kernel _ZN9rocsolver6v33100L8addmatA1IfPfEEviiT0_iilPT_
		.amdhsa_group_segment_fixed_size 0
		.amdhsa_private_segment_fixed_size 0
		.amdhsa_kernarg_size 296
		.amdhsa_user_sgpr_count 13
		.amdhsa_user_sgpr_dispatch_ptr 0
		.amdhsa_user_sgpr_queue_ptr 0
		.amdhsa_user_sgpr_kernarg_segment_ptr 1
		.amdhsa_user_sgpr_dispatch_id 0
		.amdhsa_user_sgpr_private_segment_size 0
		.amdhsa_wavefront_size32 1
		.amdhsa_uses_dynamic_stack 0
		.amdhsa_enable_private_segment 0
		.amdhsa_system_sgpr_workgroup_id_x 1
		.amdhsa_system_sgpr_workgroup_id_y 1
		.amdhsa_system_sgpr_workgroup_id_z 1
		.amdhsa_system_sgpr_workgroup_info 0
		.amdhsa_system_vgpr_workitem_id 1
		.amdhsa_next_free_vgpr 6
		.amdhsa_next_free_sgpr 16
		.amdhsa_reserve_vcc 1
		.amdhsa_float_round_mode_32 0
		.amdhsa_float_round_mode_16_64 0
		.amdhsa_float_denorm_mode_32 3
		.amdhsa_float_denorm_mode_16_64 3
		.amdhsa_dx10_clamp 1
		.amdhsa_ieee_mode 1
		.amdhsa_fp16_overflow 0
		.amdhsa_workgroup_processor_mode 1
		.amdhsa_memory_ordered 1
		.amdhsa_forward_progress 0
		.amdhsa_shared_vgpr_count 0
		.amdhsa_exception_fp_ieee_invalid_op 0
		.amdhsa_exception_fp_denorm_src 0
		.amdhsa_exception_fp_ieee_div_zero 0
		.amdhsa_exception_fp_ieee_overflow 0
		.amdhsa_exception_fp_ieee_underflow 0
		.amdhsa_exception_fp_ieee_inexact 0
		.amdhsa_exception_int_div_zero 0
	.end_amdhsa_kernel
	.section	.text._ZN9rocsolver6v33100L8addmatA1IfPfEEviiT0_iilPT_,"axG",@progbits,_ZN9rocsolver6v33100L8addmatA1IfPfEEviiT0_iilPT_,comdat
.Lfunc_end53:
	.size	_ZN9rocsolver6v33100L8addmatA1IfPfEEviiT0_iilPT_, .Lfunc_end53-_ZN9rocsolver6v33100L8addmatA1IfPfEEviiT0_iilPT_
                                        ; -- End function
	.section	.AMDGPU.csdata,"",@progbits
; Kernel info:
; codeLenInByte = 336
; NumSgprs: 18
; NumVgprs: 6
; ScratchSize: 0
; MemoryBound: 0
; FloatMode: 240
; IeeeMode: 1
; LDSByteSize: 0 bytes/workgroup (compile time only)
; SGPRBlocks: 2
; VGPRBlocks: 0
; NumSGPRsForWavesPerEU: 18
; NumVGPRsForWavesPerEU: 6
; Occupancy: 16
; WaveLimiterHint : 0
; COMPUTE_PGM_RSRC2:SCRATCH_EN: 0
; COMPUTE_PGM_RSRC2:USER_SGPR: 13
; COMPUTE_PGM_RSRC2:TRAP_HANDLER: 0
; COMPUTE_PGM_RSRC2:TGID_X_EN: 1
; COMPUTE_PGM_RSRC2:TGID_Y_EN: 1
; COMPUTE_PGM_RSRC2:TGID_Z_EN: 1
; COMPUTE_PGM_RSRC2:TIDIG_COMP_CNT: 1
	.section	.text._ZN9rocsolver6v33100L8copy_matIfPfS2_NS0_7no_maskEEEviiT0_iilT1_iilT2_13rocblas_fill_17rocblas_diagonal_,"axG",@progbits,_ZN9rocsolver6v33100L8copy_matIfPfS2_NS0_7no_maskEEEviiT0_iilT1_iilT2_13rocblas_fill_17rocblas_diagonal_,comdat
	.globl	_ZN9rocsolver6v33100L8copy_matIfPfS2_NS0_7no_maskEEEviiT0_iilT1_iilT2_13rocblas_fill_17rocblas_diagonal_ ; -- Begin function _ZN9rocsolver6v33100L8copy_matIfPfS2_NS0_7no_maskEEEviiT0_iilT1_iilT2_13rocblas_fill_17rocblas_diagonal_
	.p2align	8
	.type	_ZN9rocsolver6v33100L8copy_matIfPfS2_NS0_7no_maskEEEviiT0_iilT1_iilT2_13rocblas_fill_17rocblas_diagonal_,@function
_ZN9rocsolver6v33100L8copy_matIfPfS2_NS0_7no_maskEEEviiT0_iilT1_iilT2_13rocblas_fill_17rocblas_diagonal_: ; @_ZN9rocsolver6v33100L8copy_matIfPfS2_NS0_7no_maskEEEviiT0_iilT1_iilT2_13rocblas_fill_17rocblas_diagonal_
; %bb.0:
	s_clause 0x1
	s_load_b32 s4, s[0:1], 0x54
	s_load_b64 s[2:3], s[0:1], 0x0
	v_and_b32_e32 v2, 0x3ff, v0
	v_bfe_u32 v3, v0, 10, 10
	s_waitcnt lgkmcnt(0)
	s_lshr_b32 s5, s4, 16
	s_and_b32 s4, s4, 0xffff
	s_delay_alu instid0(VALU_DEP_1) | instid1(SALU_CYCLE_1)
	v_mad_u64_u32 v[0:1], null, s13, s4, v[2:3]
	v_mad_u64_u32 v[1:2], null, s14, s5, v[3:4]
	s_delay_alu instid0(VALU_DEP_2) | instskip(NEXT) | instid1(VALU_DEP_2)
	v_cmp_gt_u32_e32 vcc_lo, s2, v0
	v_cmp_gt_u32_e64 s2, s3, v1
	s_delay_alu instid0(VALU_DEP_1) | instskip(NEXT) | instid1(SALU_CYCLE_1)
	s_and_b32 s2, s2, vcc_lo
	s_and_saveexec_b32 s3, s2
	s_cbranch_execz .LBB54_14
; %bb.1:
	s_load_b64 s[4:5], s[0:1], 0x3c
	s_waitcnt lgkmcnt(0)
	s_cmpk_lt_i32 s4, 0x7a
	s_cbranch_scc1 .LBB54_4
; %bb.2:
	s_cmpk_gt_i32 s4, 0x7a
	s_cbranch_scc0 .LBB54_5
; %bb.3:
	s_cmpk_lg_i32 s4, 0x7b
	s_mov_b32 s3, -1
	s_cselect_b32 s6, -1, 0
	s_cbranch_execz .LBB54_6
	s_branch .LBB54_7
.LBB54_4:
	s_mov_b32 s6, 0
	s_mov_b32 s3, 0
	s_cbranch_execnz .LBB54_8
	s_branch .LBB54_10
.LBB54_5:
	s_mov_b32 s3, 0
	s_mov_b32 s6, 0
.LBB54_6:
	v_cmp_gt_u32_e32 vcc_lo, v0, v1
	v_cmp_le_u32_e64 s2, v0, v1
	s_and_not1_b32 s3, s3, exec_lo
	s_and_not1_b32 s6, s6, exec_lo
	s_and_b32 s7, vcc_lo, exec_lo
	s_delay_alu instid0(VALU_DEP_1)
	s_and_b32 s2, s2, exec_lo
	s_or_b32 s3, s3, s7
	s_or_b32 s6, s6, s2
.LBB54_7:
	s_branch .LBB54_10
.LBB54_8:
	s_cmpk_eq_i32 s4, 0x79
	s_mov_b32 s6, -1
	s_cbranch_scc0 .LBB54_10
; %bb.9:
	v_cmp_gt_u32_e32 vcc_lo, v1, v0
	v_cmp_le_u32_e64 s2, v1, v0
	s_and_not1_b32 s3, s3, exec_lo
	s_and_b32 s4, vcc_lo, exec_lo
	s_delay_alu instid0(VALU_DEP_1)
	s_or_not1_b32 s6, s2, exec_lo
	s_or_b32 s3, s3, s4
.LBB54_10:
	s_and_saveexec_b32 s2, s6
; %bb.11:
	v_cmp_eq_u32_e32 vcc_lo, v0, v1
	s_cmpk_eq_i32 s5, 0x83
	s_cselect_b32 s4, -1, 0
	s_and_not1_b32 s3, s3, exec_lo
	s_and_b32 s4, s4, vcc_lo
	s_delay_alu instid0(SALU_CYCLE_1) | instskip(NEXT) | instid1(SALU_CYCLE_1)
	s_and_b32 s4, s4, exec_lo
	s_or_b32 s3, s3, s4
; %bb.12:
	s_or_b32 exec_lo, exec_lo, s2
	s_delay_alu instid0(SALU_CYCLE_1)
	s_and_b32 exec_lo, exec_lo, s3
	s_cbranch_execz .LBB54_14
; %bb.13:
	s_load_b256 s[4:11], s[0:1], 0x8
	s_waitcnt lgkmcnt(0)
	v_mad_u64_u32 v[2:3], null, v1, s7, v[0:1]
	s_mul_i32 s2, s15, s9
	s_mul_hi_u32 s9, s15, s8
	v_mov_b32_e32 v3, 0
	s_mul_i32 s8, s15, s8
	s_add_i32 s9, s9, s2
	s_ashr_i32 s3, s6, 31
	s_lshl_b64 s[8:9], s[8:9], 2
	s_mov_b32 s2, s6
	v_lshlrev_b64 v[4:5], 2, v[2:3]
	s_add_u32 s4, s4, s8
	s_addc_u32 s5, s5, s9
	s_lshl_b64 s[2:3], s[2:3], 2
	s_delay_alu instid0(SALU_CYCLE_1)
	s_add_u32 s2, s4, s2
	s_addc_u32 s3, s5, s3
	v_add_co_u32 v4, vcc_lo, s2, v4
	v_add_co_ci_u32_e32 v5, vcc_lo, s3, v5, vcc_lo
	s_load_b128 s[0:3], s[0:1], 0x28
	global_load_b32 v2, v[4:5], off
	s_waitcnt lgkmcnt(0)
	v_mad_u64_u32 v[4:5], null, v1, s1, v[0:1]
	s_mul_i32 s3, s15, s3
	s_mul_hi_u32 s4, s15, s2
	v_mov_b32_e32 v5, v3
	s_add_i32 s3, s4, s3
	s_mul_i32 s2, s15, s2
	s_ashr_i32 s5, s0, 31
	s_lshl_b64 s[2:3], s[2:3], 2
	s_mov_b32 s4, s0
	v_lshlrev_b64 v[0:1], 2, v[4:5]
	s_add_u32 s2, s10, s2
	s_addc_u32 s3, s11, s3
	s_lshl_b64 s[0:1], s[4:5], 2
	s_delay_alu instid0(SALU_CYCLE_1)
	s_add_u32 s0, s2, s0
	s_addc_u32 s1, s3, s1
	v_add_co_u32 v0, vcc_lo, s0, v0
	v_add_co_ci_u32_e32 v1, vcc_lo, s1, v1, vcc_lo
	s_waitcnt vmcnt(0)
	global_store_b32 v[0:1], v2, off
.LBB54_14:
	s_nop 0
	s_sendmsg sendmsg(MSG_DEALLOC_VGPRS)
	s_endpgm
	.section	.rodata,"a",@progbits
	.p2align	6, 0x0
	.amdhsa_kernel _ZN9rocsolver6v33100L8copy_matIfPfS2_NS0_7no_maskEEEviiT0_iilT1_iilT2_13rocblas_fill_17rocblas_diagonal_
		.amdhsa_group_segment_fixed_size 0
		.amdhsa_private_segment_fixed_size 0
		.amdhsa_kernarg_size 328
		.amdhsa_user_sgpr_count 13
		.amdhsa_user_sgpr_dispatch_ptr 0
		.amdhsa_user_sgpr_queue_ptr 0
		.amdhsa_user_sgpr_kernarg_segment_ptr 1
		.amdhsa_user_sgpr_dispatch_id 0
		.amdhsa_user_sgpr_private_segment_size 0
		.amdhsa_wavefront_size32 1
		.amdhsa_uses_dynamic_stack 0
		.amdhsa_enable_private_segment 0
		.amdhsa_system_sgpr_workgroup_id_x 1
		.amdhsa_system_sgpr_workgroup_id_y 1
		.amdhsa_system_sgpr_workgroup_id_z 1
		.amdhsa_system_sgpr_workgroup_info 0
		.amdhsa_system_vgpr_workitem_id 1
		.amdhsa_next_free_vgpr 6
		.amdhsa_next_free_sgpr 16
		.amdhsa_reserve_vcc 1
		.amdhsa_float_round_mode_32 0
		.amdhsa_float_round_mode_16_64 0
		.amdhsa_float_denorm_mode_32 3
		.amdhsa_float_denorm_mode_16_64 3
		.amdhsa_dx10_clamp 1
		.amdhsa_ieee_mode 1
		.amdhsa_fp16_overflow 0
		.amdhsa_workgroup_processor_mode 1
		.amdhsa_memory_ordered 1
		.amdhsa_forward_progress 0
		.amdhsa_shared_vgpr_count 0
		.amdhsa_exception_fp_ieee_invalid_op 0
		.amdhsa_exception_fp_denorm_src 0
		.amdhsa_exception_fp_ieee_div_zero 0
		.amdhsa_exception_fp_ieee_overflow 0
		.amdhsa_exception_fp_ieee_underflow 0
		.amdhsa_exception_fp_ieee_inexact 0
		.amdhsa_exception_int_div_zero 0
	.end_amdhsa_kernel
	.section	.text._ZN9rocsolver6v33100L8copy_matIfPfS2_NS0_7no_maskEEEviiT0_iilT1_iilT2_13rocblas_fill_17rocblas_diagonal_,"axG",@progbits,_ZN9rocsolver6v33100L8copy_matIfPfS2_NS0_7no_maskEEEviiT0_iilT1_iilT2_13rocblas_fill_17rocblas_diagonal_,comdat
.Lfunc_end54:
	.size	_ZN9rocsolver6v33100L8copy_matIfPfS2_NS0_7no_maskEEEviiT0_iilT1_iilT2_13rocblas_fill_17rocblas_diagonal_, .Lfunc_end54-_ZN9rocsolver6v33100L8copy_matIfPfS2_NS0_7no_maskEEEviiT0_iilT1_iilT2_13rocblas_fill_17rocblas_diagonal_
                                        ; -- End function
	.section	.AMDGPU.csdata,"",@progbits
; Kernel info:
; codeLenInByte = 540
; NumSgprs: 18
; NumVgprs: 6
; ScratchSize: 0
; MemoryBound: 0
; FloatMode: 240
; IeeeMode: 1
; LDSByteSize: 0 bytes/workgroup (compile time only)
; SGPRBlocks: 2
; VGPRBlocks: 0
; NumSGPRsForWavesPerEU: 18
; NumVGPRsForWavesPerEU: 6
; Occupancy: 16
; WaveLimiterHint : 0
; COMPUTE_PGM_RSRC2:SCRATCH_EN: 0
; COMPUTE_PGM_RSRC2:USER_SGPR: 13
; COMPUTE_PGM_RSRC2:TRAP_HANDLER: 0
; COMPUTE_PGM_RSRC2:TGID_X_EN: 1
; COMPUTE_PGM_RSRC2:TGID_Y_EN: 1
; COMPUTE_PGM_RSRC2:TGID_Z_EN: 1
; COMPUTE_PGM_RSRC2:TIDIG_COMP_CNT: 1
	.section	.text._ZN9rocsolver6v33100L18geqr2_kernel_smallILi256EfifPfEEvT1_S3_T3_lS3_lPT2_lPT0_l,"axG",@progbits,_ZN9rocsolver6v33100L18geqr2_kernel_smallILi256EfifPfEEvT1_S3_T3_lS3_lPT2_lPT0_l,comdat
	.globl	_ZN9rocsolver6v33100L18geqr2_kernel_smallILi256EfifPfEEvT1_S3_T3_lS3_lPT2_lPT0_l ; -- Begin function _ZN9rocsolver6v33100L18geqr2_kernel_smallILi256EfifPfEEvT1_S3_T3_lS3_lPT2_lPT0_l
	.p2align	8
	.type	_ZN9rocsolver6v33100L18geqr2_kernel_smallILi256EfifPfEEvT1_S3_T3_lS3_lPT2_lPT0_l,@function
_ZN9rocsolver6v33100L18geqr2_kernel_smallILi256EfifPfEEvT1_S3_T3_lS3_lPT2_lPT0_l: ; @_ZN9rocsolver6v33100L18geqr2_kernel_smallILi256EfifPfEEvT1_S3_T3_lS3_lPT2_lPT0_l
; %bb.0:
	s_clause 0x4
	s_load_b256 s[4:11], s[0:1], 0x20
	s_load_b64 s[12:13], s[0:1], 0x0
	s_load_b128 s[24:27], s[0:1], 0x8
	s_load_b32 s16, s[0:1], 0x18
	s_load_b64 s[2:3], s[0:1], 0x40
	s_ashr_i32 s20, s15, 31
	v_and_b32_e32 v1, 0x7f, v0
	v_lshrrev_b32_e32 v5, 7, v0
	s_delay_alu instid0(VALU_DEP_2)
	v_lshlrev_b32_e32 v6, 2, v1
	s_waitcnt lgkmcnt(0)
	s_mul_i32 s0, s15, s5
	s_mul_hi_u32 s1, s15, s4
	s_mul_i32 s5, s20, s4
	s_add_i32 s1, s1, s0
	s_mul_i32 s0, s15, s4
	s_add_i32 s1, s1, s5
	s_delay_alu instid0(SALU_CYCLE_1) | instskip(SKIP_4) | instid1(SALU_CYCLE_1)
	s_lshl_b64 s[4:5], s[0:1], 2
	v_cmp_gt_i32_e64 s0, s12, v1
	s_add_u32 s1, s24, s4
	s_addc_u32 s4, s25, s5
	s_lshl_b64 s[18:19], s[26:27], 2
	s_add_u32 s5, s1, s18
	s_addc_u32 s14, s4, s19
	s_and_saveexec_b32 s4, s0
	s_cbranch_execz .LBB55_6
; %bb.1:
	v_lshrrev_b32_e32 v7, 7, v0
	s_mov_b32 s17, 0
	s_lshl_b32 s18, s12, 3
	s_lshl_b32 s19, s16, 1
	v_mov_b32_e32 v9, v1
	v_mul_lo_u32 v2, s12, v7
	v_cmp_gt_i32_e32 vcc_lo, s13, v7
	s_delay_alu instid0(VALU_DEP_2) | instskip(SKIP_1) | instid1(VALU_DEP_2)
	v_lshlrev_b32_e32 v4, 2, v2
	v_mad_u64_u32 v[2:3], null, s16, v7, v[1:2]
	v_add3_u32 v8, v4, v6, 0
	s_set_inst_prefetch_distance 0x1
	s_branch .LBB55_3
	.p2align	6
.LBB55_2:                               ;   in Loop: Header=BB55_3 Depth=1
	s_or_b32 exec_lo, exec_lo, s21
	v_add_nc_u32_e32 v9, 0x80, v9
	v_add_nc_u32_e32 v8, 0x200, v8
	;; [unrolled: 1-line block ×3, first 2 shown]
	s_delay_alu instid0(VALU_DEP_3) | instskip(NEXT) | instid1(VALU_DEP_1)
	v_cmp_le_i32_e64 s1, s12, v9
	s_or_b32 s17, s1, s17
	s_delay_alu instid0(SALU_CYCLE_1)
	s_and_not1_b32 exec_lo, exec_lo, s17
	s_cbranch_execz .LBB55_6
.LBB55_3:                               ; =>This Loop Header: Depth=1
                                        ;     Child Loop BB55_5 Depth 2
	s_and_saveexec_b32 s21, vcc_lo
	s_cbranch_execz .LBB55_2
; %bb.4:                                ;   in Loop: Header=BB55_3 Depth=1
	s_delay_alu instid0(VALU_DEP_2)
	v_dual_mov_b32 v3, v2 :: v_dual_mov_b32 v10, v8
	v_mov_b32_e32 v11, v7
	s_mov_b32 s22, 0
	.p2align	6
.LBB55_5:                               ;   Parent Loop BB55_3 Depth=1
                                        ; =>  This Inner Loop Header: Depth=2
	s_delay_alu instid0(VALU_DEP_2) | instskip(NEXT) | instid1(VALU_DEP_2)
	v_ashrrev_i32_e32 v4, 31, v3
	v_add_nc_u32_e32 v11, 2, v11
	s_delay_alu instid0(VALU_DEP_2) | instskip(SKIP_1) | instid1(VALU_DEP_2)
	v_lshlrev_b64 v[12:13], 2, v[3:4]
	v_add_nc_u32_e32 v3, s19, v3
	v_add_co_u32 v12, s1, s5, v12
	s_delay_alu instid0(VALU_DEP_1)
	v_add_co_ci_u32_e64 v13, s1, s14, v13, s1
	v_cmp_le_i32_e64 s1, s13, v11
	global_load_b32 v4, v[12:13], off
	s_or_b32 s22, s1, s22
	s_waitcnt vmcnt(0)
	ds_store_b32 v10, v4
	v_add_nc_u32_e32 v10, s18, v10
	s_and_not1_b32 exec_lo, exec_lo, s22
	s_cbranch_execnz .LBB55_5
	s_branch .LBB55_2
.LBB55_6:
	s_set_inst_prefetch_distance 0x2
	s_or_b32 exec_lo, exec_lo, s4
	s_min_i32 s17, s13, s12
	s_waitcnt lgkmcnt(0)
	s_cmp_lt_i32 s17, 1
	s_barrier
	buffer_gl0_inv
	s_cbranch_scc1 .LBB55_42
; %bb.7:
	v_mbcnt_lo_u32_b32 v8, -1, 0
	s_mul_i32 s1, s15, s9
	s_mul_hi_u32 s4, s15, s8
	v_and_b32_e32 v10, 31, v0
	s_add_i32 s1, s4, s1
	v_cmp_ne_u32_e32 vcc_lo, 31, v8
	s_mul_i32 s4, s20, s8
	s_mul_i32 s8, s15, s8
	s_add_i32 s9, s1, s4
	s_mul_i32 s1, s15, s3
	v_add_co_ci_u32_e32 v2, vcc_lo, 0, v8, vcc_lo
	v_cmp_gt_u32_e32 vcc_lo, 30, v8
	s_lshl_b64 s[8:9], s[8:9], 2
	s_mul_hi_u32 s3, s15, s2
	s_add_u32 s18, s6, s8
	s_addc_u32 s19, s7, s9
	v_cndmask_b32_e64 v3, 0, 1, vcc_lo
	v_cmp_gt_u32_e32 vcc_lo, 28, v8
	s_add_i32 s1, s3, s1
	s_mul_i32 s3, s20, s2
	s_mul_i32 s2, s15, s2
	s_add_i32 s3, s1, s3
	v_cndmask_b32_e64 v4, 0, 1, vcc_lo
	v_cmp_gt_u32_e32 vcc_lo, 24, v8
	s_lshl_b64 s[2:3], s[2:3], 2
	s_mul_i32 s1, s13, s12
	s_add_u32 s10, s10, s2
	s_addc_u32 s11, s11, s3
	v_cndmask_b32_e64 v7, 0, 1, vcc_lo
	v_cmp_gt_u32_e32 vcc_lo, 16, v8
	s_lshl_b32 s1, s1, 2
	v_lshlrev_b32_e32 v3, 1, v3
	s_add_i32 s15, s1, 0
	s_lshl_b32 s1, s13, 2
	v_cndmask_b32_e64 v9, 0, 1, vcc_lo
	s_add_i32 s20, s15, s1
	v_cmp_eq_u32_e64 s1, 0, v10
	v_mad_u64_u32 v[10:11], null, s12, v0, s[12:13]
	s_cmp_eq_u64 s[6:7], 0
	v_lshlrev_b32_e32 v4, 2, v4
	v_lshlrev_b32_e32 v7, 3, v7
	;; [unrolled: 1-line block ×3, first 2 shown]
	v_lshrrev_b32_e32 v12, 3, v0
	v_lshlrev_b32_e32 v11, 2, v0
	s_cselect_b32 s21, -1, 0
	s_cmp_lg_u64 s[6:7], 0
	v_dual_mov_b32 v13, 0 :: v_dual_lshlrev_b32 v2, 2, v2
	s_cselect_b32 s6, -1, 0
	s_lshl_b32 s7, s12, 2
	v_add_lshl_u32 v3, v3, v8, 2
	v_add_lshl_u32 v4, v4, v8, 2
	;; [unrolled: 1-line block ×4, first 2 shown]
	v_cmp_eq_u32_e64 s2, 0, v0
	v_add3_u32 v9, v11, 0, 4
	v_lshl_add_u32 v10, v10, 2, 0
	v_add3_u32 v11, 0, s7, v11
	v_add_nc_u32_e32 v12, s20, v12
	s_mov_b32 s9, 0
	s_add_i32 s22, s7, 4
	s_lshl_b32 s23, s12, 10
	s_mov_b32 s24, 0
	s_mov_b32 s8, s9
	s_branch .LBB55_9
.LBB55_8:                               ;   in Loop: Header=BB55_9 Depth=1
	s_set_inst_prefetch_distance 0x2
	s_or_b32 exec_lo, exec_lo, s4
	v_add_nc_u32_e32 v9, s22, v9
	v_add_nc_u32_e32 v10, s22, v10
	;; [unrolled: 1-line block ×3, first 2 shown]
	s_add_i32 s8, s8, 1
	s_add_i32 s24, s24, s22
	s_cmp_eq_u32 s8, s17
	s_waitcnt lgkmcnt(0)
	s_barrier
	buffer_gl0_inv
	s_cbranch_scc1 .LBB55_42
.LBB55_9:                               ; =>This Loop Header: Depth=1
                                        ;     Child Loop BB55_11 Depth 2
                                        ;     Child Loop BB55_25 Depth 2
	;; [unrolled: 1-line block ×3, first 2 shown]
                                        ;       Child Loop BB55_31 Depth 3
                                        ;     Child Loop BB55_35 Depth 2
                                        ;       Child Loop BB55_37 Depth 3
	s_sub_i32 s25, s12, s8
	v_mov_b32_e32 v14, 0
	s_add_i32 s27, s25, -1
	s_delay_alu instid0(SALU_CYCLE_1) | instskip(NEXT) | instid1(VALU_DEP_1)
	v_cmp_gt_i32_e64 s3, s27, v0
	s_and_saveexec_b32 s4, s3
	s_cbranch_execz .LBB55_13
; %bb.10:                               ;   in Loop: Header=BB55_9 Depth=1
	v_dual_mov_b32 v14, 0 :: v_dual_mov_b32 v15, v9
	v_mov_b32_e32 v16, v0
	s_mov_b32 s26, 0
.LBB55_11:                              ;   Parent Loop BB55_9 Depth=1
                                        ; =>  This Inner Loop Header: Depth=2
	ds_load_b32 v17, v15
	s_waitcnt lgkmcnt(0)
	v_dual_mul_f32 v17, v17, v17 :: v_dual_add_nc_u32 v16, 0x100, v16
	s_delay_alu instid0(VALU_DEP_1) | instskip(NEXT) | instid1(VALU_DEP_2)
	v_cmp_le_i32_e32 vcc_lo, s27, v16
	v_dual_add_f32 v14, v14, v17 :: v_dual_add_nc_u32 v15, 0x400, v15
	s_or_b32 s26, vcc_lo, s26
	s_delay_alu instid0(SALU_CYCLE_1)
	s_and_not1_b32 exec_lo, exec_lo, s26
	s_cbranch_execnz .LBB55_11
; %bb.12:                               ;   in Loop: Header=BB55_9 Depth=1
	s_or_b32 exec_lo, exec_lo, s26
.LBB55_13:                              ;   in Loop: Header=BB55_9 Depth=1
	s_delay_alu instid0(SALU_CYCLE_1)
	s_or_b32 exec_lo, exec_lo, s4
	ds_bpermute_b32 v15, v2, v14
	s_waitcnt lgkmcnt(0)
	v_add_f32_e32 v14, v14, v15
	ds_bpermute_b32 v15, v3, v14
	s_waitcnt lgkmcnt(0)
	v_add_f32_e32 v14, v14, v15
	;; [unrolled: 3-line block ×5, first 2 shown]
	s_and_saveexec_b32 s4, s1
	s_cbranch_execz .LBB55_15
; %bb.14:                               ;   in Loop: Header=BB55_9 Depth=1
	ds_store_b32 v12, v14 offset:4
.LBB55_15:                              ;   in Loop: Header=BB55_9 Depth=1
	s_or_b32 exec_lo, exec_lo, s4
	s_lshl_b32 s4, s8, 2
	s_mul_i32 s26, s8, s12
	s_add_i32 s4, s4, 0
	s_lshl_b32 s26, s26, 2
	s_waitcnt lgkmcnt(0)
	s_add_i32 s26, s4, s26
	s_barrier
	buffer_gl0_inv
	s_and_saveexec_b32 s28, s2
	s_cbranch_execz .LBB55_23
; %bb.16:                               ;   in Loop: Header=BB55_9 Depth=1
	v_mov_b32_e32 v21, s20
	s_mov_b32 s4, 0
	s_mov_b32 s31, 0
	s_mov_b32 s33, exec_lo
                                        ; implicit-def: $sgpr30
                                        ; implicit-def: $sgpr29
                                        ; implicit-def: $sgpr34
	ds_load_2addr_b32 v[15:16], v21 offset0:2 offset1:3
	ds_load_2addr_b32 v[17:18], v21 offset0:4 offset1:5
	;; [unrolled: 1-line block ×3, first 2 shown]
	ds_load_b32 v21, v21 offset:32
	s_waitcnt lgkmcnt(3)
	v_add_f32_e32 v14, v14, v15
	s_delay_alu instid0(VALU_DEP_1) | instskip(SKIP_1) | instid1(VALU_DEP_1)
	v_add_f32_e32 v14, v14, v16
	s_waitcnt lgkmcnt(2)
	v_add_f32_e32 v14, v14, v17
	s_delay_alu instid0(VALU_DEP_1) | instskip(SKIP_1) | instid1(VALU_DEP_1)
	v_add_f32_e32 v14, v14, v18
	;; [unrolled: 4-line block ×3, first 2 shown]
	s_waitcnt lgkmcnt(0)
	v_add_f32_e32 v16, v14, v21
                                        ; implicit-def: $vgpr14
	s_delay_alu instid0(VALU_DEP_1)
	v_cmpx_nlt_f32_e32 0, v16
	s_xor_b32 s33, exec_lo, s33
	s_cbranch_execnz .LBB55_38
; %bb.17:                               ;   in Loop: Header=BB55_9 Depth=1
	s_or_saveexec_b32 s33, s33
	v_mov_b32_e32 v15, s34
	s_xor_b32 exec_lo, exec_lo, s33
	s_cbranch_execnz .LBB55_41
.LBB55_18:                              ;   in Loop: Header=BB55_9 Depth=1
	s_or_b32 exec_lo, exec_lo, s33
	s_and_saveexec_b32 s33, s31
	s_cbranch_execz .LBB55_20
.LBB55_19:                              ;   in Loop: Header=BB55_9 Depth=1
	s_lshl_b64 s[34:35], s[8:9], 2
	s_delay_alu instid0(SALU_CYCLE_1)
	s_add_u32 s34, s18, s34
	s_addc_u32 s35, s19, s35
	s_or_b32 s4, s4, exec_lo
	s_waitcnt lgkmcnt(0)
	global_store_b32 v13, v14, s[34:35]
	v_mov_b32_e32 v14, 1.0
.LBB55_20:                              ;   in Loop: Header=BB55_9 Depth=1
	s_or_b32 exec_lo, exec_lo, s33
	v_dual_mov_b32 v16, s29 :: v_dual_mov_b32 v17, s30
	s_and_saveexec_b32 s29, s4
	s_cbranch_execz .LBB55_22
; %bb.21:                               ;   in Loop: Header=BB55_9 Depth=1
	v_dual_mov_b32 v16, s26 :: v_dual_mov_b32 v17, s20
	s_waitcnt lgkmcnt(0)
	ds_store_b32 v16, v14
	ds_load_b32 v16, v17
	v_mov_b32_e32 v17, v15
.LBB55_22:                              ;   in Loop: Header=BB55_9 Depth=1
	s_or_b32 exec_lo, exec_lo, s29
	s_lshl_b64 s[30:31], s[8:9], 2
	s_waitcnt lgkmcnt(0)
	v_mov_b32_e32 v14, s20
	s_add_u32 s30, s10, s30
	s_addc_u32 s31, s11, s31
	global_store_b32 v13, v16, s[30:31]
	ds_store_b32 v14, v17 offset:4
.LBB55_23:                              ;   in Loop: Header=BB55_9 Depth=1
	s_or_b32 exec_lo, exec_lo, s28
	s_waitcnt lgkmcnt(0)
	s_waitcnt_vscnt null, 0x0
	s_barrier
	buffer_gl0_inv
	s_and_saveexec_b32 s4, s3
	s_cbranch_execz .LBB55_26
; %bb.24:                               ;   in Loop: Header=BB55_9 Depth=1
	v_mov_b32_e32 v14, v0
	s_mov_b32 s3, 0
	s_mov_b32 s28, 0
.LBB55_25:                              ;   Parent Loop BB55_9 Depth=1
                                        ; =>  This Inner Loop Header: Depth=2
	s_delay_alu instid0(SALU_CYCLE_1)
	v_dual_mov_b32 v15, s20 :: v_dual_add_nc_u32 v16, s28, v9
	s_addk_i32 s28, 0x400
	ds_load_b32 v15, v15 offset:4
	ds_load_b32 v17, v16
	s_waitcnt lgkmcnt(0)
	v_dual_mul_f32 v15, v15, v17 :: v_dual_add_nc_u32 v14, 0x100, v14
	s_delay_alu instid0(VALU_DEP_1) | instskip(SKIP_2) | instid1(SALU_CYCLE_1)
	v_cmp_le_i32_e32 vcc_lo, s27, v14
	ds_store_b32 v16, v15
	s_or_b32 s3, vcc_lo, s3
	s_and_not1_b32 exec_lo, exec_lo, s3
	s_cbranch_execnz .LBB55_25
.LBB55_26:                              ;   in Loop: Header=BB55_9 Depth=1
	s_or_b32 exec_lo, exec_lo, s4
	s_not_b32 s3, s8
	s_mov_b32 s4, exec_lo
	s_add_i32 s3, s3, s13
	s_waitcnt lgkmcnt(0)
	s_barrier
	buffer_gl0_inv
	v_cmpx_gt_i32_e64 s3, v0
	s_cbranch_execz .LBB55_32
; %bb.27:                               ;   in Loop: Header=BB55_9 Depth=1
	v_dual_mov_b32 v14, v10 :: v_dual_mov_b32 v15, v0
	s_cmp_gt_i32 s25, 0
	s_mov_b32 s28, 0
	s_cselect_b32 s27, -1, 0
	s_set_inst_prefetch_distance 0x1
	s_branch .LBB55_29
	.p2align	6
.LBB55_28:                              ;   in Loop: Header=BB55_29 Depth=2
	v_dual_mov_b32 v17, s20 :: v_dual_add_nc_u32 v14, s23, v14
	v_lshl_add_u32 v18, v15, 2, s15
	ds_load_b32 v17, v17
	s_waitcnt lgkmcnt(0)
	v_dual_mul_f32 v16, v16, v17 :: v_dual_add_nc_u32 v15, 0x100, v15
	s_delay_alu instid0(VALU_DEP_1) | instskip(SKIP_2) | instid1(SALU_CYCLE_1)
	v_cmp_le_i32_e32 vcc_lo, s3, v15
	ds_store_b32 v18, v16
	s_or_b32 s28, vcc_lo, s28
	s_and_not1_b32 exec_lo, exec_lo, s28
	s_cbranch_execz .LBB55_32
.LBB55_29:                              ;   Parent Loop BB55_9 Depth=1
                                        ; =>  This Loop Header: Depth=2
                                        ;       Child Loop BB55_31 Depth 3
	v_mov_b32_e32 v16, 0
	s_and_not1_b32 vcc_lo, exec_lo, s27
	s_cbranch_vccnz .LBB55_28
; %bb.30:                               ;   in Loop: Header=BB55_29 Depth=2
	v_mov_b32_e32 v17, v14
	s_mov_b32 s29, 0
	s_mov_b32 s30, s24
.LBB55_31:                              ;   Parent Loop BB55_9 Depth=1
                                        ;     Parent Loop BB55_29 Depth=2
                                        ; =>    This Inner Loop Header: Depth=3
	s_delay_alu instid0(SALU_CYCLE_1)
	v_mov_b32_e32 v18, s30
	s_add_i32 s29, s29, 1
	s_add_i32 s30, s30, 4
	s_cmp_ge_i32 s29, s25
	ds_load_b32 v19, v17
	ds_load_b32 v18, v18
	s_waitcnt lgkmcnt(0)
	v_dual_fmac_f32 v16, v19, v18 :: v_dual_add_nc_u32 v17, 4, v17
	s_cbranch_scc0 .LBB55_31
	s_branch .LBB55_28
.LBB55_32:                              ;   in Loop: Header=BB55_9 Depth=1
	s_set_inst_prefetch_distance 0x2
	s_or_b32 exec_lo, exec_lo, s4
	s_delay_alu instid0(SALU_CYCLE_1)
	s_mov_b32 s4, exec_lo
	s_waitcnt lgkmcnt(0)
	s_barrier
	buffer_gl0_inv
	v_cmpx_gt_i32_e64 s25, v0
	s_cbranch_execz .LBB55_8
; %bb.33:                               ;   in Loop: Header=BB55_9 Depth=1
	v_dual_mov_b32 v14, v11 :: v_dual_mov_b32 v15, v0
	s_cmp_gt_i32 s3, 0
	s_mov_b32 s28, 0
	s_cselect_b32 s27, -1, 0
	s_set_inst_prefetch_distance 0x1
	s_branch .LBB55_35
	.p2align	6
.LBB55_34:                              ;   in Loop: Header=BB55_35 Depth=2
	v_add_nc_u32_e32 v15, 0x100, v15
	v_add_nc_u32_e32 v14, 0x400, v14
	s_delay_alu instid0(VALU_DEP_2) | instskip(SKIP_1) | instid1(SALU_CYCLE_1)
	v_cmp_le_i32_e32 vcc_lo, s25, v15
	s_or_b32 s28, vcc_lo, s28
	s_and_not1_b32 exec_lo, exec_lo, s28
	s_cbranch_execz .LBB55_8
.LBB55_35:                              ;   Parent Loop BB55_9 Depth=1
                                        ; =>  This Loop Header: Depth=2
                                        ;       Child Loop BB55_37 Depth 3
	s_and_not1_b32 vcc_lo, exec_lo, s27
	s_cbranch_vccnz .LBB55_34
; %bb.36:                               ;   in Loop: Header=BB55_35 Depth=2
	v_lshl_add_u32 v16, v15, 2, s26
	v_mov_b32_e32 v17, v14
	s_mov_b32 s29, 0
	s_mov_b32 s30, s15
	.p2align	6
.LBB55_37:                              ;   Parent Loop BB55_9 Depth=1
                                        ;     Parent Loop BB55_35 Depth=2
                                        ; =>    This Inner Loop Header: Depth=3
	s_delay_alu instid0(SALU_CYCLE_1)
	v_mov_b32_e32 v18, s30
	s_add_i32 s29, s29, 1
	s_add_i32 s30, s30, 4
	ds_load_b32 v19, v17
	ds_load_b32 v20, v16
	;; [unrolled: 1-line block ×3, first 2 shown]
	s_cmp_ge_i32 s29, s3
	s_waitcnt lgkmcnt(0)
	v_fma_f32 v18, -v20, v18, v19
	ds_store_b32 v17, v18
	v_add_nc_u32_e32 v17, s7, v17
	s_cbranch_scc0 .LBB55_37
	s_branch .LBB55_34
.LBB55_38:                              ;   in Loop: Header=BB55_9 Depth=1
	v_mov_b32_e32 v15, s20
	s_mov_b32 s29, 0
	s_and_b32 vcc_lo, exec_lo, s6
                                        ; implicit-def: $vgpr14
                                        ; implicit-def: $sgpr34
	ds_store_b32 v15, v13
	s_cbranch_vccz .LBB55_40
; %bb.39:                               ;   in Loop: Header=BB55_9 Depth=1
	v_mov_b32_e32 v14, s26
	s_mov_b32 s31, -1
	s_mov_b32 s34, 1.0
	ds_load_b32 v14, v14
.LBB55_40:                              ;   in Loop: Header=BB55_9 Depth=1
	s_mov_b32 s30, 1.0
	s_and_b32 s31, s31, exec_lo
                                        ; implicit-def: $vgpr16
	s_or_saveexec_b32 s33, s33
	v_mov_b32_e32 v15, s34
	s_xor_b32 exec_lo, exec_lo, s33
	s_cbranch_execz .LBB55_18
.LBB55_41:                              ;   in Loop: Header=BB55_9 Depth=1
	s_waitcnt lgkmcnt(0)
	v_mov_b32_e32 v14, s26
	s_and_not1_b32 s31, s31, exec_lo
	s_and_b32 s34, s6, exec_lo
	s_delay_alu instid0(SALU_CYCLE_1) | instskip(SKIP_3) | instid1(VALU_DEP_1)
	s_or_b32 s31, s31, s34
	ds_load_b32 v15, v14
	s_waitcnt lgkmcnt(0)
	v_fmac_f32_e32 v16, v15, v15
	v_mul_f32_e32 v14, 0x4f800000, v16
	v_cmp_gt_f32_e32 vcc_lo, 0xf800000, v16
	s_delay_alu instid0(VALU_DEP_2) | instskip(NEXT) | instid1(VALU_DEP_1)
	v_cndmask_b32_e32 v14, v16, v14, vcc_lo
	v_sqrt_f32_e32 v16, v14
	s_waitcnt_depctr 0xfff
	v_add_nc_u32_e32 v17, -1, v16
	v_add_nc_u32_e32 v18, 1, v16
	s_delay_alu instid0(VALU_DEP_2) | instskip(NEXT) | instid1(VALU_DEP_2)
	v_fma_f32 v19, -v17, v16, v14
	v_fma_f32 v20, -v18, v16, v14
	s_delay_alu instid0(VALU_DEP_2) | instskip(NEXT) | instid1(VALU_DEP_1)
	v_cmp_ge_f32_e64 s4, 0, v19
	v_cndmask_b32_e64 v16, v16, v17, s4
	s_delay_alu instid0(VALU_DEP_3) | instskip(NEXT) | instid1(VALU_DEP_1)
	v_cmp_lt_f32_e64 s4, 0, v20
	v_cndmask_b32_e64 v16, v16, v18, s4
	s_delay_alu instid0(VALU_DEP_1) | instskip(NEXT) | instid1(VALU_DEP_1)
	v_mul_f32_e32 v17, 0x37800000, v16
	v_cndmask_b32_e32 v16, v16, v17, vcc_lo
	v_cmp_class_f32_e64 vcc_lo, v14, 0x260
	s_delay_alu instid0(VALU_DEP_2) | instskip(SKIP_1) | instid1(VALU_DEP_2)
	v_cndmask_b32_e32 v14, v16, v14, vcc_lo
	v_cmp_le_f32_e32 vcc_lo, 0, v15
	v_cndmask_b32_e64 v14, v14, -v14, vcc_lo
	s_delay_alu instid0(VALU_DEP_1) | instskip(NEXT) | instid1(VALU_DEP_1)
	v_dual_sub_f32 v17, v14, v15 :: v_dual_sub_f32 v16, v15, v14
	v_div_scale_f32 v18, null, v14, v14, v17
	s_delay_alu instid0(VALU_DEP_2) | instskip(SKIP_1) | instid1(VALU_DEP_3)
	v_div_scale_f32 v15, null, v16, v16, 1.0
	v_div_scale_f32 v23, vcc_lo, 1.0, v16, 1.0
	v_rcp_f32_e32 v20, v18
	s_delay_alu instid0(VALU_DEP_2) | instskip(SKIP_3) | instid1(VALU_DEP_1)
	v_rcp_f32_e32 v19, v15
	s_waitcnt_depctr 0xfff
	v_fma_f32 v22, -v18, v20, 1.0
	v_fma_f32 v21, -v15, v19, 1.0
	v_dual_fmac_f32 v20, v22, v20 :: v_dual_fmac_f32 v19, v21, v19
	v_div_scale_f32 v21, s4, v17, v14, v17
	s_delay_alu instid0(VALU_DEP_2) | instskip(NEXT) | instid1(VALU_DEP_2)
	v_mul_f32_e32 v22, v23, v19
	v_mul_f32_e32 v24, v21, v20
	s_delay_alu instid0(VALU_DEP_2) | instskip(NEXT) | instid1(VALU_DEP_2)
	v_fma_f32 v25, -v15, v22, v23
	v_fma_f32 v26, -v18, v24, v21
	s_delay_alu instid0(VALU_DEP_2) | instskip(NEXT) | instid1(VALU_DEP_2)
	v_fmac_f32_e32 v22, v25, v19
	v_fmac_f32_e32 v24, v26, v20
	s_delay_alu instid0(VALU_DEP_2) | instskip(NEXT) | instid1(VALU_DEP_2)
	v_fma_f32 v15, -v15, v22, v23
	v_fma_f32 v18, -v18, v24, v21
	s_delay_alu instid0(VALU_DEP_2) | instskip(SKIP_2) | instid1(VALU_DEP_2)
	v_div_fmas_f32 v15, v15, v19, v22
	s_mov_b32 vcc_lo, s4
	s_and_b32 s4, s21, exec_lo
	v_div_fmas_f32 v18, v18, v20, v24
	s_delay_alu instid0(VALU_DEP_2) | instskip(NEXT) | instid1(VALU_DEP_2)
	v_div_fixup_f32 v15, v15, v16, 1.0
	v_div_fixup_f32 v16, v18, v14, v17
	v_mov_b32_e32 v17, s20
	ds_store_b32 v17, v16
	s_or_b32 exec_lo, exec_lo, s33
	s_and_saveexec_b32 s33, s31
	s_cbranch_execnz .LBB55_19
	s_branch .LBB55_20
.LBB55_42:
	s_and_saveexec_b32 s1, s0
	s_cbranch_execz .LBB55_48
; %bb.43:
	v_mul_lo_u32 v0, s12, v5
	v_mad_u64_u32 v[2:3], null, s16, v5, v[1:2]
	v_cmp_gt_i32_e32 vcc_lo, s13, v5
	s_lshl_b32 s2, s16, 1
	s_mov_b32 s3, 0
	s_lshl_b32 s4, s12, 3
	s_delay_alu instid0(VALU_DEP_3) | instskip(NEXT) | instid1(VALU_DEP_1)
	v_lshlrev_b32_e32 v0, 2, v0
	v_add3_u32 v0, v0, v6, 0
	s_set_inst_prefetch_distance 0x1
	s_branch .LBB55_45
	.p2align	6
.LBB55_44:                              ;   in Loop: Header=BB55_45 Depth=1
	s_or_b32 exec_lo, exec_lo, s6
	v_add_nc_u32_e32 v1, 0x80, v1
	v_add_nc_u32_e32 v2, 0x80, v2
	;; [unrolled: 1-line block ×3, first 2 shown]
	s_delay_alu instid0(VALU_DEP_3) | instskip(NEXT) | instid1(VALU_DEP_1)
	v_cmp_le_i32_e64 s0, s12, v1
	s_or_b32 s3, s0, s3
	s_delay_alu instid0(SALU_CYCLE_1)
	s_and_not1_b32 exec_lo, exec_lo, s3
	s_cbranch_execz .LBB55_48
.LBB55_45:                              ; =>This Loop Header: Depth=1
                                        ;     Child Loop BB55_47 Depth 2
	s_and_saveexec_b32 s6, vcc_lo
	s_cbranch_execz .LBB55_44
; %bb.46:                               ;   in Loop: Header=BB55_45 Depth=1
	v_dual_mov_b32 v6, v0 :: v_dual_mov_b32 v3, v2
	v_mov_b32_e32 v7, v5
	s_mov_b32 s7, 0
	.p2align	6
.LBB55_47:                              ;   Parent Loop BB55_45 Depth=1
                                        ; =>  This Inner Loop Header: Depth=2
	ds_load_b32 v10, v6
	v_ashrrev_i32_e32 v4, 31, v3
	v_add_nc_u32_e32 v7, 2, v7
	v_add_nc_u32_e32 v6, s4, v6
	s_delay_alu instid0(VALU_DEP_3) | instskip(NEXT) | instid1(VALU_DEP_3)
	v_lshlrev_b64 v[8:9], 2, v[3:4]
	v_cmp_le_i32_e64 s0, s13, v7
	v_add_nc_u32_e32 v3, s2, v3
	s_delay_alu instid0(VALU_DEP_2) | instskip(NEXT) | instid1(VALU_DEP_3)
	s_or_b32 s7, s0, s7
	v_add_co_u32 v8, s1, s5, v8
	s_delay_alu instid0(VALU_DEP_1)
	v_add_co_ci_u32_e64 v9, s1, s14, v9, s1
	s_waitcnt lgkmcnt(0)
	global_store_b32 v[8:9], v10, off
	s_and_not1_b32 exec_lo, exec_lo, s7
	s_cbranch_execnz .LBB55_47
	s_branch .LBB55_44
.LBB55_48:
	s_set_inst_prefetch_distance 0x2
	s_nop 0
	s_sendmsg sendmsg(MSG_DEALLOC_VGPRS)
	s_endpgm
	.section	.rodata,"a",@progbits
	.p2align	6, 0x0
	.amdhsa_kernel _ZN9rocsolver6v33100L18geqr2_kernel_smallILi256EfifPfEEvT1_S3_T3_lS3_lPT2_lPT0_l
		.amdhsa_group_segment_fixed_size 0
		.amdhsa_private_segment_fixed_size 0
		.amdhsa_kernarg_size 72
		.amdhsa_user_sgpr_count 14
		.amdhsa_user_sgpr_dispatch_ptr 0
		.amdhsa_user_sgpr_queue_ptr 0
		.amdhsa_user_sgpr_kernarg_segment_ptr 1
		.amdhsa_user_sgpr_dispatch_id 0
		.amdhsa_user_sgpr_private_segment_size 0
		.amdhsa_wavefront_size32 1
		.amdhsa_uses_dynamic_stack 0
		.amdhsa_enable_private_segment 0
		.amdhsa_system_sgpr_workgroup_id_x 1
		.amdhsa_system_sgpr_workgroup_id_y 0
		.amdhsa_system_sgpr_workgroup_id_z 1
		.amdhsa_system_sgpr_workgroup_info 0
		.amdhsa_system_vgpr_workitem_id 0
		.amdhsa_next_free_vgpr 27
		.amdhsa_next_free_sgpr 36
		.amdhsa_reserve_vcc 1
		.amdhsa_float_round_mode_32 0
		.amdhsa_float_round_mode_16_64 0
		.amdhsa_float_denorm_mode_32 3
		.amdhsa_float_denorm_mode_16_64 3
		.amdhsa_dx10_clamp 1
		.amdhsa_ieee_mode 1
		.amdhsa_fp16_overflow 0
		.amdhsa_workgroup_processor_mode 1
		.amdhsa_memory_ordered 1
		.amdhsa_forward_progress 0
		.amdhsa_shared_vgpr_count 0
		.amdhsa_exception_fp_ieee_invalid_op 0
		.amdhsa_exception_fp_denorm_src 0
		.amdhsa_exception_fp_ieee_div_zero 0
		.amdhsa_exception_fp_ieee_overflow 0
		.amdhsa_exception_fp_ieee_underflow 0
		.amdhsa_exception_fp_ieee_inexact 0
		.amdhsa_exception_int_div_zero 0
	.end_amdhsa_kernel
	.section	.text._ZN9rocsolver6v33100L18geqr2_kernel_smallILi256EfifPfEEvT1_S3_T3_lS3_lPT2_lPT0_l,"axG",@progbits,_ZN9rocsolver6v33100L18geqr2_kernel_smallILi256EfifPfEEvT1_S3_T3_lS3_lPT2_lPT0_l,comdat
.Lfunc_end55:
	.size	_ZN9rocsolver6v33100L18geqr2_kernel_smallILi256EfifPfEEvT1_S3_T3_lS3_lPT2_lPT0_l, .Lfunc_end55-_ZN9rocsolver6v33100L18geqr2_kernel_smallILi256EfifPfEEvT1_S3_T3_lS3_lPT2_lPT0_l
                                        ; -- End function
	.section	.AMDGPU.csdata,"",@progbits
; Kernel info:
; codeLenInByte = 2624
; NumSgprs: 38
; NumVgprs: 27
; ScratchSize: 0
; MemoryBound: 0
; FloatMode: 240
; IeeeMode: 1
; LDSByteSize: 0 bytes/workgroup (compile time only)
; SGPRBlocks: 4
; VGPRBlocks: 3
; NumSGPRsForWavesPerEU: 38
; NumVGPRsForWavesPerEU: 27
; Occupancy: 16
; WaveLimiterHint : 0
; COMPUTE_PGM_RSRC2:SCRATCH_EN: 0
; COMPUTE_PGM_RSRC2:USER_SGPR: 14
; COMPUTE_PGM_RSRC2:TRAP_HANDLER: 0
; COMPUTE_PGM_RSRC2:TGID_X_EN: 1
; COMPUTE_PGM_RSRC2:TGID_Y_EN: 0
; COMPUTE_PGM_RSRC2:TGID_Z_EN: 1
; COMPUTE_PGM_RSRC2:TIDIG_COMP_CNT: 0
	.section	.text._ZN9rocsolver6v33100L16gesdd_flip_signsIffEEviPT0_lPT_ilS5_ili,"axG",@progbits,_ZN9rocsolver6v33100L16gesdd_flip_signsIffEEviPT0_lPT_ilS5_ili,comdat
	.globl	_ZN9rocsolver6v33100L16gesdd_flip_signsIffEEviPT0_lPT_ilS5_ili ; -- Begin function _ZN9rocsolver6v33100L16gesdd_flip_signsIffEEviPT0_lPT_ilS5_ili
	.p2align	8
	.type	_ZN9rocsolver6v33100L16gesdd_flip_signsIffEEviPT0_lPT_ilS5_ili,@function
_ZN9rocsolver6v33100L16gesdd_flip_signsIffEEviPT0_lPT_ilS5_ili: ; @_ZN9rocsolver6v33100L16gesdd_flip_signsIffEEviPT0_lPT_ilS5_ili
; %bb.0:
	s_load_b32 s24, s[0:1], 0x48
	s_waitcnt lgkmcnt(0)
	s_cmp_ge_i32 s15, s24
	s_cbranch_scc1 .LBB56_13
; %bb.1:
	s_clause 0x8
	s_load_b32 s18, s[0:1], 0x5c
	s_load_b32 s25, s[0:1], 0x0
	s_load_b64 s[2:3], s[0:1], 0x40
	s_load_b64 s[12:13], s[0:1], 0x50
	s_load_b32 s27, s[0:1], 0x20
	s_load_b64 s[16:17], s[0:1], 0x18
	s_load_b128 s[4:7], s[0:1], 0x8
	s_load_b128 s[8:11], s[0:1], 0x28
	s_load_b32 s26, s[0:1], 0x38
	s_waitcnt lgkmcnt(0)
	s_and_b32 s1, s18, 0xffff
	s_cmp_gt_i32 s25, 0
	v_mad_u64_u32 v[1:2], null, s14, s1, v[0:1]
	v_mov_b32_e32 v0, 0
	s_cselect_b32 s14, -1, 0
	s_add_i32 s27, s27, 1
	s_mul_i32 s12, s12, s1
	s_lshl_b64 s[6:7], s[6:7], 2
	s_delay_alu instid0(VALU_DEP_2)
	v_cmp_gt_i32_e64 s0, s25, v1
	s_branch .LBB56_3
.LBB56_2:                               ;   in Loop: Header=BB56_3 Depth=1
	s_or_b32 exec_lo, exec_lo, s28
	s_add_i32 s15, s15, s13
	s_delay_alu instid0(SALU_CYCLE_1)
	s_cmp_lt_i32 s15, s24
	s_cbranch_scc0 .LBB56_13
.LBB56_3:                               ; =>This Loop Header: Depth=1
                                        ;     Child Loop BB56_6 Depth 2
                                        ;       Child Loop BB56_9 Depth 3
	s_delay_alu instid0(VALU_DEP_1)
	s_and_saveexec_b32 s28, s0
	s_cbranch_execz .LBB56_2
; %bb.4:                                ;   in Loop: Header=BB56_3 Depth=1
	s_ashr_i32 s1, s15, 31
	s_mul_hi_u32 s18, s6, s15
	s_mul_i32 s19, s6, s1
	s_mul_i32 s20, s7, s15
	s_add_i32 s18, s18, s19
	s_mul_i32 s19, s6, s15
	s_add_i32 s20, s18, s20
	s_mul_i32 s21, s15, s9
	s_mul_hi_u32 s22, s15, s8
	s_add_u32 s18, s4, s19
	s_addc_u32 s19, s5, s20
	s_add_i32 s20, s22, s21
	s_mul_i32 s21, s1, s8
	s_mul_hi_u32 s22, s15, s2
	s_add_i32 s21, s20, s21
	s_mul_i32 s20, s15, s8
	s_mul_i32 s1, s1, s2
	s_lshl_b64 s[20:21], s[20:21], 2
	v_mov_b32_e32 v4, v1
	s_add_u32 s29, s16, s20
	s_mul_i32 s20, s15, s3
	s_addc_u32 s30, s17, s21
	s_add_i32 s20, s22, s20
	s_mov_b32 s34, 0
	s_add_i32 s21, s20, s1
	s_mul_i32 s20, s15, s2
	s_delay_alu instid0(SALU_CYCLE_1) | instskip(NEXT) | instid1(SALU_CYCLE_1)
	s_lshl_b64 s[20:21], s[20:21], 2
	s_add_u32 s31, s10, s20
	s_addc_u32 s33, s11, s21
	s_branch .LBB56_6
.LBB56_5:                               ;   in Loop: Header=BB56_6 Depth=2
	s_set_inst_prefetch_distance 0x2
	v_add_nc_u32_e32 v4, s12, v4
	s_delay_alu instid0(VALU_DEP_1) | instskip(SKIP_1) | instid1(SALU_CYCLE_1)
	v_cmp_le_i32_e32 vcc_lo, s25, v4
	s_or_b32 s34, vcc_lo, s34
	s_and_not1_b32 exec_lo, exec_lo, s34
	s_cbranch_execz .LBB56_2
.LBB56_6:                               ;   Parent Loop BB56_3 Depth=1
                                        ; =>  This Loop Header: Depth=2
                                        ;       Child Loop BB56_9 Depth 3
	s_and_not1_b32 vcc_lo, exec_lo, s14
	s_cbranch_vccnz .LBB56_5
; %bb.7:                                ;   in Loop: Header=BB56_6 Depth=2
	v_cmp_eq_u32_e64 s1, 0, v4
	v_mov_b32_e32 v2, v4
	s_mov_b32 s20, 0
	s_mov_b64 s[22:23], s[18:19]
	s_mov_b32 s35, s25
	s_set_inst_prefetch_distance 0x1
	s_branch .LBB56_9
	.p2align	6
.LBB56_8:                               ;   in Loop: Header=BB56_9 Depth=3
	s_or_b32 exec_lo, exec_lo, s21
	s_add_i32 s35, s35, -1
	v_add_nc_u32_e32 v2, s26, v2
	s_add_i32 s20, s20, s27
	s_add_u32 s22, s22, 4
	s_addc_u32 s23, s23, 0
	s_cmp_lg_u32 s35, 0
	s_cbranch_scc0 .LBB56_5
.LBB56_9:                               ;   Parent Loop BB56_3 Depth=1
                                        ;     Parent Loop BB56_6 Depth=2
                                        ; =>    This Inner Loop Header: Depth=3
	s_ashr_i32 s21, s20, 31
	s_delay_alu instid0(SALU_CYCLE_1) | instskip(NEXT) | instid1(SALU_CYCLE_1)
	s_lshl_b64 s[36:37], s[20:21], 2
	s_add_u32 s36, s29, s36
	s_addc_u32 s37, s30, s37
	global_load_b32 v5, v0, s[36:37]
	s_waitcnt vmcnt(0)
	v_cmp_ngt_f32_e32 vcc_lo, 0, v5
	s_cbranch_vccnz .LBB56_11
; %bb.10:                               ;   in Loop: Header=BB56_9 Depth=3
	v_ashrrev_i32_e32 v3, 31, v2
	s_delay_alu instid0(VALU_DEP_1) | instskip(NEXT) | instid1(VALU_DEP_1)
	v_lshlrev_b64 v[6:7], 2, v[2:3]
	v_add_co_u32 v6, vcc_lo, s31, v6
	s_delay_alu instid0(VALU_DEP_2)
	v_add_co_ci_u32_e32 v7, vcc_lo, s33, v7, vcc_lo
	global_load_b32 v3, v[6:7], off
	s_waitcnt vmcnt(0)
	v_xor_b32_e32 v3, 0x80000000, v3
	global_store_b32 v[6:7], v3, off
.LBB56_11:                              ;   in Loop: Header=BB56_9 Depth=3
	s_and_saveexec_b32 s21, s1
	s_cbranch_execz .LBB56_8
; %bb.12:                               ;   in Loop: Header=BB56_9 Depth=3
	v_and_b32_e32 v3, 0x7fffffff, v5
	global_store_b32 v0, v3, s[22:23]
	s_branch .LBB56_8
.LBB56_13:
	s_nop 0
	s_sendmsg sendmsg(MSG_DEALLOC_VGPRS)
	s_endpgm
	.section	.rodata,"a",@progbits
	.p2align	6, 0x0
	.amdhsa_kernel _ZN9rocsolver6v33100L16gesdd_flip_signsIffEEviPT0_lPT_ilS5_ili
		.amdhsa_group_segment_fixed_size 0
		.amdhsa_private_segment_fixed_size 0
		.amdhsa_kernarg_size 336
		.amdhsa_user_sgpr_count 14
		.amdhsa_user_sgpr_dispatch_ptr 0
		.amdhsa_user_sgpr_queue_ptr 0
		.amdhsa_user_sgpr_kernarg_segment_ptr 1
		.amdhsa_user_sgpr_dispatch_id 0
		.amdhsa_user_sgpr_private_segment_size 0
		.amdhsa_wavefront_size32 1
		.amdhsa_uses_dynamic_stack 0
		.amdhsa_enable_private_segment 0
		.amdhsa_system_sgpr_workgroup_id_x 1
		.amdhsa_system_sgpr_workgroup_id_y 1
		.amdhsa_system_sgpr_workgroup_id_z 0
		.amdhsa_system_sgpr_workgroup_info 0
		.amdhsa_system_vgpr_workitem_id 0
		.amdhsa_next_free_vgpr 8
		.amdhsa_next_free_sgpr 38
		.amdhsa_reserve_vcc 1
		.amdhsa_float_round_mode_32 0
		.amdhsa_float_round_mode_16_64 0
		.amdhsa_float_denorm_mode_32 3
		.amdhsa_float_denorm_mode_16_64 3
		.amdhsa_dx10_clamp 1
		.amdhsa_ieee_mode 1
		.amdhsa_fp16_overflow 0
		.amdhsa_workgroup_processor_mode 1
		.amdhsa_memory_ordered 1
		.amdhsa_forward_progress 0
		.amdhsa_shared_vgpr_count 0
		.amdhsa_exception_fp_ieee_invalid_op 0
		.amdhsa_exception_fp_denorm_src 0
		.amdhsa_exception_fp_ieee_div_zero 0
		.amdhsa_exception_fp_ieee_overflow 0
		.amdhsa_exception_fp_ieee_underflow 0
		.amdhsa_exception_fp_ieee_inexact 0
		.amdhsa_exception_int_div_zero 0
	.end_amdhsa_kernel
	.section	.text._ZN9rocsolver6v33100L16gesdd_flip_signsIffEEviPT0_lPT_ilS5_ili,"axG",@progbits,_ZN9rocsolver6v33100L16gesdd_flip_signsIffEEviPT0_lPT_ilS5_ili,comdat
.Lfunc_end56:
	.size	_ZN9rocsolver6v33100L16gesdd_flip_signsIffEEviPT0_lPT_ilS5_ili, .Lfunc_end56-_ZN9rocsolver6v33100L16gesdd_flip_signsIffEEviPT0_lPT_ilS5_ili
                                        ; -- End function
	.section	.AMDGPU.csdata,"",@progbits
; Kernel info:
; codeLenInByte = 552
; NumSgprs: 40
; NumVgprs: 8
; ScratchSize: 0
; MemoryBound: 0
; FloatMode: 240
; IeeeMode: 1
; LDSByteSize: 0 bytes/workgroup (compile time only)
; SGPRBlocks: 4
; VGPRBlocks: 0
; NumSGPRsForWavesPerEU: 40
; NumVGPRsForWavesPerEU: 8
; Occupancy: 16
; WaveLimiterHint : 0
; COMPUTE_PGM_RSRC2:SCRATCH_EN: 0
; COMPUTE_PGM_RSRC2:USER_SGPR: 14
; COMPUTE_PGM_RSRC2:TRAP_HANDLER: 0
; COMPUTE_PGM_RSRC2:TGID_X_EN: 1
; COMPUTE_PGM_RSRC2:TGID_Y_EN: 1
; COMPUTE_PGM_RSRC2:TGID_Z_EN: 0
; COMPUTE_PGM_RSRC2:TIDIG_COMP_CNT: 0
	.section	.text._ZN9rocsolver6v33100L16org2r_init_identIfPfEEviiiT0_iil,"axG",@progbits,_ZN9rocsolver6v33100L16org2r_init_identIfPfEEviiiT0_iil,comdat
	.globl	_ZN9rocsolver6v33100L16org2r_init_identIfPfEEviiiT0_iil ; -- Begin function _ZN9rocsolver6v33100L16org2r_init_identIfPfEEviiiT0_iil
	.p2align	8
	.type	_ZN9rocsolver6v33100L16org2r_init_identIfPfEEviiiT0_iil,@function
_ZN9rocsolver6v33100L16org2r_init_identIfPfEEviiiT0_iil: ; @_ZN9rocsolver6v33100L16org2r_init_identIfPfEEviiiT0_iil
; %bb.0:
	s_clause 0x1
	s_load_b32 s2, s[0:1], 0x34
	s_load_b128 s[4:7], s[0:1], 0x0
	v_and_b32_e32 v1, 0x3ff, v0
	v_bfe_u32 v0, v0, 10, 10
	s_waitcnt lgkmcnt(0)
	s_lshr_b32 s3, s2, 16
	s_and_b32 s2, s2, 0xffff
	s_delay_alu instid0(SALU_CYCLE_1) | instskip(SKIP_1) | instid1(VALU_DEP_2)
	v_mad_u64_u32 v[4:5], null, s13, s2, v[1:2]
	v_mad_u64_u32 v[2:3], null, s14, s3, v[0:1]
	v_cmp_gt_u32_e32 vcc_lo, s4, v4
	s_delay_alu instid0(VALU_DEP_2) | instskip(NEXT) | instid1(VALU_DEP_1)
	v_cmp_gt_u32_e64 s2, s5, v2
	s_and_b32 s2, vcc_lo, s2
	s_delay_alu instid0(SALU_CYCLE_1)
	s_and_saveexec_b32 s3, s2
	s_cbranch_execz .LBB57_5
; %bb.1:
	s_load_b64 s[2:3], s[0:1], 0x18
	s_mov_b32 s5, 0
	s_mov_b32 s4, exec_lo
                                        ; implicit-def: $vgpr5
                                        ; implicit-def: $vgpr0
	v_cmpx_ne_u32_e64 v4, v2
	s_xor_b32 s4, exec_lo, s4
	s_cbranch_execnz .LBB57_6
; %bb.2:
	s_and_not1_saveexec_b32 s4, s4
	s_cbranch_execnz .LBB57_13
.LBB57_3:
	s_or_b32 exec_lo, exec_lo, s4
	s_delay_alu instid0(SALU_CYCLE_1)
	s_and_b32 exec_lo, exec_lo, s5
	s_cbranch_execz .LBB57_5
.LBB57_4:
	s_clause 0x1
	s_load_b64 s[4:5], s[0:1], 0x20
	s_load_b64 s[0:1], s[0:1], 0x10
	v_mov_b32_e32 v1, 0
	s_delay_alu instid0(VALU_DEP_1)
	v_lshlrev_b64 v[0:1], 2, v[0:1]
	s_waitcnt lgkmcnt(0)
	s_mul_i32 s3, s15, s5
	s_mul_hi_u32 s5, s15, s4
	s_mul_i32 s4, s15, s4
	s_add_i32 s5, s5, s3
	s_ashr_i32 s3, s2, 31
	s_lshl_b64 s[4:5], s[4:5], 2
	s_delay_alu instid0(SALU_CYCLE_1) | instskip(SKIP_2) | instid1(SALU_CYCLE_1)
	s_add_u32 s4, s0, s4
	s_addc_u32 s5, s1, s5
	s_lshl_b64 s[0:1], s[2:3], 2
	s_add_u32 s0, s4, s0
	s_addc_u32 s1, s5, s1
	v_add_co_u32 v0, vcc_lo, s0, v0
	v_add_co_ci_u32_e32 v1, vcc_lo, s1, v1, vcc_lo
	global_store_b32 v[0:1], v5, off
.LBB57_5:
	s_nop 0
	s_sendmsg sendmsg(MSG_DEALLOC_VGPRS)
	s_endpgm
.LBB57_6:
	s_mov_b32 s8, exec_lo
                                        ; implicit-def: $sgpr7
                                        ; implicit-def: $vgpr0
	v_cmpx_le_u32_e64 v2, v4
	s_xor_b32 s8, exec_lo, s8
	s_cbranch_execz .LBB57_10
; %bb.7:
	v_cmp_le_u32_e32 vcc_lo, s6, v2
                                        ; implicit-def: $sgpr7
                                        ; implicit-def: $vgpr0
	s_and_saveexec_b32 s6, vcc_lo
	s_delay_alu instid0(SALU_CYCLE_1)
	s_xor_b32 s6, exec_lo, s6
	s_cbranch_execz .LBB57_9
; %bb.8:
	s_waitcnt lgkmcnt(0)
	v_mad_u64_u32 v[0:1], null, v2, s3, v[4:5]
	s_mov_b32 s5, exec_lo
	s_mov_b32 s7, 0
.LBB57_9:
	s_or_b32 exec_lo, exec_lo, s6
	s_delay_alu instid0(SALU_CYCLE_1)
	s_and_b32 s5, s5, exec_lo
                                        ; implicit-def: $vgpr4_vgpr5
                                        ; implicit-def: $vgpr2_vgpr3
.LBB57_10:
	s_or_saveexec_b32 s6, s8
	v_mov_b32_e32 v5, s7
	s_xor_b32 exec_lo, exec_lo, s6
	s_cbranch_execz .LBB57_12
; %bb.11:
	s_waitcnt lgkmcnt(0)
	s_delay_alu instid0(VALU_DEP_1)
	v_mad_u64_u32 v[0:1], null, v2, s3, v[4:5]
	v_mov_b32_e32 v5, 0
	s_or_b32 s5, s5, exec_lo
.LBB57_12:
	s_or_b32 exec_lo, exec_lo, s6
	s_delay_alu instid0(SALU_CYCLE_1)
	s_and_b32 s5, s5, exec_lo
                                        ; implicit-def: $vgpr2_vgpr3
	s_and_not1_saveexec_b32 s4, s4
	s_cbranch_execz .LBB57_3
.LBB57_13:
	s_waitcnt lgkmcnt(0)
	v_mad_u64_u32 v[0:1], null, v2, s3, v[2:3]
	v_mov_b32_e32 v5, 1.0
	s_or_b32 s5, s5, exec_lo
	s_or_b32 exec_lo, exec_lo, s4
	s_delay_alu instid0(SALU_CYCLE_1)
	s_and_b32 exec_lo, exec_lo, s5
	s_cbranch_execnz .LBB57_4
	s_branch .LBB57_5
	.section	.rodata,"a",@progbits
	.p2align	6, 0x0
	.amdhsa_kernel _ZN9rocsolver6v33100L16org2r_init_identIfPfEEviiiT0_iil
		.amdhsa_group_segment_fixed_size 0
		.amdhsa_private_segment_fixed_size 0
		.amdhsa_kernarg_size 296
		.amdhsa_user_sgpr_count 13
		.amdhsa_user_sgpr_dispatch_ptr 0
		.amdhsa_user_sgpr_queue_ptr 0
		.amdhsa_user_sgpr_kernarg_segment_ptr 1
		.amdhsa_user_sgpr_dispatch_id 0
		.amdhsa_user_sgpr_private_segment_size 0
		.amdhsa_wavefront_size32 1
		.amdhsa_uses_dynamic_stack 0
		.amdhsa_enable_private_segment 0
		.amdhsa_system_sgpr_workgroup_id_x 1
		.amdhsa_system_sgpr_workgroup_id_y 1
		.amdhsa_system_sgpr_workgroup_id_z 1
		.amdhsa_system_sgpr_workgroup_info 0
		.amdhsa_system_vgpr_workitem_id 1
		.amdhsa_next_free_vgpr 6
		.amdhsa_next_free_sgpr 16
		.amdhsa_reserve_vcc 1
		.amdhsa_float_round_mode_32 0
		.amdhsa_float_round_mode_16_64 0
		.amdhsa_float_denorm_mode_32 3
		.amdhsa_float_denorm_mode_16_64 3
		.amdhsa_dx10_clamp 1
		.amdhsa_ieee_mode 1
		.amdhsa_fp16_overflow 0
		.amdhsa_workgroup_processor_mode 1
		.amdhsa_memory_ordered 1
		.amdhsa_forward_progress 0
		.amdhsa_shared_vgpr_count 0
		.amdhsa_exception_fp_ieee_invalid_op 0
		.amdhsa_exception_fp_denorm_src 0
		.amdhsa_exception_fp_ieee_div_zero 0
		.amdhsa_exception_fp_ieee_overflow 0
		.amdhsa_exception_fp_ieee_underflow 0
		.amdhsa_exception_fp_ieee_inexact 0
		.amdhsa_exception_int_div_zero 0
	.end_amdhsa_kernel
	.section	.text._ZN9rocsolver6v33100L16org2r_init_identIfPfEEviiiT0_iil,"axG",@progbits,_ZN9rocsolver6v33100L16org2r_init_identIfPfEEviiiT0_iil,comdat
.Lfunc_end57:
	.size	_ZN9rocsolver6v33100L16org2r_init_identIfPfEEviiiT0_iil, .Lfunc_end57-_ZN9rocsolver6v33100L16org2r_init_identIfPfEEviiiT0_iil
                                        ; -- End function
	.section	.AMDGPU.csdata,"",@progbits
; Kernel info:
; codeLenInByte = 452
; NumSgprs: 18
; NumVgprs: 6
; ScratchSize: 0
; MemoryBound: 0
; FloatMode: 240
; IeeeMode: 1
; LDSByteSize: 0 bytes/workgroup (compile time only)
; SGPRBlocks: 2
; VGPRBlocks: 0
; NumSGPRsForWavesPerEU: 18
; NumVGPRsForWavesPerEU: 6
; Occupancy: 16
; WaveLimiterHint : 0
; COMPUTE_PGM_RSRC2:SCRATCH_EN: 0
; COMPUTE_PGM_RSRC2:USER_SGPR: 13
; COMPUTE_PGM_RSRC2:TRAP_HANDLER: 0
; COMPUTE_PGM_RSRC2:TGID_X_EN: 1
; COMPUTE_PGM_RSRC2:TGID_Y_EN: 1
; COMPUTE_PGM_RSRC2:TGID_Z_EN: 1
; COMPUTE_PGM_RSRC2:TIDIG_COMP_CNT: 1
	.section	.text._ZN9rocsolver6v33100L12subtract_tauIfPfEEviiT0_iilPT_l,"axG",@progbits,_ZN9rocsolver6v33100L12subtract_tauIfPfEEviiT0_iilPT_l,comdat
	.globl	_ZN9rocsolver6v33100L12subtract_tauIfPfEEviiT0_iilPT_l ; -- Begin function _ZN9rocsolver6v33100L12subtract_tauIfPfEEviiT0_iilPT_l
	.p2align	8
	.type	_ZN9rocsolver6v33100L12subtract_tauIfPfEEviiT0_iilPT_l,@function
_ZN9rocsolver6v33100L12subtract_tauIfPfEEviiT0_iilPT_l: ; @_ZN9rocsolver6v33100L12subtract_tauIfPfEEviiT0_iilPT_l
; %bb.0:
	s_clause 0x3
	s_load_b64 s[8:9], s[0:1], 0x10
	s_load_b128 s[4:7], s[0:1], 0x18
	s_load_b64 s[10:11], s[0:1], 0x28
	s_load_b128 s[0:3], s[0:1], 0x0
	s_waitcnt lgkmcnt(0)
	s_ashr_i32 s13, s8, 31
	s_mov_b32 s12, s8
	s_mul_i32 s5, s15, s5
	s_mul_hi_u32 s8, s15, s4
	s_mul_i32 s4, s15, s4
	s_add_i32 s5, s8, s5
	s_mul_i32 s8, s15, s11
	s_lshl_b64 s[4:5], s[4:5], 2
	s_mul_hi_u32 s11, s15, s10
	s_add_u32 s14, s2, s4
	s_addc_u32 s5, s3, s5
	s_lshl_b64 s[2:3], s[12:13], 2
	s_mul_i32 s4, s15, s10
	s_add_u32 s10, s14, s2
	s_addc_u32 s12, s5, s3
	s_add_i32 s5, s11, s8
	s_mul_i32 s1, s9, s1
	s_lshl_b64 s[2:3], s[4:5], 2
	s_delay_alu instid0(SALU_CYCLE_1) | instskip(SKIP_4) | instid1(SALU_CYCLE_1)
	s_add_u32 s2, s6, s2
	s_addc_u32 s3, s7, s3
	s_add_i32 s0, s1, s0
	s_load_b32 s4, s[2:3], 0x0
	s_ashr_i32 s1, s0, 31
	s_lshl_b64 s[0:1], s[0:1], 2
	s_waitcnt lgkmcnt(0)
	s_xor_b32 s5, s4, 0x80000000
	s_delay_alu instid0(SALU_CYCLE_1)
	v_dual_mov_b32 v0, 0 :: v_dual_mov_b32 v1, s5
	v_sub_f32_e64 v2, 1.0, s4
	s_add_u32 s0, s10, s0
	s_addc_u32 s1, s12, s1
	s_clause 0x1
	global_store_b32 v0, v1, s[2:3]
	global_store_b32 v0, v2, s[0:1]
	s_nop 0
	s_sendmsg sendmsg(MSG_DEALLOC_VGPRS)
	s_endpgm
	.section	.rodata,"a",@progbits
	.p2align	6, 0x0
	.amdhsa_kernel _ZN9rocsolver6v33100L12subtract_tauIfPfEEviiT0_iilPT_l
		.amdhsa_group_segment_fixed_size 0
		.amdhsa_private_segment_fixed_size 0
		.amdhsa_kernarg_size 48
		.amdhsa_user_sgpr_count 15
		.amdhsa_user_sgpr_dispatch_ptr 0
		.amdhsa_user_sgpr_queue_ptr 0
		.amdhsa_user_sgpr_kernarg_segment_ptr 1
		.amdhsa_user_sgpr_dispatch_id 0
		.amdhsa_user_sgpr_private_segment_size 0
		.amdhsa_wavefront_size32 1
		.amdhsa_uses_dynamic_stack 0
		.amdhsa_enable_private_segment 0
		.amdhsa_system_sgpr_workgroup_id_x 1
		.amdhsa_system_sgpr_workgroup_id_y 0
		.amdhsa_system_sgpr_workgroup_id_z 0
		.amdhsa_system_sgpr_workgroup_info 0
		.amdhsa_system_vgpr_workitem_id 0
		.amdhsa_next_free_vgpr 3
		.amdhsa_next_free_sgpr 16
		.amdhsa_reserve_vcc 0
		.amdhsa_float_round_mode_32 0
		.amdhsa_float_round_mode_16_64 0
		.amdhsa_float_denorm_mode_32 3
		.amdhsa_float_denorm_mode_16_64 3
		.amdhsa_dx10_clamp 1
		.amdhsa_ieee_mode 1
		.amdhsa_fp16_overflow 0
		.amdhsa_workgroup_processor_mode 1
		.amdhsa_memory_ordered 1
		.amdhsa_forward_progress 0
		.amdhsa_shared_vgpr_count 0
		.amdhsa_exception_fp_ieee_invalid_op 0
		.amdhsa_exception_fp_denorm_src 0
		.amdhsa_exception_fp_ieee_div_zero 0
		.amdhsa_exception_fp_ieee_overflow 0
		.amdhsa_exception_fp_ieee_underflow 0
		.amdhsa_exception_fp_ieee_inexact 0
		.amdhsa_exception_int_div_zero 0
	.end_amdhsa_kernel
	.section	.text._ZN9rocsolver6v33100L12subtract_tauIfPfEEviiT0_iilPT_l,"axG",@progbits,_ZN9rocsolver6v33100L12subtract_tauIfPfEEviiT0_iilPT_l,comdat
.Lfunc_end58:
	.size	_ZN9rocsolver6v33100L12subtract_tauIfPfEEviiT0_iilPT_l, .Lfunc_end58-_ZN9rocsolver6v33100L12subtract_tauIfPfEEviiT0_iilPT_l
                                        ; -- End function
	.section	.AMDGPU.csdata,"",@progbits
; Kernel info:
; codeLenInByte = 216
; NumSgprs: 16
; NumVgprs: 3
; ScratchSize: 0
; MemoryBound: 0
; FloatMode: 240
; IeeeMode: 1
; LDSByteSize: 0 bytes/workgroup (compile time only)
; SGPRBlocks: 1
; VGPRBlocks: 0
; NumSGPRsForWavesPerEU: 16
; NumVGPRsForWavesPerEU: 3
; Occupancy: 16
; WaveLimiterHint : 0
; COMPUTE_PGM_RSRC2:SCRATCH_EN: 0
; COMPUTE_PGM_RSRC2:USER_SGPR: 15
; COMPUTE_PGM_RSRC2:TRAP_HANDLER: 0
; COMPUTE_PGM_RSRC2:TGID_X_EN: 1
; COMPUTE_PGM_RSRC2:TGID_Y_EN: 0
; COMPUTE_PGM_RSRC2:TGID_Z_EN: 0
; COMPUTE_PGM_RSRC2:TIDIG_COMP_CNT: 0
	.section	.text._ZN9rocsolver6v33100L6restauIfEEviPT_l,"axG",@progbits,_ZN9rocsolver6v33100L6restauIfEEviPT_l,comdat
	.globl	_ZN9rocsolver6v33100L6restauIfEEviPT_l ; -- Begin function _ZN9rocsolver6v33100L6restauIfEEviPT_l
	.p2align	8
	.type	_ZN9rocsolver6v33100L6restauIfEEviPT_l,@function
_ZN9rocsolver6v33100L6restauIfEEviPT_l: ; @_ZN9rocsolver6v33100L6restauIfEEviPT_l
; %bb.0:
	s_clause 0x1
	s_load_b32 s2, s[0:1], 0x24
	s_load_b32 s3, s[0:1], 0x0
	s_waitcnt lgkmcnt(0)
	s_and_b32 s2, s2, 0xffff
	s_delay_alu instid0(SALU_CYCLE_1) | instskip(SKIP_1) | instid1(VALU_DEP_1)
	v_mad_u64_u32 v[1:2], null, s14, s2, v[0:1]
	s_mov_b32 s2, exec_lo
	v_cmpx_gt_u32_e64 s3, v1
	s_cbranch_execz .LBB59_2
; %bb.1:
	s_load_b128 s[0:3], s[0:1], 0x8
	v_mov_b32_e32 v2, 0
	s_delay_alu instid0(VALU_DEP_1)
	v_lshlrev_b64 v[0:1], 2, v[1:2]
	s_waitcnt lgkmcnt(0)
	s_mul_i32 s3, s15, s3
	s_mul_hi_u32 s4, s15, s2
	s_mul_i32 s2, s15, s2
	s_add_i32 s3, s4, s3
	s_delay_alu instid0(SALU_CYCLE_1) | instskip(NEXT) | instid1(SALU_CYCLE_1)
	s_lshl_b64 s[2:3], s[2:3], 2
	s_add_u32 s0, s0, s2
	s_addc_u32 s1, s1, s3
	v_add_co_u32 v0, vcc_lo, s0, v0
	v_add_co_ci_u32_e32 v1, vcc_lo, s1, v1, vcc_lo
	global_load_b32 v2, v[0:1], off
	s_waitcnt vmcnt(0)
	v_xor_b32_e32 v2, 0x80000000, v2
	global_store_b32 v[0:1], v2, off
.LBB59_2:
	s_nop 0
	s_sendmsg sendmsg(MSG_DEALLOC_VGPRS)
	s_endpgm
	.section	.rodata,"a",@progbits
	.p2align	6, 0x0
	.amdhsa_kernel _ZN9rocsolver6v33100L6restauIfEEviPT_l
		.amdhsa_group_segment_fixed_size 0
		.amdhsa_private_segment_fixed_size 0
		.amdhsa_kernarg_size 280
		.amdhsa_user_sgpr_count 14
		.amdhsa_user_sgpr_dispatch_ptr 0
		.amdhsa_user_sgpr_queue_ptr 0
		.amdhsa_user_sgpr_kernarg_segment_ptr 1
		.amdhsa_user_sgpr_dispatch_id 0
		.amdhsa_user_sgpr_private_segment_size 0
		.amdhsa_wavefront_size32 1
		.amdhsa_uses_dynamic_stack 0
		.amdhsa_enable_private_segment 0
		.amdhsa_system_sgpr_workgroup_id_x 1
		.amdhsa_system_sgpr_workgroup_id_y 1
		.amdhsa_system_sgpr_workgroup_id_z 0
		.amdhsa_system_sgpr_workgroup_info 0
		.amdhsa_system_vgpr_workitem_id 0
		.amdhsa_next_free_vgpr 3
		.amdhsa_next_free_sgpr 16
		.amdhsa_reserve_vcc 1
		.amdhsa_float_round_mode_32 0
		.amdhsa_float_round_mode_16_64 0
		.amdhsa_float_denorm_mode_32 3
		.amdhsa_float_denorm_mode_16_64 3
		.amdhsa_dx10_clamp 1
		.amdhsa_ieee_mode 1
		.amdhsa_fp16_overflow 0
		.amdhsa_workgroup_processor_mode 1
		.amdhsa_memory_ordered 1
		.amdhsa_forward_progress 0
		.amdhsa_shared_vgpr_count 0
		.amdhsa_exception_fp_ieee_invalid_op 0
		.amdhsa_exception_fp_denorm_src 0
		.amdhsa_exception_fp_ieee_div_zero 0
		.amdhsa_exception_fp_ieee_overflow 0
		.amdhsa_exception_fp_ieee_underflow 0
		.amdhsa_exception_fp_ieee_inexact 0
		.amdhsa_exception_int_div_zero 0
	.end_amdhsa_kernel
	.section	.text._ZN9rocsolver6v33100L6restauIfEEviPT_l,"axG",@progbits,_ZN9rocsolver6v33100L6restauIfEEviPT_l,comdat
.Lfunc_end59:
	.size	_ZN9rocsolver6v33100L6restauIfEEviPT_l, .Lfunc_end59-_ZN9rocsolver6v33100L6restauIfEEviPT_l
                                        ; -- End function
	.section	.AMDGPU.csdata,"",@progbits
; Kernel info:
; codeLenInByte = 172
; NumSgprs: 18
; NumVgprs: 3
; ScratchSize: 0
; MemoryBound: 0
; FloatMode: 240
; IeeeMode: 1
; LDSByteSize: 0 bytes/workgroup (compile time only)
; SGPRBlocks: 2
; VGPRBlocks: 0
; NumSGPRsForWavesPerEU: 18
; NumVGPRsForWavesPerEU: 3
; Occupancy: 16
; WaveLimiterHint : 0
; COMPUTE_PGM_RSRC2:SCRATCH_EN: 0
; COMPUTE_PGM_RSRC2:USER_SGPR: 14
; COMPUTE_PGM_RSRC2:TRAP_HANDLER: 0
; COMPUTE_PGM_RSRC2:TGID_X_EN: 1
; COMPUTE_PGM_RSRC2:TGID_Y_EN: 1
; COMPUTE_PGM_RSRC2:TGID_Z_EN: 0
; COMPUTE_PGM_RSRC2:TIDIG_COMP_CNT: 0
	.section	.text._ZN9rocsolver6v33100L8set_zeroIfPfEEviiT0_iil13rocblas_fill_,"axG",@progbits,_ZN9rocsolver6v33100L8set_zeroIfPfEEviiT0_iil13rocblas_fill_,comdat
	.globl	_ZN9rocsolver6v33100L8set_zeroIfPfEEviiT0_iil13rocblas_fill_ ; -- Begin function _ZN9rocsolver6v33100L8set_zeroIfPfEEviiT0_iil13rocblas_fill_
	.p2align	8
	.type	_ZN9rocsolver6v33100L8set_zeroIfPfEEviiT0_iil13rocblas_fill_,@function
_ZN9rocsolver6v33100L8set_zeroIfPfEEviiT0_iil13rocblas_fill_: ; @_ZN9rocsolver6v33100L8set_zeroIfPfEEviiT0_iil13rocblas_fill_
; %bb.0:
	s_clause 0x1
	s_load_b32 s4, s[0:1], 0x34
	s_load_b64 s[2:3], s[0:1], 0x0
	v_and_b32_e32 v2, 0x3ff, v0
	v_bfe_u32 v3, v0, 10, 10
	s_waitcnt lgkmcnt(0)
	s_lshr_b32 s5, s4, 16
	s_and_b32 s4, s4, 0xffff
	s_delay_alu instid0(VALU_DEP_1) | instid1(SALU_CYCLE_1)
	v_mad_u64_u32 v[0:1], null, s13, s4, v[2:3]
	v_mad_u64_u32 v[1:2], null, s14, s5, v[3:4]
	s_delay_alu instid0(VALU_DEP_2) | instskip(NEXT) | instid1(VALU_DEP_2)
	v_cmp_gt_u32_e32 vcc_lo, s2, v0
	v_cmp_gt_u32_e64 s2, s3, v1
	s_delay_alu instid0(VALU_DEP_1) | instskip(NEXT) | instid1(SALU_CYCLE_1)
	s_and_b32 s2, vcc_lo, s2
	s_and_saveexec_b32 s3, s2
	s_cbranch_execz .LBB60_12
; %bb.1:
	s_load_b32 s3, s[0:1], 0x20
	s_waitcnt lgkmcnt(0)
	s_cmpk_lt_i32 s3, 0x7a
	s_cbranch_scc1 .LBB60_4
; %bb.2:
	s_cmpk_gt_i32 s3, 0x7a
	s_cbranch_scc0 .LBB60_5
; %bb.3:
	s_cmpk_eq_i32 s3, 0x7b
	s_cselect_b32 s2, -1, 0
	s_cbranch_execz .LBB60_6
	s_branch .LBB60_7
.LBB60_4:
	s_mov_b32 s2, 0
	s_cbranch_execnz .LBB60_8
	s_branch .LBB60_10
.LBB60_5:
	s_mov_b32 s2, 0
.LBB60_6:
	v_cmp_gt_u32_e32 vcc_lo, v1, v0
	s_and_not1_b32 s2, s2, exec_lo
	s_and_b32 s4, vcc_lo, exec_lo
	s_delay_alu instid0(SALU_CYCLE_1)
	s_or_b32 s2, s2, s4
.LBB60_7:
	s_branch .LBB60_10
.LBB60_8:
	s_cmpk_eq_i32 s3, 0x79
	s_cbranch_scc0 .LBB60_10
; %bb.9:
	v_cmp_gt_u32_e32 vcc_lo, v0, v1
	s_and_not1_b32 s2, s2, exec_lo
	s_and_b32 s3, vcc_lo, exec_lo
	s_delay_alu instid0(SALU_CYCLE_1)
	s_or_b32 s2, s2, s3
.LBB60_10:
	s_delay_alu instid0(SALU_CYCLE_1)
	s_and_b32 exec_lo, exec_lo, s2
	s_cbranch_execz .LBB60_12
; %bb.11:
	s_clause 0x1
	s_load_b128 s[4:7], s[0:1], 0x8
	s_load_b64 s[0:1], s[0:1], 0x18
	s_waitcnt lgkmcnt(0)
	v_mad_u64_u32 v[2:3], null, v1, s7, v[0:1]
	s_mul_i32 s1, s15, s1
	s_mul_hi_u32 s2, s15, s0
	v_mov_b32_e32 v3, 0
	s_mul_i32 s0, s15, s0
	s_add_i32 s1, s2, s1
	s_ashr_i32 s3, s6, 31
	s_lshl_b64 s[0:1], s[0:1], 2
	s_mov_b32 s2, s6
	v_lshlrev_b64 v[0:1], 2, v[2:3]
	s_add_u32 s4, s4, s0
	s_addc_u32 s5, s5, s1
	s_lshl_b64 s[0:1], s[2:3], 2
	s_delay_alu instid0(SALU_CYCLE_1)
	s_add_u32 s0, s4, s0
	s_addc_u32 s1, s5, s1
	v_add_co_u32 v0, vcc_lo, s0, v0
	v_add_co_ci_u32_e32 v1, vcc_lo, s1, v1, vcc_lo
	global_store_b32 v[0:1], v3, off
.LBB60_12:
	s_nop 0
	s_sendmsg sendmsg(MSG_DEALLOC_VGPRS)
	s_endpgm
	.section	.rodata,"a",@progbits
	.p2align	6, 0x0
	.amdhsa_kernel _ZN9rocsolver6v33100L8set_zeroIfPfEEviiT0_iil13rocblas_fill_
		.amdhsa_group_segment_fixed_size 0
		.amdhsa_private_segment_fixed_size 0
		.amdhsa_kernarg_size 296
		.amdhsa_user_sgpr_count 13
		.amdhsa_user_sgpr_dispatch_ptr 0
		.amdhsa_user_sgpr_queue_ptr 0
		.amdhsa_user_sgpr_kernarg_segment_ptr 1
		.amdhsa_user_sgpr_dispatch_id 0
		.amdhsa_user_sgpr_private_segment_size 0
		.amdhsa_wavefront_size32 1
		.amdhsa_uses_dynamic_stack 0
		.amdhsa_enable_private_segment 0
		.amdhsa_system_sgpr_workgroup_id_x 1
		.amdhsa_system_sgpr_workgroup_id_y 1
		.amdhsa_system_sgpr_workgroup_id_z 1
		.amdhsa_system_sgpr_workgroup_info 0
		.amdhsa_system_vgpr_workitem_id 1
		.amdhsa_next_free_vgpr 5
		.amdhsa_next_free_sgpr 16
		.amdhsa_reserve_vcc 1
		.amdhsa_float_round_mode_32 0
		.amdhsa_float_round_mode_16_64 0
		.amdhsa_float_denorm_mode_32 3
		.amdhsa_float_denorm_mode_16_64 3
		.amdhsa_dx10_clamp 1
		.amdhsa_ieee_mode 1
		.amdhsa_fp16_overflow 0
		.amdhsa_workgroup_processor_mode 1
		.amdhsa_memory_ordered 1
		.amdhsa_forward_progress 0
		.amdhsa_shared_vgpr_count 0
		.amdhsa_exception_fp_ieee_invalid_op 0
		.amdhsa_exception_fp_denorm_src 0
		.amdhsa_exception_fp_ieee_div_zero 0
		.amdhsa_exception_fp_ieee_overflow 0
		.amdhsa_exception_fp_ieee_underflow 0
		.amdhsa_exception_fp_ieee_inexact 0
		.amdhsa_exception_int_div_zero 0
	.end_amdhsa_kernel
	.section	.text._ZN9rocsolver6v33100L8set_zeroIfPfEEviiT0_iil13rocblas_fill_,"axG",@progbits,_ZN9rocsolver6v33100L8set_zeroIfPfEEviiT0_iil13rocblas_fill_,comdat
.Lfunc_end60:
	.size	_ZN9rocsolver6v33100L8set_zeroIfPfEEviiT0_iil13rocblas_fill_, .Lfunc_end60-_ZN9rocsolver6v33100L8set_zeroIfPfEEviiT0_iil13rocblas_fill_
                                        ; -- End function
	.section	.AMDGPU.csdata,"",@progbits
; Kernel info:
; codeLenInByte = 356
; NumSgprs: 18
; NumVgprs: 5
; ScratchSize: 0
; MemoryBound: 0
; FloatMode: 240
; IeeeMode: 1
; LDSByteSize: 0 bytes/workgroup (compile time only)
; SGPRBlocks: 2
; VGPRBlocks: 0
; NumSGPRsForWavesPerEU: 18
; NumVGPRsForWavesPerEU: 5
; Occupancy: 16
; WaveLimiterHint : 0
; COMPUTE_PGM_RSRC2:SCRATCH_EN: 0
; COMPUTE_PGM_RSRC2:USER_SGPR: 13
; COMPUTE_PGM_RSRC2:TRAP_HANDLER: 0
; COMPUTE_PGM_RSRC2:TGID_X_EN: 1
; COMPUTE_PGM_RSRC2:TGID_Y_EN: 1
; COMPUTE_PGM_RSRC2:TGID_Z_EN: 1
; COMPUTE_PGM_RSRC2:TIDIG_COMP_CNT: 1
	.section	.text._ZN9rocsolver6v33100L14copy_trans_matIffPfS2_NS0_7no_maskEEEv18rocblas_operation_iiT1_iilT2_iilT3_13rocblas_fill_17rocblas_diagonal_,"axG",@progbits,_ZN9rocsolver6v33100L14copy_trans_matIffPfS2_NS0_7no_maskEEEv18rocblas_operation_iiT1_iilT2_iilT3_13rocblas_fill_17rocblas_diagonal_,comdat
	.globl	_ZN9rocsolver6v33100L14copy_trans_matIffPfS2_NS0_7no_maskEEEv18rocblas_operation_iiT1_iilT2_iilT3_13rocblas_fill_17rocblas_diagonal_ ; -- Begin function _ZN9rocsolver6v33100L14copy_trans_matIffPfS2_NS0_7no_maskEEEv18rocblas_operation_iiT1_iilT2_iilT3_13rocblas_fill_17rocblas_diagonal_
	.p2align	8
	.type	_ZN9rocsolver6v33100L14copy_trans_matIffPfS2_NS0_7no_maskEEEv18rocblas_operation_iiT1_iilT2_iilT3_13rocblas_fill_17rocblas_diagonal_,@function
_ZN9rocsolver6v33100L14copy_trans_matIffPfS2_NS0_7no_maskEEEv18rocblas_operation_iiT1_iilT2_iilT3_13rocblas_fill_17rocblas_diagonal_: ; @_ZN9rocsolver6v33100L14copy_trans_matIffPfS2_NS0_7no_maskEEEv18rocblas_operation_iiT1_iilT2_iilT3_13rocblas_fill_17rocblas_diagonal_
; %bb.0:
	s_clause 0x1
	s_load_b32 s2, s[0:1], 0x5c
	s_load_b128 s[16:19], s[0:1], 0x0
	v_and_b32_e32 v2, 0x3ff, v0
	v_bfe_u32 v3, v0, 10, 10
	s_waitcnt lgkmcnt(0)
	s_lshr_b32 s3, s2, 16
	s_and_b32 s2, s2, 0xffff
	s_delay_alu instid0(VALU_DEP_1) | instid1(SALU_CYCLE_1)
	v_mad_u64_u32 v[0:1], null, s13, s2, v[2:3]
	v_mad_u64_u32 v[1:2], null, s14, s3, v[3:4]
	s_delay_alu instid0(VALU_DEP_2) | instskip(NEXT) | instid1(VALU_DEP_2)
	v_cmp_gt_u32_e32 vcc_lo, s17, v0
	v_cmp_gt_u32_e64 s2, s18, v1
	s_delay_alu instid0(VALU_DEP_1) | instskip(NEXT) | instid1(SALU_CYCLE_1)
	s_and_b32 s2, s2, vcc_lo
	s_and_saveexec_b32 s3, s2
	s_cbranch_execz .LBB61_24
; %bb.1:
	s_load_b64 s[4:5], s[0:1], 0x44
	s_waitcnt lgkmcnt(0)
	s_cmpk_lt_i32 s4, 0x7a
	s_cbranch_scc1 .LBB61_4
; %bb.2:
	s_cmpk_gt_i32 s4, 0x7a
	s_cbranch_scc0 .LBB61_5
; %bb.3:
	s_cmpk_lg_i32 s4, 0x7b
	s_mov_b32 s3, -1
	s_cselect_b32 s6, -1, 0
	s_cbranch_execz .LBB61_6
	s_branch .LBB61_7
.LBB61_4:
	s_mov_b32 s6, 0
	s_mov_b32 s3, 0
	s_cbranch_execnz .LBB61_8
	s_branch .LBB61_10
.LBB61_5:
	s_mov_b32 s3, 0
	s_mov_b32 s6, 0
.LBB61_6:
	v_cmp_gt_u32_e32 vcc_lo, v0, v1
	v_cmp_le_u32_e64 s2, v0, v1
	s_and_not1_b32 s3, s3, exec_lo
	s_and_not1_b32 s6, s6, exec_lo
	s_and_b32 s7, vcc_lo, exec_lo
	s_delay_alu instid0(VALU_DEP_1)
	s_and_b32 s2, s2, exec_lo
	s_or_b32 s3, s3, s7
	s_or_b32 s6, s6, s2
.LBB61_7:
	s_branch .LBB61_10
.LBB61_8:
	s_cmpk_eq_i32 s4, 0x79
	s_mov_b32 s6, -1
	s_cbranch_scc0 .LBB61_10
; %bb.9:
	v_cmp_gt_u32_e32 vcc_lo, v1, v0
	v_cmp_le_u32_e64 s2, v1, v0
	s_and_not1_b32 s3, s3, exec_lo
	s_and_b32 s4, vcc_lo, exec_lo
	s_delay_alu instid0(VALU_DEP_1)
	s_or_not1_b32 s6, s2, exec_lo
	s_or_b32 s3, s3, s4
.LBB61_10:
	s_and_saveexec_b32 s2, s6
; %bb.11:
	v_cmp_eq_u32_e32 vcc_lo, v0, v1
	s_cmpk_eq_i32 s5, 0x83
	s_cselect_b32 s4, -1, 0
	s_and_not1_b32 s3, s3, exec_lo
	s_and_b32 s4, s4, vcc_lo
	s_delay_alu instid0(SALU_CYCLE_1) | instskip(NEXT) | instid1(SALU_CYCLE_1)
	s_and_b32 s4, s4, exec_lo
	s_or_b32 s3, s3, s4
; %bb.12:
	s_or_b32 exec_lo, exec_lo, s2
	s_delay_alu instid0(SALU_CYCLE_1)
	s_and_b32 exec_lo, exec_lo, s3
	s_cbranch_execz .LBB61_24
; %bb.13:
	s_load_b256 s[4:11], s[0:1], 0x10
	s_waitcnt lgkmcnt(0)
	v_mad_u64_u32 v[2:3], null, v1, s7, v[0:1]
	s_mul_i32 s2, s15, s9
	s_mul_hi_u32 s9, s15, s8
	v_mov_b32_e32 v3, 0
	s_mul_i32 s8, s15, s8
	s_add_i32 s9, s9, s2
	s_ashr_i32 s3, s6, 31
	s_lshl_b64 s[8:9], s[8:9], 2
	s_mov_b32 s2, s6
	v_lshlrev_b64 v[2:3], 2, v[2:3]
	s_add_u32 s4, s4, s8
	s_addc_u32 s5, s5, s9
	s_lshl_b64 s[2:3], s[2:3], 2
	s_delay_alu instid0(SALU_CYCLE_1)
	s_add_u32 s2, s4, s2
	s_addc_u32 s3, s5, s3
	v_add_co_u32 v2, vcc_lo, s2, v2
	v_add_co_ci_u32_e32 v3, vcc_lo, s3, v3, vcc_lo
	s_load_b64 s[2:3], s[0:1], 0x30
	s_cmpk_lt_i32 s16, 0x71
	s_mov_b32 s4, 0
	global_load_b32 v4, v[2:3], off
	s_cbranch_scc1 .LBB61_16
; %bb.14:
	s_cmpk_eq_i32 s16, 0x71
	s_cbranch_scc0 .LBB61_17
; %bb.15:
	s_waitcnt lgkmcnt(0)
	v_mad_u64_u32 v[2:3], null, v0, s3, v[1:2]
	s_mov_b32 s5, 0
	s_branch .LBB61_18
.LBB61_16:
	s_mov_b32 s5, 0
                                        ; implicit-def: $vgpr2
	s_cbranch_execnz .LBB61_19
	s_branch .LBB61_20
.LBB61_17:
	s_mov_b32 s5, -1
                                        ; implicit-def: $vgpr2
.LBB61_18:
	s_branch .LBB61_20
.LBB61_19:
	s_cmpk_lg_i32 s16, 0x70
	s_mov_b32 s4, -1
	s_cselect_b32 s5, -1, 0
                                        ; implicit-def: $vgpr2
.LBB61_20:
	s_delay_alu instid0(SALU_CYCLE_1)
	s_and_not1_b32 vcc_lo, exec_lo, s5
	s_cbranch_vccz .LBB61_25
; %bb.21:
	s_and_not1_b32 vcc_lo, exec_lo, s4
	s_cbranch_vccnz .LBB61_23
.LBB61_22:
	s_waitcnt lgkmcnt(0)
	s_delay_alu instid0(VALU_DEP_1)
	v_mad_u64_u32 v[2:3], null, v0, s3, v[1:2]
.LBB61_23:
	s_load_b64 s[0:1], s[0:1], 0x38
	v_mov_b32_e32 v3, 0
	s_delay_alu instid0(VALU_DEP_1)
	v_lshlrev_b64 v[0:1], 2, v[2:3]
	s_waitcnt lgkmcnt(0)
	s_mul_i32 s1, s15, s1
	s_mul_hi_u32 s3, s15, s0
	s_mul_i32 s0, s15, s0
	s_add_i32 s1, s3, s1
	s_ashr_i32 s3, s2, 31
	s_lshl_b64 s[0:1], s[0:1], 2
	s_delay_alu instid0(SALU_CYCLE_1) | instskip(SKIP_2) | instid1(SALU_CYCLE_1)
	s_add_u32 s4, s10, s0
	s_addc_u32 s5, s11, s1
	s_lshl_b64 s[0:1], s[2:3], 2
	s_add_u32 s0, s4, s0
	s_addc_u32 s1, s5, s1
	v_add_co_u32 v0, vcc_lo, s0, v0
	v_add_co_ci_u32_e32 v1, vcc_lo, s1, v1, vcc_lo
	s_waitcnt vmcnt(0)
	global_store_b32 v[0:1], v4, off
.LBB61_24:
	s_nop 0
	s_sendmsg sendmsg(MSG_DEALLOC_VGPRS)
	s_endpgm
.LBB61_25:
	s_waitcnt lgkmcnt(0)
	v_mad_u64_u32 v[2:3], null, v1, s3, v[0:1]
	s_cbranch_execz .LBB61_22
	s_branch .LBB61_23
	.section	.rodata,"a",@progbits
	.p2align	6, 0x0
	.amdhsa_kernel _ZN9rocsolver6v33100L14copy_trans_matIffPfS2_NS0_7no_maskEEEv18rocblas_operation_iiT1_iilT2_iilT3_13rocblas_fill_17rocblas_diagonal_
		.amdhsa_group_segment_fixed_size 0
		.amdhsa_private_segment_fixed_size 0
		.amdhsa_kernarg_size 336
		.amdhsa_user_sgpr_count 13
		.amdhsa_user_sgpr_dispatch_ptr 0
		.amdhsa_user_sgpr_queue_ptr 0
		.amdhsa_user_sgpr_kernarg_segment_ptr 1
		.amdhsa_user_sgpr_dispatch_id 0
		.amdhsa_user_sgpr_private_segment_size 0
		.amdhsa_wavefront_size32 1
		.amdhsa_uses_dynamic_stack 0
		.amdhsa_enable_private_segment 0
		.amdhsa_system_sgpr_workgroup_id_x 1
		.amdhsa_system_sgpr_workgroup_id_y 1
		.amdhsa_system_sgpr_workgroup_id_z 1
		.amdhsa_system_sgpr_workgroup_info 0
		.amdhsa_system_vgpr_workitem_id 1
		.amdhsa_next_free_vgpr 5
		.amdhsa_next_free_sgpr 20
		.amdhsa_reserve_vcc 1
		.amdhsa_float_round_mode_32 0
		.amdhsa_float_round_mode_16_64 0
		.amdhsa_float_denorm_mode_32 3
		.amdhsa_float_denorm_mode_16_64 3
		.amdhsa_dx10_clamp 1
		.amdhsa_ieee_mode 1
		.amdhsa_fp16_overflow 0
		.amdhsa_workgroup_processor_mode 1
		.amdhsa_memory_ordered 1
		.amdhsa_forward_progress 0
		.amdhsa_shared_vgpr_count 0
		.amdhsa_exception_fp_ieee_invalid_op 0
		.amdhsa_exception_fp_denorm_src 0
		.amdhsa_exception_fp_ieee_div_zero 0
		.amdhsa_exception_fp_ieee_overflow 0
		.amdhsa_exception_fp_ieee_underflow 0
		.amdhsa_exception_fp_ieee_inexact 0
		.amdhsa_exception_int_div_zero 0
	.end_amdhsa_kernel
	.section	.text._ZN9rocsolver6v33100L14copy_trans_matIffPfS2_NS0_7no_maskEEEv18rocblas_operation_iiT1_iilT2_iilT3_13rocblas_fill_17rocblas_diagonal_,"axG",@progbits,_ZN9rocsolver6v33100L14copy_trans_matIffPfS2_NS0_7no_maskEEEv18rocblas_operation_iiT1_iilT2_iilT3_13rocblas_fill_17rocblas_diagonal_,comdat
.Lfunc_end61:
	.size	_ZN9rocsolver6v33100L14copy_trans_matIffPfS2_NS0_7no_maskEEEv18rocblas_operation_iiT1_iilT2_iilT3_13rocblas_fill_17rocblas_diagonal_, .Lfunc_end61-_ZN9rocsolver6v33100L14copy_trans_matIffPfS2_NS0_7no_maskEEEv18rocblas_operation_iiT1_iilT2_iilT3_13rocblas_fill_17rocblas_diagonal_
                                        ; -- End function
	.section	.AMDGPU.csdata,"",@progbits
; Kernel info:
; codeLenInByte = 668
; NumSgprs: 22
; NumVgprs: 5
; ScratchSize: 0
; MemoryBound: 0
; FloatMode: 240
; IeeeMode: 1
; LDSByteSize: 0 bytes/workgroup (compile time only)
; SGPRBlocks: 2
; VGPRBlocks: 0
; NumSGPRsForWavesPerEU: 22
; NumVGPRsForWavesPerEU: 5
; Occupancy: 16
; WaveLimiterHint : 0
; COMPUTE_PGM_RSRC2:SCRATCH_EN: 0
; COMPUTE_PGM_RSRC2:USER_SGPR: 13
; COMPUTE_PGM_RSRC2:TRAP_HANDLER: 0
; COMPUTE_PGM_RSRC2:TGID_X_EN: 1
; COMPUTE_PGM_RSRC2:TGID_Y_EN: 1
; COMPUTE_PGM_RSRC2:TGID_Z_EN: 1
; COMPUTE_PGM_RSRC2:TIDIG_COMP_CNT: 1
	.section	.text._ZN9rocsolver6v33100L16orgl2_init_identIfPfEEviiiT0_iil,"axG",@progbits,_ZN9rocsolver6v33100L16orgl2_init_identIfPfEEviiiT0_iil,comdat
	.globl	_ZN9rocsolver6v33100L16orgl2_init_identIfPfEEviiiT0_iil ; -- Begin function _ZN9rocsolver6v33100L16orgl2_init_identIfPfEEviiiT0_iil
	.p2align	8
	.type	_ZN9rocsolver6v33100L16orgl2_init_identIfPfEEviiiT0_iil,@function
_ZN9rocsolver6v33100L16orgl2_init_identIfPfEEviiiT0_iil: ; @_ZN9rocsolver6v33100L16orgl2_init_identIfPfEEviiiT0_iil
; %bb.0:
	s_clause 0x1
	s_load_b32 s2, s[0:1], 0x34
	s_load_b128 s[4:7], s[0:1], 0x0
	v_and_b32_e32 v1, 0x3ff, v0
	v_bfe_u32 v0, v0, 10, 10
	s_waitcnt lgkmcnt(0)
	s_lshr_b32 s3, s2, 16
	s_and_b32 s2, s2, 0xffff
	s_delay_alu instid0(SALU_CYCLE_1) | instskip(SKIP_1) | instid1(VALU_DEP_2)
	v_mad_u64_u32 v[4:5], null, s13, s2, v[1:2]
	v_mad_u64_u32 v[2:3], null, s14, s3, v[0:1]
	v_cmp_gt_u32_e32 vcc_lo, s4, v4
	s_delay_alu instid0(VALU_DEP_2) | instskip(NEXT) | instid1(VALU_DEP_1)
	v_cmp_gt_u32_e64 s2, s5, v2
	s_and_b32 s2, vcc_lo, s2
	s_delay_alu instid0(SALU_CYCLE_1)
	s_and_saveexec_b32 s3, s2
	s_cbranch_execz .LBB62_5
; %bb.1:
	s_load_b64 s[2:3], s[0:1], 0x18
	s_mov_b32 s5, 0
	s_mov_b32 s4, exec_lo
                                        ; implicit-def: $vgpr5
                                        ; implicit-def: $vgpr0
	v_cmpx_ne_u32_e64 v4, v2
	s_xor_b32 s4, exec_lo, s4
	s_cbranch_execnz .LBB62_6
; %bb.2:
	s_and_not1_saveexec_b32 s4, s4
	s_cbranch_execnz .LBB62_13
.LBB62_3:
	s_or_b32 exec_lo, exec_lo, s4
	s_delay_alu instid0(SALU_CYCLE_1)
	s_and_b32 exec_lo, exec_lo, s5
	s_cbranch_execz .LBB62_5
.LBB62_4:
	s_clause 0x1
	s_load_b64 s[4:5], s[0:1], 0x20
	s_load_b64 s[0:1], s[0:1], 0x10
	v_mov_b32_e32 v1, 0
	s_delay_alu instid0(VALU_DEP_1)
	v_lshlrev_b64 v[0:1], 2, v[0:1]
	s_waitcnt lgkmcnt(0)
	s_mul_i32 s3, s15, s5
	s_mul_hi_u32 s5, s15, s4
	s_mul_i32 s4, s15, s4
	s_add_i32 s5, s5, s3
	s_ashr_i32 s3, s2, 31
	s_lshl_b64 s[4:5], s[4:5], 2
	s_delay_alu instid0(SALU_CYCLE_1) | instskip(SKIP_2) | instid1(SALU_CYCLE_1)
	s_add_u32 s4, s0, s4
	s_addc_u32 s5, s1, s5
	s_lshl_b64 s[0:1], s[2:3], 2
	s_add_u32 s0, s4, s0
	s_addc_u32 s1, s5, s1
	v_add_co_u32 v0, vcc_lo, s0, v0
	v_add_co_ci_u32_e32 v1, vcc_lo, s1, v1, vcc_lo
	global_store_b32 v[0:1], v5, off
.LBB62_5:
	s_nop 0
	s_sendmsg sendmsg(MSG_DEALLOC_VGPRS)
	s_endpgm
.LBB62_6:
	s_mov_b32 s8, exec_lo
                                        ; implicit-def: $sgpr7
                                        ; implicit-def: $vgpr0
	v_cmpx_ge_u32_e64 v2, v4
	s_xor_b32 s8, exec_lo, s8
	s_cbranch_execz .LBB62_10
; %bb.7:
	v_cmp_le_u32_e32 vcc_lo, s6, v4
                                        ; implicit-def: $sgpr7
                                        ; implicit-def: $vgpr0
	s_and_saveexec_b32 s6, vcc_lo
	s_delay_alu instid0(SALU_CYCLE_1)
	s_xor_b32 s6, exec_lo, s6
	s_cbranch_execz .LBB62_9
; %bb.8:
	s_waitcnt lgkmcnt(0)
	v_mad_u64_u32 v[0:1], null, v2, s3, v[4:5]
	s_mov_b32 s5, exec_lo
	s_mov_b32 s7, 0
.LBB62_9:
	s_or_b32 exec_lo, exec_lo, s6
	s_delay_alu instid0(SALU_CYCLE_1)
	s_and_b32 s5, s5, exec_lo
                                        ; implicit-def: $vgpr4_vgpr5
                                        ; implicit-def: $vgpr2_vgpr3
.LBB62_10:
	s_or_saveexec_b32 s6, s8
	v_mov_b32_e32 v5, s7
	s_xor_b32 exec_lo, exec_lo, s6
	s_cbranch_execz .LBB62_12
; %bb.11:
	s_waitcnt lgkmcnt(0)
	s_delay_alu instid0(VALU_DEP_1)
	v_mad_u64_u32 v[0:1], null, v2, s3, v[4:5]
	v_mov_b32_e32 v5, 0
	s_or_b32 s5, s5, exec_lo
.LBB62_12:
	s_or_b32 exec_lo, exec_lo, s6
	s_delay_alu instid0(SALU_CYCLE_1)
	s_and_b32 s5, s5, exec_lo
                                        ; implicit-def: $vgpr2_vgpr3
	s_and_not1_saveexec_b32 s4, s4
	s_cbranch_execz .LBB62_3
.LBB62_13:
	s_waitcnt lgkmcnt(0)
	v_mad_u64_u32 v[0:1], null, v2, s3, v[2:3]
	v_mov_b32_e32 v5, 1.0
	s_or_b32 s5, s5, exec_lo
	s_or_b32 exec_lo, exec_lo, s4
	s_delay_alu instid0(SALU_CYCLE_1)
	s_and_b32 exec_lo, exec_lo, s5
	s_cbranch_execnz .LBB62_4
	s_branch .LBB62_5
	.section	.rodata,"a",@progbits
	.p2align	6, 0x0
	.amdhsa_kernel _ZN9rocsolver6v33100L16orgl2_init_identIfPfEEviiiT0_iil
		.amdhsa_group_segment_fixed_size 0
		.amdhsa_private_segment_fixed_size 0
		.amdhsa_kernarg_size 296
		.amdhsa_user_sgpr_count 13
		.amdhsa_user_sgpr_dispatch_ptr 0
		.amdhsa_user_sgpr_queue_ptr 0
		.amdhsa_user_sgpr_kernarg_segment_ptr 1
		.amdhsa_user_sgpr_dispatch_id 0
		.amdhsa_user_sgpr_private_segment_size 0
		.amdhsa_wavefront_size32 1
		.amdhsa_uses_dynamic_stack 0
		.amdhsa_enable_private_segment 0
		.amdhsa_system_sgpr_workgroup_id_x 1
		.amdhsa_system_sgpr_workgroup_id_y 1
		.amdhsa_system_sgpr_workgroup_id_z 1
		.amdhsa_system_sgpr_workgroup_info 0
		.amdhsa_system_vgpr_workitem_id 1
		.amdhsa_next_free_vgpr 6
		.amdhsa_next_free_sgpr 16
		.amdhsa_reserve_vcc 1
		.amdhsa_float_round_mode_32 0
		.amdhsa_float_round_mode_16_64 0
		.amdhsa_float_denorm_mode_32 3
		.amdhsa_float_denorm_mode_16_64 3
		.amdhsa_dx10_clamp 1
		.amdhsa_ieee_mode 1
		.amdhsa_fp16_overflow 0
		.amdhsa_workgroup_processor_mode 1
		.amdhsa_memory_ordered 1
		.amdhsa_forward_progress 0
		.amdhsa_shared_vgpr_count 0
		.amdhsa_exception_fp_ieee_invalid_op 0
		.amdhsa_exception_fp_denorm_src 0
		.amdhsa_exception_fp_ieee_div_zero 0
		.amdhsa_exception_fp_ieee_overflow 0
		.amdhsa_exception_fp_ieee_underflow 0
		.amdhsa_exception_fp_ieee_inexact 0
		.amdhsa_exception_int_div_zero 0
	.end_amdhsa_kernel
	.section	.text._ZN9rocsolver6v33100L16orgl2_init_identIfPfEEviiiT0_iil,"axG",@progbits,_ZN9rocsolver6v33100L16orgl2_init_identIfPfEEviiiT0_iil,comdat
.Lfunc_end62:
	.size	_ZN9rocsolver6v33100L16orgl2_init_identIfPfEEviiiT0_iil, .Lfunc_end62-_ZN9rocsolver6v33100L16orgl2_init_identIfPfEEviiiT0_iil
                                        ; -- End function
	.section	.AMDGPU.csdata,"",@progbits
; Kernel info:
; codeLenInByte = 452
; NumSgprs: 18
; NumVgprs: 6
; ScratchSize: 0
; MemoryBound: 0
; FloatMode: 240
; IeeeMode: 1
; LDSByteSize: 0 bytes/workgroup (compile time only)
; SGPRBlocks: 2
; VGPRBlocks: 0
; NumSGPRsForWavesPerEU: 18
; NumVGPRsForWavesPerEU: 6
; Occupancy: 16
; WaveLimiterHint : 0
; COMPUTE_PGM_RSRC2:SCRATCH_EN: 0
; COMPUTE_PGM_RSRC2:USER_SGPR: 13
; COMPUTE_PGM_RSRC2:TRAP_HANDLER: 0
; COMPUTE_PGM_RSRC2:TGID_X_EN: 1
; COMPUTE_PGM_RSRC2:TGID_Y_EN: 1
; COMPUTE_PGM_RSRC2:TGID_Z_EN: 1
; COMPUTE_PGM_RSRC2:TIDIG_COMP_CNT: 1
	.section	.text._ZN9rocsolver6v33100L6iota_nIdEEvPT_jS2_,"axG",@progbits,_ZN9rocsolver6v33100L6iota_nIdEEvPT_jS2_,comdat
	.globl	_ZN9rocsolver6v33100L6iota_nIdEEvPT_jS2_ ; -- Begin function _ZN9rocsolver6v33100L6iota_nIdEEvPT_jS2_
	.p2align	8
	.type	_ZN9rocsolver6v33100L6iota_nIdEEvPT_jS2_,@function
_ZN9rocsolver6v33100L6iota_nIdEEvPT_jS2_: ; @_ZN9rocsolver6v33100L6iota_nIdEEvPT_jS2_
; %bb.0:
	s_load_b32 s2, s[0:1], 0x8
	s_waitcnt lgkmcnt(0)
	v_cmp_gt_u32_e32 vcc_lo, s2, v0
	s_and_saveexec_b32 s2, vcc_lo
	s_cbranch_execz .LBB63_2
; %bb.1:
	v_cvt_f64_u32_e32 v[1:2], v0
	s_clause 0x1
	s_load_b64 s[2:3], s[0:1], 0x10
	s_load_b64 s[0:1], s[0:1], 0x0
	v_lshlrev_b32_e32 v0, 3, v0
	s_waitcnt lgkmcnt(0)
	s_delay_alu instid0(VALU_DEP_2)
	v_add_f64 v[1:2], v[1:2], s[2:3]
	global_store_b64 v0, v[1:2], s[0:1]
.LBB63_2:
	s_nop 0
	s_sendmsg sendmsg(MSG_DEALLOC_VGPRS)
	s_endpgm
	.section	.rodata,"a",@progbits
	.p2align	6, 0x0
	.amdhsa_kernel _ZN9rocsolver6v33100L6iota_nIdEEvPT_jS2_
		.amdhsa_group_segment_fixed_size 0
		.amdhsa_private_segment_fixed_size 0
		.amdhsa_kernarg_size 24
		.amdhsa_user_sgpr_count 15
		.amdhsa_user_sgpr_dispatch_ptr 0
		.amdhsa_user_sgpr_queue_ptr 0
		.amdhsa_user_sgpr_kernarg_segment_ptr 1
		.amdhsa_user_sgpr_dispatch_id 0
		.amdhsa_user_sgpr_private_segment_size 0
		.amdhsa_wavefront_size32 1
		.amdhsa_uses_dynamic_stack 0
		.amdhsa_enable_private_segment 0
		.amdhsa_system_sgpr_workgroup_id_x 1
		.amdhsa_system_sgpr_workgroup_id_y 0
		.amdhsa_system_sgpr_workgroup_id_z 0
		.amdhsa_system_sgpr_workgroup_info 0
		.amdhsa_system_vgpr_workitem_id 0
		.amdhsa_next_free_vgpr 3
		.amdhsa_next_free_sgpr 4
		.amdhsa_reserve_vcc 1
		.amdhsa_float_round_mode_32 0
		.amdhsa_float_round_mode_16_64 0
		.amdhsa_float_denorm_mode_32 3
		.amdhsa_float_denorm_mode_16_64 3
		.amdhsa_dx10_clamp 1
		.amdhsa_ieee_mode 1
		.amdhsa_fp16_overflow 0
		.amdhsa_workgroup_processor_mode 1
		.amdhsa_memory_ordered 1
		.amdhsa_forward_progress 0
		.amdhsa_shared_vgpr_count 0
		.amdhsa_exception_fp_ieee_invalid_op 0
		.amdhsa_exception_fp_denorm_src 0
		.amdhsa_exception_fp_ieee_div_zero 0
		.amdhsa_exception_fp_ieee_overflow 0
		.amdhsa_exception_fp_ieee_underflow 0
		.amdhsa_exception_fp_ieee_inexact 0
		.amdhsa_exception_int_div_zero 0
	.end_amdhsa_kernel
	.section	.text._ZN9rocsolver6v33100L6iota_nIdEEvPT_jS2_,"axG",@progbits,_ZN9rocsolver6v33100L6iota_nIdEEvPT_jS2_,comdat
.Lfunc_end63:
	.size	_ZN9rocsolver6v33100L6iota_nIdEEvPT_jS2_, .Lfunc_end63-_ZN9rocsolver6v33100L6iota_nIdEEvPT_jS2_
                                        ; -- End function
	.section	.AMDGPU.csdata,"",@progbits
; Kernel info:
; codeLenInByte = 88
; NumSgprs: 6
; NumVgprs: 3
; ScratchSize: 0
; MemoryBound: 0
; FloatMode: 240
; IeeeMode: 1
; LDSByteSize: 0 bytes/workgroup (compile time only)
; SGPRBlocks: 0
; VGPRBlocks: 0
; NumSGPRsForWavesPerEU: 6
; NumVGPRsForWavesPerEU: 3
; Occupancy: 16
; WaveLimiterHint : 0
; COMPUTE_PGM_RSRC2:SCRATCH_EN: 0
; COMPUTE_PGM_RSRC2:USER_SGPR: 15
; COMPUTE_PGM_RSRC2:TRAP_HANDLER: 0
; COMPUTE_PGM_RSRC2:TGID_X_EN: 1
; COMPUTE_PGM_RSRC2:TGID_Y_EN: 0
; COMPUTE_PGM_RSRC2:TGID_Z_EN: 0
; COMPUTE_PGM_RSRC2:TIDIG_COMP_CNT: 0
	.section	.text._ZN9rocsolver6v33100L16syev_scalar_caseIdPdTnNSt9enable_ifIXnt18rocblas_is_complexIT_EEiE4typeELi0EEEv14rocblas_evect_T0_lPS4_li,"axG",@progbits,_ZN9rocsolver6v33100L16syev_scalar_caseIdPdTnNSt9enable_ifIXnt18rocblas_is_complexIT_EEiE4typeELi0EEEv14rocblas_evect_T0_lPS4_li,comdat
	.globl	_ZN9rocsolver6v33100L16syev_scalar_caseIdPdTnNSt9enable_ifIXnt18rocblas_is_complexIT_EEiE4typeELi0EEEv14rocblas_evect_T0_lPS4_li ; -- Begin function _ZN9rocsolver6v33100L16syev_scalar_caseIdPdTnNSt9enable_ifIXnt18rocblas_is_complexIT_EEiE4typeELi0EEEv14rocblas_evect_T0_lPS4_li
	.p2align	8
	.type	_ZN9rocsolver6v33100L16syev_scalar_caseIdPdTnNSt9enable_ifIXnt18rocblas_is_complexIT_EEiE4typeELi0EEEv14rocblas_evect_T0_lPS4_li,@function
_ZN9rocsolver6v33100L16syev_scalar_caseIdPdTnNSt9enable_ifIXnt18rocblas_is_complexIT_EEiE4typeELi0EEEv14rocblas_evect_T0_lPS4_li: ; @_ZN9rocsolver6v33100L16syev_scalar_caseIdPdTnNSt9enable_ifIXnt18rocblas_is_complexIT_EEiE4typeELi0EEEv14rocblas_evect_T0_lPS4_li
; %bb.0:
	s_clause 0x1
	s_load_b32 s2, s[0:1], 0x3c
	s_load_b32 s3, s[0:1], 0x28
	s_waitcnt lgkmcnt(0)
	s_and_b32 s2, s2, 0xffff
	s_delay_alu instid0(SALU_CYCLE_1) | instskip(SKIP_1) | instid1(VALU_DEP_1)
	v_mad_u64_u32 v[1:2], null, s15, s2, v[0:1]
	s_mov_b32 s2, exec_lo
	v_cmpx_gt_i32_e64 s3, v1
	s_cbranch_execz .LBB64_3
; %bb.1:
	s_load_b256 s[4:11], s[0:1], 0x8
	v_ashrrev_i32_e32 v0, 31, v1
	s_load_b32 s0, s[0:1], 0x0
	s_waitcnt lgkmcnt(0)
	v_mul_lo_u32 v4, v1, s7
	s_delay_alu instid0(VALU_DEP_2)
	v_mul_lo_u32 v5, v0, s6
	v_mad_u64_u32 v[2:3], null, v1, s6, 0
	v_mul_lo_u32 v8, v1, s11
	v_mul_lo_u32 v0, v0, s10
	v_mad_u64_u32 v[6:7], null, v1, s10, 0
	s_cmpk_lg_i32 s0, 0xd3
	s_delay_alu instid0(VALU_DEP_4) | instskip(NEXT) | instid1(VALU_DEP_2)
	v_add3_u32 v3, v3, v4, v5
	v_add3_u32 v7, v7, v8, v0
	s_delay_alu instid0(VALU_DEP_2) | instskip(NEXT) | instid1(VALU_DEP_2)
	v_lshlrev_b64 v[2:3], 3, v[2:3]
	v_lshlrev_b64 v[0:1], 3, v[6:7]
	s_delay_alu instid0(VALU_DEP_2) | instskip(NEXT) | instid1(VALU_DEP_3)
	v_add_co_u32 v2, vcc_lo, s4, v2
	v_add_co_ci_u32_e32 v3, vcc_lo, s5, v3, vcc_lo
	s_delay_alu instid0(VALU_DEP_3) | instskip(NEXT) | instid1(VALU_DEP_4)
	v_add_co_u32 v0, vcc_lo, s8, v0
	v_add_co_ci_u32_e32 v1, vcc_lo, s9, v1, vcc_lo
	global_load_b64 v[4:5], v[2:3], off
	s_waitcnt vmcnt(0)
	global_store_b64 v[0:1], v[4:5], off
	s_cbranch_scc1 .LBB64_3
; %bb.2:
	v_dual_mov_b32 v0, 0 :: v_dual_mov_b32 v1, 0x3ff00000
	global_store_b64 v[2:3], v[0:1], off
.LBB64_3:
	s_nop 0
	s_sendmsg sendmsg(MSG_DEALLOC_VGPRS)
	s_endpgm
	.section	.rodata,"a",@progbits
	.p2align	6, 0x0
	.amdhsa_kernel _ZN9rocsolver6v33100L16syev_scalar_caseIdPdTnNSt9enable_ifIXnt18rocblas_is_complexIT_EEiE4typeELi0EEEv14rocblas_evect_T0_lPS4_li
		.amdhsa_group_segment_fixed_size 0
		.amdhsa_private_segment_fixed_size 0
		.amdhsa_kernarg_size 304
		.amdhsa_user_sgpr_count 15
		.amdhsa_user_sgpr_dispatch_ptr 0
		.amdhsa_user_sgpr_queue_ptr 0
		.amdhsa_user_sgpr_kernarg_segment_ptr 1
		.amdhsa_user_sgpr_dispatch_id 0
		.amdhsa_user_sgpr_private_segment_size 0
		.amdhsa_wavefront_size32 1
		.amdhsa_uses_dynamic_stack 0
		.amdhsa_enable_private_segment 0
		.amdhsa_system_sgpr_workgroup_id_x 1
		.amdhsa_system_sgpr_workgroup_id_y 0
		.amdhsa_system_sgpr_workgroup_id_z 0
		.amdhsa_system_sgpr_workgroup_info 0
		.amdhsa_system_vgpr_workitem_id 0
		.amdhsa_next_free_vgpr 9
		.amdhsa_next_free_sgpr 16
		.amdhsa_reserve_vcc 1
		.amdhsa_float_round_mode_32 0
		.amdhsa_float_round_mode_16_64 0
		.amdhsa_float_denorm_mode_32 3
		.amdhsa_float_denorm_mode_16_64 3
		.amdhsa_dx10_clamp 1
		.amdhsa_ieee_mode 1
		.amdhsa_fp16_overflow 0
		.amdhsa_workgroup_processor_mode 1
		.amdhsa_memory_ordered 1
		.amdhsa_forward_progress 0
		.amdhsa_shared_vgpr_count 0
		.amdhsa_exception_fp_ieee_invalid_op 0
		.amdhsa_exception_fp_denorm_src 0
		.amdhsa_exception_fp_ieee_div_zero 0
		.amdhsa_exception_fp_ieee_overflow 0
		.amdhsa_exception_fp_ieee_underflow 0
		.amdhsa_exception_fp_ieee_inexact 0
		.amdhsa_exception_int_div_zero 0
	.end_amdhsa_kernel
	.section	.text._ZN9rocsolver6v33100L16syev_scalar_caseIdPdTnNSt9enable_ifIXnt18rocblas_is_complexIT_EEiE4typeELi0EEEv14rocblas_evect_T0_lPS4_li,"axG",@progbits,_ZN9rocsolver6v33100L16syev_scalar_caseIdPdTnNSt9enable_ifIXnt18rocblas_is_complexIT_EEiE4typeELi0EEEv14rocblas_evect_T0_lPS4_li,comdat
.Lfunc_end64:
	.size	_ZN9rocsolver6v33100L16syev_scalar_caseIdPdTnNSt9enable_ifIXnt18rocblas_is_complexIT_EEiE4typeELi0EEEv14rocblas_evect_T0_lPS4_li, .Lfunc_end64-_ZN9rocsolver6v33100L16syev_scalar_caseIdPdTnNSt9enable_ifIXnt18rocblas_is_complexIT_EEiE4typeELi0EEEv14rocblas_evect_T0_lPS4_li
                                        ; -- End function
	.section	.AMDGPU.csdata,"",@progbits
; Kernel info:
; codeLenInByte = 268
; NumSgprs: 18
; NumVgprs: 9
; ScratchSize: 0
; MemoryBound: 0
; FloatMode: 240
; IeeeMode: 1
; LDSByteSize: 0 bytes/workgroup (compile time only)
; SGPRBlocks: 2
; VGPRBlocks: 1
; NumSGPRsForWavesPerEU: 18
; NumVGPRsForWavesPerEU: 9
; Occupancy: 16
; WaveLimiterHint : 0
; COMPUTE_PGM_RSRC2:SCRATCH_EN: 0
; COMPUTE_PGM_RSRC2:USER_SGPR: 15
; COMPUTE_PGM_RSRC2:TRAP_HANDLER: 0
; COMPUTE_PGM_RSRC2:TGID_X_EN: 1
; COMPUTE_PGM_RSRC2:TGID_Y_EN: 0
; COMPUTE_PGM_RSRC2:TGID_Z_EN: 0
; COMPUTE_PGM_RSRC2:TIDIG_COMP_CNT: 0
	.section	.text._ZN9rocsolver6v33100L24sytd2_lower_kernel_smallILi256EdidPdEEvT1_T3_lS3_lPT2_lS6_lPT0_l,"axG",@progbits,_ZN9rocsolver6v33100L24sytd2_lower_kernel_smallILi256EdidPdEEvT1_T3_lS3_lPT2_lS6_lPT0_l,comdat
	.globl	_ZN9rocsolver6v33100L24sytd2_lower_kernel_smallILi256EdidPdEEvT1_T3_lS3_lPT2_lS6_lPT0_l ; -- Begin function _ZN9rocsolver6v33100L24sytd2_lower_kernel_smallILi256EdidPdEEvT1_T3_lS3_lPT2_lS6_lPT0_l
	.p2align	8
	.type	_ZN9rocsolver6v33100L24sytd2_lower_kernel_smallILi256EdidPdEEvT1_T3_lS3_lPT2_lS6_lPT0_l,@function
_ZN9rocsolver6v33100L24sytd2_lower_kernel_smallILi256EdidPdEEvT1_T3_lS3_lPT2_lS6_lPT0_l: ; @_ZN9rocsolver6v33100L24sytd2_lower_kernel_smallILi256EdidPdEEvT1_T3_lS3_lPT2_lS6_lPT0_l
; %bb.0:
	s_clause 0x3
	s_load_b64 s[2:3], s[0:1], 0x20
	s_load_b32 s16, s[0:1], 0x0
	s_load_b128 s[4:7], s[0:1], 0x8
	s_load_b32 s19, s[0:1], 0x18
	s_ashr_i32 s12, s15, 31
	v_and_b32_e32 v1, 0x7f, v0
	v_lshrrev_b32_e32 v13, 7, v0
	s_delay_alu instid0(VALU_DEP_2)
	v_lshlrev_b32_e32 v14, 3, v1
	s_waitcnt lgkmcnt(0)
	s_mul_i32 s3, s15, s3
	s_mul_hi_u32 s8, s15, s2
	s_mul_i32 s9, s12, s2
	s_add_i32 s3, s8, s3
	s_mul_i32 s2, s15, s2
	s_add_i32 s3, s3, s9
	s_delay_alu instid0(SALU_CYCLE_1) | instskip(SKIP_4) | instid1(SALU_CYCLE_1)
	s_lshl_b64 s[8:9], s[2:3], 3
	v_cmp_gt_i32_e64 s2, s16, v1
	s_add_u32 s3, s4, s8
	s_addc_u32 s8, s5, s9
	s_lshl_b64 s[4:5], s[6:7], 3
	s_add_u32 s17, s3, s4
	s_addc_u32 s18, s8, s5
	s_and_saveexec_b32 s4, s2
	s_cbranch_execz .LBB65_6
; %bb.1:
	v_lshrrev_b32_e32 v5, 7, v0
	v_mov_b32_e32 v7, v1
	s_mov_b32 s5, 0
	s_lshl_b32 s6, s16, 4
	s_lshl_b32 s7, s19, 1
	v_mul_lo_u32 v2, s16, v5
	v_cmp_gt_u32_e32 vcc_lo, s16, v5
	s_delay_alu instid0(VALU_DEP_2) | instskip(SKIP_1) | instid1(VALU_DEP_2)
	v_lshl_add_u32 v4, v2, 3, v14
	v_mad_u64_u32 v[2:3], null, s19, v5, v[1:2]
	v_add3_u32 v6, v4, 0, 8
	s_set_inst_prefetch_distance 0x1
	s_branch .LBB65_3
	.p2align	6
.LBB65_2:                               ;   in Loop: Header=BB65_3 Depth=1
	s_or_b32 exec_lo, exec_lo, s8
	v_add_nc_u32_e32 v7, 0x80, v7
	v_add_nc_u32_e32 v6, 0x400, v6
	;; [unrolled: 1-line block ×3, first 2 shown]
	s_delay_alu instid0(VALU_DEP_3) | instskip(NEXT) | instid1(VALU_DEP_1)
	v_cmp_le_i32_e64 s3, s16, v7
	s_or_b32 s5, s3, s5
	s_delay_alu instid0(SALU_CYCLE_1)
	s_and_not1_b32 exec_lo, exec_lo, s5
	s_cbranch_execz .LBB65_6
.LBB65_3:                               ; =>This Loop Header: Depth=1
                                        ;     Child Loop BB65_5 Depth 2
	s_and_saveexec_b32 s8, vcc_lo
	s_cbranch_execz .LBB65_2
; %bb.4:                                ;   in Loop: Header=BB65_3 Depth=1
	s_delay_alu instid0(VALU_DEP_2)
	v_mov_b32_e32 v3, v2
	v_dual_mov_b32 v8, v6 :: v_dual_mov_b32 v9, v5
	s_mov_b32 s9, 0
	.p2align	6
.LBB65_5:                               ;   Parent Loop BB65_3 Depth=1
                                        ; =>  This Inner Loop Header: Depth=2
	s_delay_alu instid0(VALU_DEP_2) | instskip(NEXT) | instid1(VALU_DEP_2)
	v_ashrrev_i32_e32 v4, 31, v3
	v_add_nc_u32_e32 v9, 2, v9
	s_delay_alu instid0(VALU_DEP_2) | instskip(SKIP_1) | instid1(VALU_DEP_2)
	v_lshlrev_b64 v[10:11], 3, v[3:4]
	v_add_nc_u32_e32 v3, s7, v3
	v_add_co_u32 v10, s3, s17, v10
	s_delay_alu instid0(VALU_DEP_1)
	v_add_co_ci_u32_e64 v11, s3, s18, v11, s3
	v_cmp_le_i32_e64 s3, s16, v9
	global_load_b64 v[10:11], v[10:11], off
	s_or_b32 s9, s3, s9
	s_waitcnt vmcnt(0)
	ds_store_b64 v8, v[10:11]
	v_add_nc_u32_e32 v8, s6, v8
	s_and_not1_b32 exec_lo, exec_lo, s9
	s_cbranch_execnz .LBB65_5
	s_branch .LBB65_2
.LBB65_6:
	s_set_inst_prefetch_distance 0x2
	s_or_b32 exec_lo, exec_lo, s4
	s_waitcnt lgkmcnt(0)
	s_barrier
	buffer_gl0_inv
	s_and_saveexec_b32 s4, s2
	s_cbranch_execz .LBB65_14
; %bb.7:
	v_lshrrev_b32_e32 v2, 7, v0
	v_mul_lo_u32 v3, s16, v1
	s_mov_b32 s5, 0
	s_lshl_b32 s6, s16, 10
	s_lshl_b32 s7, s16, 4
	v_mul_lo_u32 v4, s16, v2
	v_lshlrev_b32_e32 v5, 3, v2
	v_cmp_gt_u32_e32 vcc_lo, s16, v2
	s_delay_alu instid0(VALU_DEP_2) | instskip(SKIP_2) | instid1(VALU_DEP_3)
	v_lshl_add_u32 v3, v3, 3, v5
	v_mov_b32_e32 v5, v1
	v_lshl_add_u32 v4, v4, 3, v14
	v_add3_u32 v3, v3, 0, 8
	s_delay_alu instid0(VALU_DEP_2)
	v_add3_u32 v4, v4, 0, 8
	s_set_inst_prefetch_distance 0x1
	s_branch .LBB65_9
	.p2align	6
.LBB65_8:                               ;   in Loop: Header=BB65_9 Depth=1
	s_or_b32 exec_lo, exec_lo, s8
	v_add_nc_u32_e32 v5, 0x80, v5
	v_add_nc_u32_e32 v3, s6, v3
	;; [unrolled: 1-line block ×3, first 2 shown]
	s_delay_alu instid0(VALU_DEP_3) | instskip(NEXT) | instid1(VALU_DEP_1)
	v_cmp_le_i32_e64 s3, s16, v5
	s_or_b32 s5, s3, s5
	s_delay_alu instid0(SALU_CYCLE_1)
	s_and_not1_b32 exec_lo, exec_lo, s5
	s_cbranch_execz .LBB65_14
.LBB65_9:                               ; =>This Loop Header: Depth=1
                                        ;     Child Loop BB65_12 Depth 2
	s_and_saveexec_b32 s8, vcc_lo
	s_cbranch_execz .LBB65_8
; %bb.10:                               ;   in Loop: Header=BB65_9 Depth=1
	v_dual_mov_b32 v6, v4 :: v_dual_mov_b32 v7, v3
	v_mov_b32_e32 v8, v2
	s_mov_b32 s9, 0
	s_branch .LBB65_12
	.p2align	6
.LBB65_11:                              ;   in Loop: Header=BB65_12 Depth=2
	s_or_b32 exec_lo, exec_lo, s10
	v_add_nc_u32_e32 v8, 2, v8
	v_add_nc_u32_e32 v7, 16, v7
	v_add_nc_u32_e32 v6, s7, v6
	s_delay_alu instid0(VALU_DEP_3) | instskip(NEXT) | instid1(VALU_DEP_1)
	v_cmp_le_i32_e64 s3, s16, v8
	s_or_b32 s9, s3, s9
	s_delay_alu instid0(SALU_CYCLE_1)
	s_and_not1_b32 exec_lo, exec_lo, s9
	s_cbranch_execz .LBB65_8
.LBB65_12:                              ;   Parent Loop BB65_9 Depth=1
                                        ; =>  This Inner Loop Header: Depth=2
	s_mov_b32 s10, exec_lo
	s_delay_alu instid0(VALU_DEP_1)
	v_cmpx_lt_u32_e64 v5, v8
	s_cbranch_execz .LBB65_11
; %bb.13:                               ;   in Loop: Header=BB65_12 Depth=2
	ds_load_b64 v[9:10], v7
	s_waitcnt lgkmcnt(0)
	ds_store_b64 v6, v[9:10]
	s_branch .LBB65_11
.LBB65_14:
	s_set_inst_prefetch_distance 0x2
	s_or_b32 exec_lo, exec_lo, s4
	s_cmp_lt_i32 s16, 2
	s_waitcnt lgkmcnt(0)
	s_barrier
	buffer_gl0_inv
	s_cbranch_scc1 .LBB65_65
; %bb.15:
	s_load_b256 s[4:11], s[0:1], 0x38
	v_mbcnt_lo_u32_b32 v2, -1, 0
	s_mul_i32 s3, s16, s16
	s_delay_alu instid0(VALU_DEP_1) | instskip(SKIP_2) | instid1(VALU_DEP_2)
	v_cmp_ne_u32_e32 vcc_lo, 31, v2
	v_add_co_ci_u32_e32 v3, vcc_lo, 0, v2, vcc_lo
	v_cmp_gt_u32_e32 vcc_lo, 30, v2
	v_lshlrev_b32_e32 v15, 2, v3
	v_cndmask_b32_e64 v4, 0, 1, vcc_lo
	v_cmp_gt_u32_e32 vcc_lo, 28, v2
	s_waitcnt lgkmcnt(0)
	s_mul_i32 s1, s15, s7
	s_mul_hi_u32 s7, s15, s6
	s_mul_i32 s13, s12, s6
	s_add_i32 s1, s7, s1
	v_cndmask_b32_e64 v5, 0, 1, vcc_lo
	v_cmp_gt_u32_e32 vcc_lo, 24, v2
	s_mul_i32 s0, s15, s6
	s_add_i32 s1, s1, s13
	s_mul_i32 s6, s15, s11
	s_lshl_b64 s[0:1], s[0:1], 3
	s_mul_hi_u32 s7, s15, s10
	v_cndmask_b32_e64 v6, 0, 1, vcc_lo
	v_cmp_gt_u32_e32 vcc_lo, 16, v2
	s_add_u32 s20, s4, s0
	s_mul_i32 s11, s12, s10
	s_addc_u32 s21, s5, s1
	s_add_i32 s1, s7, s6
	s_mul_i32 s0, s15, s10
	s_add_i32 s1, s1, s11
	v_cndmask_b32_e64 v7, 0, 1, vcc_lo
	s_lshl_b64 s[0:1], s[0:1], 3
	v_lshlrev_b32_e32 v3, 1, v4
	s_add_u32 s22, s8, s0
	s_addc_u32 s23, s9, s1
	s_lshl_b32 s0, s3, 3
	v_lshlrev_b32_e32 v4, 2, v5
	v_lshlrev_b32_e32 v5, 3, v6
	s_lshl_b32 s24, s16, 3
	s_add_i32 s1, s0, 0
	v_lshlrev_b32_e32 v6, 4, v7
	s_add_i32 s31, s1, s24
	s_add_i32 s25, s1, 8
	;; [unrolled: 1-line block ×3, first 2 shown]
	v_add_lshl_u32 v16, v3, v2, 2
	v_and_b32_e32 v3, 31, v0
	v_add_lshl_u32 v17, v4, v2, 2
	v_add_lshl_u32 v18, v5, v2, 2
	;; [unrolled: 1-line block ×3, first 2 shown]
	v_lshlrev_b32_e32 v2, 3, v0
	s_cmp_eq_u64 s[4:5], 0
	v_cmp_eq_u32_e64 s0, 0, v3
	s_cselect_b32 s27, -1, 0
	s_cmp_lg_u64 s[4:5], 0
	v_lshrrev_b32_e32 v3, 2, v0
	s_cselect_b32 s28, -1, 0
	s_add_i32 s29, s24, 8
	v_add_nc_u32_e32 v4, s1, v2
	v_add_nc_u32_e32 v5, 16, v2
	s_mul_i32 s3, s16, s29
	v_cmp_eq_u32_e64 s1, 0, v0
	s_add_i32 s3, s3, 0
	v_add_nc_u32_e32 v20, 8, v4
	v_add_nc_u32_e32 v21, 0, v5
	;; [unrolled: 1-line block ×3, first 2 shown]
	v_add3_u32 v23, 0, s24, v5
	v_add3_u32 v24, s3, v2, 8
	v_dual_mov_b32 v2, 0 :: v_dual_add_nc_u32 v25, s26, v3
	s_mov_b32 s6, 0
	s_add_i32 s30, s16, -2
	s_add_i32 s31, s31, 8
	s_branch .LBB65_17
.LBB65_16:                              ;   in Loop: Header=BB65_17 Depth=1
	s_set_inst_prefetch_distance 0x2
	s_or_b32 exec_lo, exec_lo, s4
	v_add_nc_u32_e32 v21, s29, v21
	v_add_nc_u32_e32 v23, s29, v23
	s_add_i32 s3, s6, 1
	s_cmp_eq_u32 s6, s30
	s_mov_b32 s6, s3
	s_waitcnt lgkmcnt(0)
	s_barrier
	buffer_gl0_inv
	s_cbranch_scc1 .LBB65_65
.LBB65_17:                              ; =>This Loop Header: Depth=1
                                        ;     Child Loop BB65_19 Depth 2
                                        ;     Child Loop BB65_22 Depth 2
	;; [unrolled: 1-line block ×4, first 2 shown]
                                        ;       Child Loop BB65_45 Depth 3
                                        ;     Child Loop BB65_48 Depth 2
                                        ;     Child Loop BB65_51 Depth 2
	;; [unrolled: 1-line block ×4, first 2 shown]
                                        ;       Child Loop BB65_63 Depth 3
	s_not_b32 s33, s6
	s_delay_alu instid0(SALU_CYCLE_1) | instskip(NEXT) | instid1(SALU_CYCLE_1)
	s_add_i32 s33, s33, s16
	v_cmp_gt_i32_e64 s3, s33, v0
	s_delay_alu instid0(VALU_DEP_1)
	s_and_saveexec_b32 s4, s3
	s_cbranch_execz .LBB65_20
; %bb.18:                               ;   in Loop: Header=BB65_17 Depth=1
	v_dual_mov_b32 v3, v21 :: v_dual_mov_b32 v4, v20
	v_mov_b32_e32 v5, v0
	s_mov_b32 s5, 0
.LBB65_19:                              ;   Parent Loop BB65_17 Depth=1
                                        ; =>  This Inner Loop Header: Depth=2
	ds_load_b64 v[6:7], v3
	v_add_nc_u32_e32 v5, 0x100, v5
	v_add_nc_u32_e32 v3, 0x800, v3
	s_delay_alu instid0(VALU_DEP_2)
	v_cmp_le_i32_e32 vcc_lo, s33, v5
	s_or_b32 s5, vcc_lo, s5
	s_waitcnt lgkmcnt(0)
	ds_store_b64 v4, v[6:7]
	v_add_nc_u32_e32 v4, 0x800, v4
	s_and_not1_b32 exec_lo, exec_lo, s5
	s_cbranch_execnz .LBB65_19
.LBB65_20:                              ;   in Loop: Header=BB65_17 Depth=1
	s_or_b32 exec_lo, exec_lo, s4
	s_add_i32 s34, s33, -1
	v_mov_b32_e32 v3, 0
	v_mov_b32_e32 v4, 0
	v_cmp_gt_i32_e64 s4, s34, v0
	s_waitcnt lgkmcnt(0)
	s_barrier
	buffer_gl0_inv
	s_and_saveexec_b32 s5, s4
	s_cbranch_execz .LBB65_24
; %bb.21:                               ;   in Loop: Header=BB65_17 Depth=1
	v_dual_mov_b32 v3, 0 :: v_dual_mov_b32 v6, v0
	v_dual_mov_b32 v4, 0 :: v_dual_mov_b32 v5, v22
	s_mov_b32 s7, 0
.LBB65_22:                              ;   Parent Loop BB65_17 Depth=1
                                        ; =>  This Inner Loop Header: Depth=2
	ds_load_b64 v[7:8], v5
	v_add_nc_u32_e32 v6, 0x100, v6
	v_add_nc_u32_e32 v5, 0x800, v5
	s_delay_alu instid0(VALU_DEP_2) | instskip(SKIP_3) | instid1(VALU_DEP_1)
	v_cmp_le_i32_e32 vcc_lo, s34, v6
	s_or_b32 s7, vcc_lo, s7
	s_waitcnt lgkmcnt(0)
	v_mul_f64 v[7:8], v[7:8], v[7:8]
	v_add_f64 v[3:4], v[3:4], v[7:8]
	s_and_not1_b32 exec_lo, exec_lo, s7
	s_cbranch_execnz .LBB65_22
; %bb.23:                               ;   in Loop: Header=BB65_17 Depth=1
	s_or_b32 exec_lo, exec_lo, s7
.LBB65_24:                              ;   in Loop: Header=BB65_17 Depth=1
	s_delay_alu instid0(SALU_CYCLE_1)
	s_or_b32 exec_lo, exec_lo, s5
	ds_bpermute_b32 v5, v15, v3
	ds_bpermute_b32 v6, v15, v4
	s_waitcnt lgkmcnt(0)
	v_add_f64 v[3:4], v[3:4], v[5:6]
	ds_bpermute_b32 v5, v16, v3
	ds_bpermute_b32 v6, v16, v4
	s_waitcnt lgkmcnt(0)
	v_add_f64 v[3:4], v[3:4], v[5:6]
	;; [unrolled: 4-line block ×5, first 2 shown]
	s_and_saveexec_b32 s5, s0
	s_cbranch_execz .LBB65_26
; %bb.25:                               ;   in Loop: Header=BB65_17 Depth=1
	ds_store_b64 v25, v[3:4] offset:8
.LBB65_26:                              ;   in Loop: Header=BB65_17 Depth=1
	s_or_b32 exec_lo, exec_lo, s5
	s_waitcnt lgkmcnt(0)
	s_barrier
	buffer_gl0_inv
	s_and_saveexec_b32 s35, s1
	s_cbranch_execz .LBB65_39
; %bb.27:                               ;   in Loop: Header=BB65_17 Depth=1
	v_mov_b32_e32 v26, s26
	s_mov_b32 s7, 0
	s_mov_b32 s5, exec_lo
	s_mov_b32 s36, s7
                                        ; implicit-def: $sgpr8_sgpr9
                                        ; implicit-def: $sgpr10_sgpr11
                                        ; implicit-def: $sgpr12_sgpr13
                                        ; implicit-def: $sgpr14_sgpr15
	ds_load_2addr_b64 v[5:8], v26 offset0:2 offset1:3
	ds_load_2addr_b64 v[9:12], v26 offset0:4 offset1:5
	s_waitcnt lgkmcnt(1)
	v_add_f64 v[3:4], v[3:4], v[5:6]
	s_delay_alu instid0(VALU_DEP_1) | instskip(SKIP_1) | instid1(VALU_DEP_1)
	v_add_f64 v[3:4], v[3:4], v[7:8]
	s_waitcnt lgkmcnt(0)
	v_add_f64 v[3:4], v[3:4], v[9:10]
	s_delay_alu instid0(VALU_DEP_1) | instskip(SKIP_4) | instid1(VALU_DEP_1)
	v_add_f64 v[7:8], v[3:4], v[11:12]
	ds_load_2addr_b64 v[3:6], v26 offset0:6 offset1:7
	ds_load_b64 v[9:10], v26 offset:64
	s_waitcnt lgkmcnt(1)
	v_add_f64 v[3:4], v[7:8], v[3:4]
	v_add_f64 v[3:4], v[3:4], v[5:6]
	s_waitcnt lgkmcnt(0)
	s_delay_alu instid0(VALU_DEP_1) | instskip(NEXT) | instid1(VALU_DEP_1)
	v_add_f64 v[9:10], v[3:4], v[9:10]
                                        ; implicit-def: $vgpr3_vgpr4
	v_cmpx_nlt_f64_e32 0, v[9:10]
	s_xor_b32 s5, exec_lo, s5
	s_cbranch_execz .LBB65_32
; %bb.28:                               ;   in Loop: Header=BB65_17 Depth=1
	v_mov_b32_e32 v3, v2
	s_and_b32 vcc_lo, exec_lo, s28
	ds_store_b64 v2, v[2:3]
	s_cbranch_vccz .LBB65_30
; %bb.29:                               ;   in Loop: Header=BB65_17 Depth=1
	v_mov_b32_e32 v3, s25
	s_mov_b32 s36, -1
	s_mov_b64 s[14:15], 0
	s_mov_b64 s[12:13], 1.0
	ds_load_b64 v[3:4], v3
	s_branch .LBB65_31
.LBB65_30:                              ;   in Loop: Header=BB65_17 Depth=1
	s_mov_b32 s36, 0
                                        ; implicit-def: $vgpr3_vgpr4
                                        ; implicit-def: $sgpr12_sgpr13
                                        ; implicit-def: $sgpr14_sgpr15
.LBB65_31:                              ;   in Loop: Header=BB65_17 Depth=1
	s_mov_b64 s[10:11], 0
	s_mov_b64 s[8:9], 1.0
	s_and_b32 s36, s36, exec_lo
                                        ; implicit-def: $vgpr9_vgpr10
.LBB65_32:                              ;   in Loop: Header=BB65_17 Depth=1
	s_or_saveexec_b32 s37, s5
	v_dual_mov_b32 v5, s12 :: v_dual_mov_b32 v6, s13
	v_dual_mov_b32 v7, s14 :: v_dual_mov_b32 v8, s15
	s_mov_b32 s5, 0
	s_xor_b32 exec_lo, exec_lo, s37
	s_cbranch_execz .LBB65_34
; %bb.33:                               ;   in Loop: Header=BB65_17 Depth=1
	s_waitcnt lgkmcnt(0)
	v_mov_b32_e32 v3, s25
	s_and_not1_b32 s12, s36, exec_lo
	s_and_b32 s13, s28, exec_lo
	s_delay_alu instid0(SALU_CYCLE_1) | instskip(SKIP_3) | instid1(VALU_DEP_1)
	s_or_b32 s36, s12, s13
	ds_load_b64 v[5:6], v3
	s_waitcnt lgkmcnt(0)
	v_fma_f64 v[3:4], v[5:6], v[5:6], v[9:10]
	v_cmp_gt_f64_e32 vcc_lo, 0x10000000, v[3:4]
	v_cndmask_b32_e64 v7, 0, 1, vcc_lo
	s_delay_alu instid0(VALU_DEP_1) | instskip(NEXT) | instid1(VALU_DEP_1)
	v_lshlrev_b32_e32 v7, 8, v7
	v_ldexp_f64 v[3:4], v[3:4], v7
	s_delay_alu instid0(VALU_DEP_1) | instskip(SKIP_3) | instid1(VALU_DEP_1)
	v_rsq_f64_e32 v[7:8], v[3:4]
	s_waitcnt_depctr 0xfff
	v_mul_f64 v[9:10], v[3:4], v[7:8]
	v_mul_f64 v[7:8], v[7:8], 0.5
	v_fma_f64 v[11:12], -v[7:8], v[9:10], 0.5
	s_delay_alu instid0(VALU_DEP_1) | instskip(SKIP_1) | instid1(VALU_DEP_2)
	v_fma_f64 v[9:10], v[9:10], v[11:12], v[9:10]
	v_fma_f64 v[7:8], v[7:8], v[11:12], v[7:8]
	v_fma_f64 v[11:12], -v[9:10], v[9:10], v[3:4]
	s_delay_alu instid0(VALU_DEP_1) | instskip(NEXT) | instid1(VALU_DEP_1)
	v_fma_f64 v[9:10], v[11:12], v[7:8], v[9:10]
	v_fma_f64 v[11:12], -v[9:10], v[9:10], v[3:4]
	s_delay_alu instid0(VALU_DEP_1) | instskip(SKIP_2) | instid1(VALU_DEP_2)
	v_fma_f64 v[7:8], v[11:12], v[7:8], v[9:10]
	v_cndmask_b32_e64 v9, 0, 0xffffff80, vcc_lo
	v_cmp_class_f64_e64 vcc_lo, v[3:4], 0x260
	v_ldexp_f64 v[7:8], v[7:8], v9
	s_delay_alu instid0(VALU_DEP_1) | instskip(SKIP_1) | instid1(VALU_DEP_2)
	v_dual_cndmask_b32 v4, v8, v4 :: v_dual_cndmask_b32 v3, v7, v3
	v_cmp_le_f64_e32 vcc_lo, 0, v[5:6]
	v_xor_b32_e32 v7, 0x80000000, v4
	s_delay_alu instid0(VALU_DEP_1) | instskip(NEXT) | instid1(VALU_DEP_1)
	v_cndmask_b32_e32 v4, v4, v7, vcc_lo
	v_add_f64 v[9:10], v[5:6], -v[3:4]
	v_add_f64 v[5:6], v[3:4], -v[5:6]
	s_delay_alu instid0(VALU_DEP_2) | instskip(NEXT) | instid1(VALU_DEP_2)
	v_div_scale_f64 v[7:8], null, v[9:10], v[9:10], 1.0
	v_div_scale_f64 v[11:12], null, v[3:4], v[3:4], v[5:6]
	v_div_scale_f64 v[34:35], vcc_lo, 1.0, v[9:10], 1.0
	s_delay_alu instid0(VALU_DEP_3) | instskip(NEXT) | instid1(VALU_DEP_2)
	v_rcp_f64_e32 v[26:27], v[7:8]
	v_rcp_f64_e32 v[28:29], v[11:12]
	s_waitcnt_depctr 0xfff
	v_fma_f64 v[30:31], -v[7:8], v[26:27], 1.0
	v_fma_f64 v[32:33], -v[11:12], v[28:29], 1.0
	s_delay_alu instid0(VALU_DEP_2) | instskip(NEXT) | instid1(VALU_DEP_2)
	v_fma_f64 v[26:27], v[26:27], v[30:31], v[26:27]
	v_fma_f64 v[28:29], v[28:29], v[32:33], v[28:29]
	s_delay_alu instid0(VALU_DEP_2) | instskip(NEXT) | instid1(VALU_DEP_2)
	v_fma_f64 v[30:31], -v[7:8], v[26:27], 1.0
	v_fma_f64 v[32:33], -v[11:12], v[28:29], 1.0
	s_delay_alu instid0(VALU_DEP_2) | instskip(SKIP_1) | instid1(VALU_DEP_3)
	v_fma_f64 v[26:27], v[26:27], v[30:31], v[26:27]
	v_div_scale_f64 v[30:31], s5, v[5:6], v[3:4], v[5:6]
	v_fma_f64 v[28:29], v[28:29], v[32:33], v[28:29]
	s_delay_alu instid0(VALU_DEP_3) | instskip(NEXT) | instid1(VALU_DEP_2)
	v_mul_f64 v[32:33], v[34:35], v[26:27]
	v_mul_f64 v[36:37], v[30:31], v[28:29]
	s_delay_alu instid0(VALU_DEP_2) | instskip(NEXT) | instid1(VALU_DEP_2)
	v_fma_f64 v[7:8], -v[7:8], v[32:33], v[34:35]
	v_fma_f64 v[11:12], -v[11:12], v[36:37], v[30:31]
	s_delay_alu instid0(VALU_DEP_2) | instskip(SKIP_2) | instid1(VALU_DEP_2)
	v_div_fmas_f64 v[26:27], v[7:8], v[26:27], v[32:33]
	s_mov_b32 vcc_lo, s5
	s_and_b32 s5, s27, exec_lo
	v_div_fmas_f64 v[7:8], v[11:12], v[28:29], v[36:37]
	s_delay_alu instid0(VALU_DEP_1) | instskip(NEXT) | instid1(VALU_DEP_3)
	v_div_fixup_f64 v[7:8], v[7:8], v[3:4], v[5:6]
	v_div_fixup_f64 v[5:6], v[26:27], v[9:10], 1.0
	ds_store_b64 v2, v[7:8]
.LBB65_34:                              ;   in Loop: Header=BB65_17 Depth=1
	s_or_b32 exec_lo, exec_lo, s37
	s_and_saveexec_b32 s12, s36
	s_cbranch_execz .LBB65_36
; %bb.35:                               ;   in Loop: Header=BB65_17 Depth=1
	s_lshl_b64 s[14:15], s[6:7], 3
	s_delay_alu instid0(SALU_CYCLE_1)
	s_add_u32 s14, s20, s14
	s_addc_u32 s15, s21, s15
	s_or_b32 s5, s5, exec_lo
	s_waitcnt lgkmcnt(0)
	global_store_b64 v2, v[3:4], s[14:15]
	v_mov_b32_e32 v3, 0
	v_mov_b32_e32 v4, 0x3ff00000
.LBB65_36:                              ;   in Loop: Header=BB65_17 Depth=1
	s_or_b32 exec_lo, exec_lo, s12
	v_dual_mov_b32 v9, s10 :: v_dual_mov_b32 v10, s11
	v_dual_mov_b32 v12, s9 :: v_dual_mov_b32 v11, s8
	s_and_saveexec_b32 s8, s5
	s_cbranch_execz .LBB65_38
; %bb.37:                               ;   in Loop: Header=BB65_17 Depth=1
	v_mov_b32_e32 v10, v8
	v_dual_mov_b32 v12, v6 :: v_dual_mov_b32 v11, v5
	v_dual_mov_b32 v26, s25 :: v_dual_mov_b32 v9, v7
	s_waitcnt lgkmcnt(0)
	ds_store_b64 v26, v[3:4]
.LBB65_38:                              ;   in Loop: Header=BB65_17 Depth=1
	s_or_b32 exec_lo, exec_lo, s8
	s_lshl_b64 s[8:9], s[6:7], 3
	s_waitcnt lgkmcnt(0)
	v_mov_b32_e32 v3, s26
	s_add_u32 s8, s22, s8
	s_addc_u32 s9, s23, s9
	global_store_b64 v2, v[9:10], s[8:9]
	ds_store_b64 v3, v[11:12] offset:8
.LBB65_39:                              ;   in Loop: Header=BB65_17 Depth=1
	s_or_b32 exec_lo, exec_lo, s35
	s_waitcnt lgkmcnt(0)
	s_waitcnt_vscnt null, 0x0
	s_barrier
	buffer_gl0_inv
	s_and_saveexec_b32 s5, s4
	s_cbranch_execz .LBB65_42
; %bb.40:                               ;   in Loop: Header=BB65_17 Depth=1
	v_dual_mov_b32 v3, v22 :: v_dual_mov_b32 v4, v0
	s_mov_b32 s4, 0
	.p2align	6
.LBB65_41:                              ;   Parent Loop BB65_17 Depth=1
                                        ; =>  This Inner Loop Header: Depth=2
	s_delay_alu instid0(VALU_DEP_1)
	v_dual_mov_b32 v7, s26 :: v_dual_add_nc_u32 v4, 0x100, v4
	ds_load_b64 v[5:6], v3
	ds_load_b64 v[7:8], v7 offset:8
	v_cmp_le_i32_e32 vcc_lo, s34, v4
	s_or_b32 s4, vcc_lo, s4
	s_waitcnt lgkmcnt(0)
	v_mul_f64 v[5:6], v[7:8], v[5:6]
	ds_store_b64 v3, v[5:6]
	v_add_nc_u32_e32 v3, 0x800, v3
	s_and_not1_b32 exec_lo, exec_lo, s4
	s_cbranch_execnz .LBB65_41
.LBB65_42:                              ;   in Loop: Header=BB65_17 Depth=1
	s_or_b32 exec_lo, exec_lo, s5
	s_waitcnt lgkmcnt(0)
	s_barrier
	buffer_gl0_inv
	s_and_saveexec_b32 s4, s3
	s_cbranch_execz .LBB65_49
; %bb.43:                               ;   in Loop: Header=BB65_17 Depth=1
	v_dual_mov_b32 v5, v23 :: v_dual_mov_b32 v6, v0
	s_mov_b32 s5, 0
	s_set_inst_prefetch_distance 0x1
	.p2align	6
.LBB65_44:                              ;   Parent Loop BB65_17 Depth=1
                                        ; =>  This Loop Header: Depth=2
                                        ;       Child Loop BB65_45 Depth 3
	v_mov_b32_e32 v3, 0
	s_delay_alu instid0(VALU_DEP_2)
	v_dual_mov_b32 v4, 0 :: v_dual_mov_b32 v7, v5
	s_mov_b32 s7, s25
	s_mov_b32 s8, 0
.LBB65_45:                              ;   Parent Loop BB65_17 Depth=1
                                        ;     Parent Loop BB65_44 Depth=2
                                        ; =>    This Inner Loop Header: Depth=3
	v_mov_b32_e32 v10, s7
	s_add_i32 s8, s8, 1
	s_add_i32 s7, s7, 8
	s_cmp_ge_i32 s8, s33
	ds_load_b64 v[8:9], v7
	ds_load_b64 v[10:11], v10
	v_add_nc_u32_e32 v7, s24, v7
	s_waitcnt lgkmcnt(0)
	v_fma_f64 v[3:4], v[8:9], v[10:11], v[3:4]
	s_cbranch_scc0 .LBB65_45
; %bb.46:                               ;   in Loop: Header=BB65_44 Depth=2
	ds_load_b64 v[7:8], v2
	v_add_nc_u32_e32 v5, 0x800, v5
	s_waitcnt lgkmcnt(0)
	v_mul_f64 v[3:4], v[3:4], v[7:8]
	v_lshl_add_u32 v7, v6, 3, s31
	v_add_nc_u32_e32 v6, 0x100, v6
	s_delay_alu instid0(VALU_DEP_1)
	v_cmp_le_i32_e32 vcc_lo, s33, v6
	s_or_b32 s5, vcc_lo, s5
	ds_store_b64 v7, v[3:4]
	s_and_not1_b32 exec_lo, exec_lo, s5
	s_cbranch_execnz .LBB65_44
; %bb.47:                               ;   in Loop: Header=BB65_17 Depth=1
	s_set_inst_prefetch_distance 0x2
	s_or_b32 exec_lo, exec_lo, s5
	v_mov_b32_e32 v3, v0
	s_mov_b32 s5, 0
	s_mov_b32 s7, 0
.LBB65_48:                              ;   Parent Loop BB65_17 Depth=1
                                        ; =>  This Inner Loop Header: Depth=2
	s_delay_alu instid0(SALU_CYCLE_1) | instskip(NEXT) | instid1(VALU_DEP_2)
	v_add_nc_u32_e32 v4, s7, v20
	v_add_nc_u32_e32 v3, 0x100, v3
	;; [unrolled: 1-line block ×3, first 2 shown]
	s_addk_i32 s7, 0x800
	ds_load_b64 v[4:5], v4
	v_cmp_le_i32_e32 vcc_lo, s33, v3
	s_or_b32 s5, vcc_lo, s5
	s_waitcnt lgkmcnt(0)
	ds_store_b64 v6, v[4:5]
	s_and_not1_b32 exec_lo, exec_lo, s5
	s_cbranch_execnz .LBB65_48
.LBB65_49:                              ;   in Loop: Header=BB65_17 Depth=1
	s_or_b32 exec_lo, exec_lo, s4
	v_mov_b32_e32 v3, 0
	v_mov_b32_e32 v4, 0
	s_waitcnt lgkmcnt(0)
	s_barrier
	buffer_gl0_inv
	s_and_saveexec_b32 s4, s3
	s_cbranch_execz .LBB65_53
; %bb.50:                               ;   in Loop: Header=BB65_17 Depth=1
	v_dual_mov_b32 v3, 0 :: v_dual_mov_b32 v6, v24
	v_dual_mov_b32 v4, 0 :: v_dual_mov_b32 v5, v20
	v_mov_b32_e32 v7, v0
	s_mov_b32 s5, 0
	.p2align	6
.LBB65_51:                              ;   Parent Loop BB65_17 Depth=1
                                        ; =>  This Inner Loop Header: Depth=2
	ds_load_b64 v[8:9], v5
	ds_load_b64 v[10:11], v6
	v_add_nc_u32_e32 v7, 0x100, v7
	v_add_nc_u32_e32 v6, 0x800, v6
	;; [unrolled: 1-line block ×3, first 2 shown]
	s_delay_alu instid0(VALU_DEP_3) | instskip(SKIP_3) | instid1(VALU_DEP_1)
	v_cmp_le_i32_e32 vcc_lo, s33, v7
	s_or_b32 s5, vcc_lo, s5
	s_waitcnt lgkmcnt(0)
	v_mul_f64 v[8:9], v[8:9], v[10:11]
	v_add_f64 v[3:4], v[3:4], v[8:9]
	s_and_not1_b32 exec_lo, exec_lo, s5
	s_cbranch_execnz .LBB65_51
; %bb.52:                               ;   in Loop: Header=BB65_17 Depth=1
	s_or_b32 exec_lo, exec_lo, s5
.LBB65_53:                              ;   in Loop: Header=BB65_17 Depth=1
	s_delay_alu instid0(SALU_CYCLE_1)
	s_or_b32 exec_lo, exec_lo, s4
	ds_bpermute_b32 v5, v15, v3
	ds_bpermute_b32 v6, v15, v4
	s_waitcnt lgkmcnt(0)
	v_add_f64 v[3:4], v[3:4], v[5:6]
	ds_bpermute_b32 v5, v16, v3
	ds_bpermute_b32 v6, v16, v4
	s_waitcnt lgkmcnt(0)
	v_add_f64 v[3:4], v[3:4], v[5:6]
	;; [unrolled: 4-line block ×5, first 2 shown]
	s_and_saveexec_b32 s4, s0
	s_cbranch_execz .LBB65_55
; %bb.54:                               ;   in Loop: Header=BB65_17 Depth=1
	ds_store_b64 v25, v[3:4] offset:8
.LBB65_55:                              ;   in Loop: Header=BB65_17 Depth=1
	s_or_b32 exec_lo, exec_lo, s4
	s_waitcnt lgkmcnt(0)
	s_barrier
	buffer_gl0_inv
	s_and_saveexec_b32 s4, s1
	s_cbranch_execz .LBB65_57
; %bb.56:                               ;   in Loop: Header=BB65_17 Depth=1
	v_mov_b32_e32 v28, s26
	ds_load_2addr_b64 v[5:8], v28 offset0:2 offset1:3
	ds_load_b64 v[11:12], v2
	s_waitcnt lgkmcnt(1)
	v_add_f64 v[3:4], v[3:4], v[5:6]
	s_delay_alu instid0(VALU_DEP_1) | instskip(SKIP_4) | instid1(VALU_DEP_1)
	v_add_f64 v[26:27], v[3:4], v[7:8]
	ds_load_2addr_b64 v[3:6], v28 offset0:4 offset1:5
	ds_load_2addr_b64 v[7:10], v28 offset0:6 offset1:7
	s_waitcnt lgkmcnt(1)
	v_add_f64 v[3:4], v[26:27], v[3:4]
	v_add_f64 v[3:4], v[3:4], v[5:6]
	ds_load_b64 v[5:6], v28 offset:64
	s_waitcnt lgkmcnt(1)
	v_add_f64 v[3:4], v[3:4], v[7:8]
	s_delay_alu instid0(VALU_DEP_1) | instskip(SKIP_1) | instid1(VALU_DEP_1)
	v_add_f64 v[3:4], v[3:4], v[9:10]
	s_waitcnt lgkmcnt(0)
	v_add_f64 v[3:4], v[3:4], v[5:6]
	v_mul_f64 v[5:6], v[11:12], -0.5
	s_delay_alu instid0(VALU_DEP_1)
	v_mul_f64 v[3:4], v[3:4], v[5:6]
	ds_store_b64 v28, v[3:4] offset:8
.LBB65_57:                              ;   in Loop: Header=BB65_17 Depth=1
	s_or_b32 exec_lo, exec_lo, s4
	s_waitcnt lgkmcnt(0)
	s_barrier
	buffer_gl0_inv
	s_and_saveexec_b32 s4, s3
	s_cbranch_execz .LBB65_60
; %bb.58:                               ;   in Loop: Header=BB65_17 Depth=1
	v_mov_b32_e32 v3, v20
	v_mov_b32_e32 v4, v24
	;; [unrolled: 1-line block ×3, first 2 shown]
	s_mov_b32 s5, 0
	.p2align	6
.LBB65_59:                              ;   Parent Loop BB65_17 Depth=1
                                        ; =>  This Inner Loop Header: Depth=2
	s_delay_alu instid0(VALU_DEP_1)
	v_dual_mov_b32 v10, s26 :: v_dual_add_nc_u32 v5, 0x100, v5
	ds_load_b64 v[6:7], v3
	ds_load_b64 v[8:9], v4
	ds_load_b64 v[10:11], v10 offset:8
	v_add_nc_u32_e32 v3, 0x800, v3
	v_cmp_le_i32_e32 vcc_lo, s33, v5
	s_or_b32 s5, vcc_lo, s5
	s_waitcnt lgkmcnt(0)
	v_fma_f64 v[6:7], v[10:11], v[6:7], v[8:9]
	ds_store_b64 v4, v[6:7]
	v_add_nc_u32_e32 v4, 0x800, v4
	s_and_not1_b32 exec_lo, exec_lo, s5
	s_cbranch_execnz .LBB65_59
.LBB65_60:                              ;   in Loop: Header=BB65_17 Depth=1
	s_or_b32 exec_lo, exec_lo, s4
	s_waitcnt lgkmcnt(0)
	s_barrier
	buffer_gl0_inv
	s_and_saveexec_b32 s4, s3
	s_cbranch_execz .LBB65_16
; %bb.61:                               ;   in Loop: Header=BB65_17 Depth=1
	v_dual_mov_b32 v3, v23 :: v_dual_mov_b32 v4, v0
	s_mov_b32 s3, 0
	s_set_inst_prefetch_distance 0x1
	.p2align	6
.LBB65_62:                              ;   Parent Loop BB65_17 Depth=1
                                        ; =>  This Loop Header: Depth=2
                                        ;       Child Loop BB65_63 Depth 3
	s_delay_alu instid0(VALU_DEP_1) | instskip(SKIP_3) | instid1(VALU_DEP_1)
	v_dual_mov_b32 v7, v3 :: v_dual_lshlrev_b32 v6, 3, v4
	s_mov_b32 s5, s31
	s_mov_b32 s7, s25
	s_mov_b32 s8, 0
	v_add_nc_u32_e32 v5, s25, v6
	v_add_nc_u32_e32 v6, s31, v6
	.p2align	6
.LBB65_63:                              ;   Parent Loop BB65_17 Depth=1
                                        ;     Parent Loop BB65_62 Depth=2
                                        ; =>    This Inner Loop Header: Depth=3
	v_mov_b32_e32 v12, s5
	s_add_i32 s8, s8, 1
	s_add_i32 s5, s5, 8
	ds_load_b64 v[8:9], v7
	ds_load_b64 v[10:11], v5
	;; [unrolled: 1-line block ×4, first 2 shown]
	s_waitcnt lgkmcnt(1)
	v_fma_f64 v[8:9], -v[10:11], v[26:27], v[8:9]
	v_mov_b32_e32 v10, s7
	s_add_i32 s7, s7, 8
	s_cmp_ge_i32 s8, s33
	ds_load_b64 v[10:11], v10
	s_waitcnt lgkmcnt(0)
	v_fma_f64 v[8:9], -v[28:29], v[10:11], v[8:9]
	ds_store_b64 v7, v[8:9]
	v_add_nc_u32_e32 v7, s24, v7
	s_cbranch_scc0 .LBB65_63
; %bb.64:                               ;   in Loop: Header=BB65_62 Depth=2
	v_add_nc_u32_e32 v4, 0x100, v4
	v_add_nc_u32_e32 v3, 0x800, v3
	s_delay_alu instid0(VALU_DEP_2) | instskip(SKIP_1) | instid1(SALU_CYCLE_1)
	v_cmp_le_i32_e32 vcc_lo, s33, v4
	s_or_b32 s3, vcc_lo, s3
	s_and_not1_b32 exec_lo, exec_lo, s3
	s_cbranch_execnz .LBB65_62
	s_branch .LBB65_16
.LBB65_65:
	s_and_saveexec_b32 s0, s2
	s_cbranch_execz .LBB65_73
; %bb.66:
	v_mul_lo_u32 v0, s16, v13
	v_mad_u64_u32 v[2:3], null, s19, v13, v[1:2]
	v_cmp_gt_u32_e32 vcc_lo, s16, v13
	s_lshl_b32 s1, s19, 1
	s_mov_b32 s2, 0
	s_lshl_b32 s3, s16, 4
	s_delay_alu instid0(VALU_DEP_3) | instskip(NEXT) | instid1(VALU_DEP_1)
	v_lshl_add_u32 v0, v0, 3, v14
	v_add3_u32 v0, v0, 0, 8
	s_set_inst_prefetch_distance 0x1
	s_branch .LBB65_68
	.p2align	6
.LBB65_67:                              ;   in Loop: Header=BB65_68 Depth=1
	s_or_b32 exec_lo, exec_lo, s4
	v_add_nc_u32_e32 v1, 0x80, v1
	v_add_nc_u32_e32 v2, 0x80, v2
	;; [unrolled: 1-line block ×3, first 2 shown]
	s_delay_alu instid0(VALU_DEP_3) | instskip(NEXT) | instid1(VALU_DEP_1)
	v_cmp_le_i32_e64 s0, s16, v1
	s_or_b32 s2, s0, s2
	s_delay_alu instid0(SALU_CYCLE_1)
	s_and_not1_b32 exec_lo, exec_lo, s2
	s_cbranch_execz .LBB65_73
.LBB65_68:                              ; =>This Loop Header: Depth=1
                                        ;     Child Loop BB65_71 Depth 2
	s_and_saveexec_b32 s4, vcc_lo
	s_cbranch_execz .LBB65_67
; %bb.69:                               ;   in Loop: Header=BB65_68 Depth=1
	v_dual_mov_b32 v5, v0 :: v_dual_mov_b32 v6, v13
	v_mov_b32_e32 v3, v2
	s_mov_b32 s5, 0
	s_branch .LBB65_71
	.p2align	6
.LBB65_70:                              ;   in Loop: Header=BB65_71 Depth=2
	s_or_b32 exec_lo, exec_lo, s6
	v_add_nc_u32_e32 v6, 2, v6
	v_add_nc_u32_e32 v3, s1, v3
	;; [unrolled: 1-line block ×3, first 2 shown]
	s_delay_alu instid0(VALU_DEP_3) | instskip(NEXT) | instid1(VALU_DEP_1)
	v_cmp_le_i32_e64 s0, s16, v6
	s_or_b32 s5, s0, s5
	s_delay_alu instid0(SALU_CYCLE_1)
	s_and_not1_b32 exec_lo, exec_lo, s5
	s_cbranch_execz .LBB65_67
.LBB65_71:                              ;   Parent Loop BB65_68 Depth=1
                                        ; =>  This Inner Loop Header: Depth=2
	s_mov_b32 s6, exec_lo
	v_cmpx_ge_u32_e64 v1, v6
	s_cbranch_execz .LBB65_70
; %bb.72:                               ;   in Loop: Header=BB65_71 Depth=2
	ds_load_b64 v[7:8], v5
	v_ashrrev_i32_e32 v4, 31, v3
	s_delay_alu instid0(VALU_DEP_1) | instskip(NEXT) | instid1(VALU_DEP_1)
	v_lshlrev_b64 v[9:10], 3, v[3:4]
	v_add_co_u32 v9, s0, s17, v9
	s_delay_alu instid0(VALU_DEP_1)
	v_add_co_ci_u32_e64 v10, s0, s18, v10, s0
	s_waitcnt lgkmcnt(0)
	global_store_b64 v[9:10], v[7:8], off
	s_branch .LBB65_70
.LBB65_73:
	s_set_inst_prefetch_distance 0x2
	s_nop 0
	s_sendmsg sendmsg(MSG_DEALLOC_VGPRS)
	s_endpgm
	.section	.rodata,"a",@progbits
	.p2align	6, 0x0
	.amdhsa_kernel _ZN9rocsolver6v33100L24sytd2_lower_kernel_smallILi256EdidPdEEvT1_T3_lS3_lPT2_lS6_lPT0_l
		.amdhsa_group_segment_fixed_size 0
		.amdhsa_private_segment_fixed_size 0
		.amdhsa_kernarg_size 88
		.amdhsa_user_sgpr_count 14
		.amdhsa_user_sgpr_dispatch_ptr 0
		.amdhsa_user_sgpr_queue_ptr 0
		.amdhsa_user_sgpr_kernarg_segment_ptr 1
		.amdhsa_user_sgpr_dispatch_id 0
		.amdhsa_user_sgpr_private_segment_size 0
		.amdhsa_wavefront_size32 1
		.amdhsa_uses_dynamic_stack 0
		.amdhsa_enable_private_segment 0
		.amdhsa_system_sgpr_workgroup_id_x 1
		.amdhsa_system_sgpr_workgroup_id_y 0
		.amdhsa_system_sgpr_workgroup_id_z 1
		.amdhsa_system_sgpr_workgroup_info 0
		.amdhsa_system_vgpr_workitem_id 0
		.amdhsa_next_free_vgpr 38
		.amdhsa_next_free_sgpr 38
		.amdhsa_reserve_vcc 1
		.amdhsa_float_round_mode_32 0
		.amdhsa_float_round_mode_16_64 0
		.amdhsa_float_denorm_mode_32 3
		.amdhsa_float_denorm_mode_16_64 3
		.amdhsa_dx10_clamp 1
		.amdhsa_ieee_mode 1
		.amdhsa_fp16_overflow 0
		.amdhsa_workgroup_processor_mode 1
		.amdhsa_memory_ordered 1
		.amdhsa_forward_progress 0
		.amdhsa_shared_vgpr_count 0
		.amdhsa_exception_fp_ieee_invalid_op 0
		.amdhsa_exception_fp_denorm_src 0
		.amdhsa_exception_fp_ieee_div_zero 0
		.amdhsa_exception_fp_ieee_overflow 0
		.amdhsa_exception_fp_ieee_underflow 0
		.amdhsa_exception_fp_ieee_inexact 0
		.amdhsa_exception_int_div_zero 0
	.end_amdhsa_kernel
	.section	.text._ZN9rocsolver6v33100L24sytd2_lower_kernel_smallILi256EdidPdEEvT1_T3_lS3_lPT2_lS6_lPT0_l,"axG",@progbits,_ZN9rocsolver6v33100L24sytd2_lower_kernel_smallILi256EdidPdEEvT1_T3_lS3_lPT2_lS6_lPT0_l,comdat
.Lfunc_end65:
	.size	_ZN9rocsolver6v33100L24sytd2_lower_kernel_smallILi256EdidPdEEvT1_T3_lS3_lPT2_lS6_lPT0_l, .Lfunc_end65-_ZN9rocsolver6v33100L24sytd2_lower_kernel_smallILi256EdidPdEEvT1_T3_lS3_lPT2_lS6_lPT0_l
                                        ; -- End function
	.section	.AMDGPU.csdata,"",@progbits
; Kernel info:
; codeLenInByte = 3936
; NumSgprs: 40
; NumVgprs: 38
; ScratchSize: 0
; MemoryBound: 0
; FloatMode: 240
; IeeeMode: 1
; LDSByteSize: 0 bytes/workgroup (compile time only)
; SGPRBlocks: 4
; VGPRBlocks: 4
; NumSGPRsForWavesPerEU: 40
; NumVGPRsForWavesPerEU: 38
; Occupancy: 16
; WaveLimiterHint : 0
; COMPUTE_PGM_RSRC2:SCRATCH_EN: 0
; COMPUTE_PGM_RSRC2:USER_SGPR: 14
; COMPUTE_PGM_RSRC2:TRAP_HANDLER: 0
; COMPUTE_PGM_RSRC2:TGID_X_EN: 1
; COMPUTE_PGM_RSRC2:TGID_Y_EN: 0
; COMPUTE_PGM_RSRC2:TGID_Z_EN: 1
; COMPUTE_PGM_RSRC2:TIDIG_COMP_CNT: 0
	.section	.text._ZN9rocsolver6v33100L16reset_batch_infoIdiiPdEEvT2_lT0_T1_,"axG",@progbits,_ZN9rocsolver6v33100L16reset_batch_infoIdiiPdEEvT2_lT0_T1_,comdat
	.globl	_ZN9rocsolver6v33100L16reset_batch_infoIdiiPdEEvT2_lT0_T1_ ; -- Begin function _ZN9rocsolver6v33100L16reset_batch_infoIdiiPdEEvT2_lT0_T1_
	.p2align	8
	.type	_ZN9rocsolver6v33100L16reset_batch_infoIdiiPdEEvT2_lT0_T1_,@function
_ZN9rocsolver6v33100L16reset_batch_infoIdiiPdEEvT2_lT0_T1_: ; @_ZN9rocsolver6v33100L16reset_batch_infoIdiiPdEEvT2_lT0_T1_
; %bb.0:
	s_clause 0x1
	s_load_b32 s4, s[0:1], 0x24
	s_load_b64 s[2:3], s[0:1], 0x10
	s_waitcnt lgkmcnt(0)
	s_and_b32 s4, s4, 0xffff
	s_delay_alu instid0(SALU_CYCLE_1) | instskip(NEXT) | instid1(VALU_DEP_1)
	v_mad_u64_u32 v[1:2], null, s14, s4, v[0:1]
	v_cmp_gt_i32_e32 vcc_lo, s2, v1
	s_and_saveexec_b32 s2, vcc_lo
	s_cbranch_execz .LBB66_2
; %bb.1:
	v_cvt_f64_i32_e32 v[3:4], s3
	s_load_b128 s[4:7], s[0:1], 0x0
	v_ashrrev_i32_e32 v2, 31, v1
	s_ashr_i32 s0, s15, 31
	s_delay_alu instid0(VALU_DEP_1)
	v_lshlrev_b64 v[0:1], 3, v[1:2]
	s_waitcnt lgkmcnt(0)
	s_mul_i32 s1, s15, s7
	s_mul_hi_u32 s2, s15, s6
	s_mul_i32 s0, s0, s6
	s_add_i32 s1, s2, s1
	s_delay_alu instid0(SALU_CYCLE_1) | instskip(SKIP_1) | instid1(SALU_CYCLE_1)
	s_add_i32 s1, s1, s0
	s_mul_i32 s0, s15, s6
	s_lshl_b64 s[0:1], s[0:1], 3
	s_delay_alu instid0(SALU_CYCLE_1)
	s_add_u32 s0, s4, s0
	s_addc_u32 s1, s5, s1
	v_add_co_u32 v0, vcc_lo, s0, v0
	v_add_co_ci_u32_e32 v1, vcc_lo, s1, v1, vcc_lo
	global_store_b64 v[0:1], v[3:4], off
.LBB66_2:
	s_nop 0
	s_sendmsg sendmsg(MSG_DEALLOC_VGPRS)
	s_endpgm
	.section	.rodata,"a",@progbits
	.p2align	6, 0x0
	.amdhsa_kernel _ZN9rocsolver6v33100L16reset_batch_infoIdiiPdEEvT2_lT0_T1_
		.amdhsa_group_segment_fixed_size 0
		.amdhsa_private_segment_fixed_size 0
		.amdhsa_kernarg_size 280
		.amdhsa_user_sgpr_count 14
		.amdhsa_user_sgpr_dispatch_ptr 0
		.amdhsa_user_sgpr_queue_ptr 0
		.amdhsa_user_sgpr_kernarg_segment_ptr 1
		.amdhsa_user_sgpr_dispatch_id 0
		.amdhsa_user_sgpr_private_segment_size 0
		.amdhsa_wavefront_size32 1
		.amdhsa_uses_dynamic_stack 0
		.amdhsa_enable_private_segment 0
		.amdhsa_system_sgpr_workgroup_id_x 1
		.amdhsa_system_sgpr_workgroup_id_y 1
		.amdhsa_system_sgpr_workgroup_id_z 0
		.amdhsa_system_sgpr_workgroup_info 0
		.amdhsa_system_vgpr_workitem_id 0
		.amdhsa_next_free_vgpr 5
		.amdhsa_next_free_sgpr 16
		.amdhsa_reserve_vcc 1
		.amdhsa_float_round_mode_32 0
		.amdhsa_float_round_mode_16_64 0
		.amdhsa_float_denorm_mode_32 3
		.amdhsa_float_denorm_mode_16_64 3
		.amdhsa_dx10_clamp 1
		.amdhsa_ieee_mode 1
		.amdhsa_fp16_overflow 0
		.amdhsa_workgroup_processor_mode 1
		.amdhsa_memory_ordered 1
		.amdhsa_forward_progress 0
		.amdhsa_shared_vgpr_count 0
		.amdhsa_exception_fp_ieee_invalid_op 0
		.amdhsa_exception_fp_denorm_src 0
		.amdhsa_exception_fp_ieee_div_zero 0
		.amdhsa_exception_fp_ieee_overflow 0
		.amdhsa_exception_fp_ieee_underflow 0
		.amdhsa_exception_fp_ieee_inexact 0
		.amdhsa_exception_int_div_zero 0
	.end_amdhsa_kernel
	.section	.text._ZN9rocsolver6v33100L16reset_batch_infoIdiiPdEEvT2_lT0_T1_,"axG",@progbits,_ZN9rocsolver6v33100L16reset_batch_infoIdiiPdEEvT2_lT0_T1_,comdat
.Lfunc_end66:
	.size	_ZN9rocsolver6v33100L16reset_batch_infoIdiiPdEEvT2_lT0_T1_, .Lfunc_end66-_ZN9rocsolver6v33100L16reset_batch_infoIdiiPdEEvT2_lT0_T1_
                                        ; -- End function
	.section	.AMDGPU.csdata,"",@progbits
; Kernel info:
; codeLenInByte = 168
; NumSgprs: 18
; NumVgprs: 5
; ScratchSize: 0
; MemoryBound: 0
; FloatMode: 240
; IeeeMode: 1
; LDSByteSize: 0 bytes/workgroup (compile time only)
; SGPRBlocks: 2
; VGPRBlocks: 0
; NumSGPRsForWavesPerEU: 18
; NumVGPRsForWavesPerEU: 5
; Occupancy: 16
; WaveLimiterHint : 0
; COMPUTE_PGM_RSRC2:SCRATCH_EN: 0
; COMPUTE_PGM_RSRC2:USER_SGPR: 14
; COMPUTE_PGM_RSRC2:TRAP_HANDLER: 0
; COMPUTE_PGM_RSRC2:TGID_X_EN: 1
; COMPUTE_PGM_RSRC2:TGID_Y_EN: 1
; COMPUTE_PGM_RSRC2:TGID_Z_EN: 0
; COMPUTE_PGM_RSRC2:TIDIG_COMP_CNT: 0
	.section	.text._ZN9rocsolver6v33100L8set_diagIdidPdTnNSt9enable_ifIXoont18rocblas_is_complexIT_E18rocblas_is_complexIT1_EEiE4typeELi0EEEvPS5_llT2_lT0_lSA_b,"axG",@progbits,_ZN9rocsolver6v33100L8set_diagIdidPdTnNSt9enable_ifIXoont18rocblas_is_complexIT_E18rocblas_is_complexIT1_EEiE4typeELi0EEEvPS5_llT2_lT0_lSA_b,comdat
	.globl	_ZN9rocsolver6v33100L8set_diagIdidPdTnNSt9enable_ifIXoont18rocblas_is_complexIT_E18rocblas_is_complexIT1_EEiE4typeELi0EEEvPS5_llT2_lT0_lSA_b ; -- Begin function _ZN9rocsolver6v33100L8set_diagIdidPdTnNSt9enable_ifIXoont18rocblas_is_complexIT_E18rocblas_is_complexIT1_EEiE4typeELi0EEEvPS5_llT2_lT0_lSA_b
	.p2align	8
	.type	_ZN9rocsolver6v33100L8set_diagIdidPdTnNSt9enable_ifIXoont18rocblas_is_complexIT_E18rocblas_is_complexIT1_EEiE4typeELi0EEEvPS5_llT2_lT0_lSA_b,@function
_ZN9rocsolver6v33100L8set_diagIdidPdTnNSt9enable_ifIXoont18rocblas_is_complexIT_E18rocblas_is_complexIT1_EEiE4typeELi0EEEvPS5_llT2_lT0_lSA_b: ; @_ZN9rocsolver6v33100L8set_diagIdidPdTnNSt9enable_ifIXoont18rocblas_is_complexIT_E18rocblas_is_complexIT1_EEiE4typeELi0EEEvPS5_llT2_lT0_lSA_b
; %bb.0:
	s_clause 0x1
	s_load_b32 s4, s[0:1], 0x4c
	s_load_b64 s[2:3], s[0:1], 0x38
	v_bfe_u32 v2, v0, 10, 10
	s_waitcnt lgkmcnt(0)
	s_lshr_b32 s4, s4, 16
	s_delay_alu instid0(VALU_DEP_1) | instid1(SALU_CYCLE_1)
	v_mad_u64_u32 v[0:1], null, s15, s4, v[2:3]
	s_delay_alu instid0(VALU_DEP_1)
	v_cmp_gt_i32_e32 vcc_lo, s2, v0
	s_and_saveexec_b32 s2, vcc_lo
	s_cbranch_execz .LBB67_2
; %bb.1:
	s_clause 0x3
	s_load_b32 s2, s[0:1], 0x28
	s_load_b64 s[12:13], s[0:1], 0x30
	s_load_b256 s[4:11], s[0:1], 0x0
	s_load_b64 s[0:1], s[0:1], 0x20
	s_bitcmp1_b32 s3, 0
	s_cselect_b32 s15, -1, 0
	s_ashr_i32 s16, s14, 31
	s_waitcnt lgkmcnt(0)
	v_mad_u64_u32 v[1:2], null, v0, s2, v[0:1]
	s_mul_i32 s2, s14, s13
	s_mul_hi_u32 s3, s14, s12
	s_mul_i32 s13, s16, s12
	s_add_i32 s3, s3, s2
	s_mul_i32 s2, s14, s12
	s_add_i32 s3, s3, s13
	s_delay_alu instid0(VALU_DEP_1)
	v_ashrrev_i32_e32 v2, 31, v1
	s_lshl_b64 s[2:3], s[2:3], 3
	s_mul_i32 s16, s16, s8
	s_add_u32 s2, s10, s2
	s_addc_u32 s3, s11, s3
	v_lshlrev_b64 v[1:2], 3, v[1:2]
	s_lshl_b64 s[0:1], s[0:1], 3
	s_delay_alu instid0(SALU_CYCLE_1) | instskip(SKIP_1) | instid1(VALU_DEP_1)
	s_add_u32 s0, s2, s0
	s_addc_u32 s1, s3, s1
	v_add_co_u32 v3, vcc_lo, s0, v1
	s_delay_alu instid0(VALU_DEP_2)
	v_add_co_ci_u32_e32 v4, vcc_lo, s1, v2, vcc_lo
	s_mul_i32 s0, s14, s9
	s_mul_hi_u32 s1, s14, s8
	v_ashrrev_i32_e32 v1, 31, v0
	global_load_b64 v[5:6], v[3:4], off
	s_add_i32 s1, s1, s0
	s_mul_i32 s0, s14, s8
	s_add_i32 s1, s1, s16
	v_lshlrev_b64 v[0:1], 3, v[0:1]
	s_lshl_b64 s[0:1], s[0:1], 3
	s_delay_alu instid0(SALU_CYCLE_1) | instskip(SKIP_2) | instid1(SALU_CYCLE_1)
	s_add_u32 s2, s4, s0
	s_addc_u32 s3, s5, s1
	s_lshl_b64 s[0:1], s[6:7], 3
	s_add_u32 s0, s2, s0
	s_addc_u32 s1, s3, s1
	v_add_co_u32 v0, vcc_lo, s0, v0
	v_add_co_ci_u32_e32 v1, vcc_lo, s1, v1, vcc_lo
	s_waitcnt vmcnt(0)
	v_cndmask_b32_e64 v8, v6, 0x3ff00000, s15
	v_cndmask_b32_e64 v7, v5, 0, s15
	global_store_b64 v[0:1], v[5:6], off
	global_store_b64 v[3:4], v[7:8], off
.LBB67_2:
	s_nop 0
	s_sendmsg sendmsg(MSG_DEALLOC_VGPRS)
	s_endpgm
	.section	.rodata,"a",@progbits
	.p2align	6, 0x0
	.amdhsa_kernel _ZN9rocsolver6v33100L8set_diagIdidPdTnNSt9enable_ifIXoont18rocblas_is_complexIT_E18rocblas_is_complexIT1_EEiE4typeELi0EEEvPS5_llT2_lT0_lSA_b
		.amdhsa_group_segment_fixed_size 0
		.amdhsa_private_segment_fixed_size 0
		.amdhsa_kernarg_size 320
		.amdhsa_user_sgpr_count 14
		.amdhsa_user_sgpr_dispatch_ptr 0
		.amdhsa_user_sgpr_queue_ptr 0
		.amdhsa_user_sgpr_kernarg_segment_ptr 1
		.amdhsa_user_sgpr_dispatch_id 0
		.amdhsa_user_sgpr_private_segment_size 0
		.amdhsa_wavefront_size32 1
		.amdhsa_uses_dynamic_stack 0
		.amdhsa_enable_private_segment 0
		.amdhsa_system_sgpr_workgroup_id_x 1
		.amdhsa_system_sgpr_workgroup_id_y 1
		.amdhsa_system_sgpr_workgroup_id_z 0
		.amdhsa_system_sgpr_workgroup_info 0
		.amdhsa_system_vgpr_workitem_id 1
		.amdhsa_next_free_vgpr 9
		.amdhsa_next_free_sgpr 17
		.amdhsa_reserve_vcc 1
		.amdhsa_float_round_mode_32 0
		.amdhsa_float_round_mode_16_64 0
		.amdhsa_float_denorm_mode_32 3
		.amdhsa_float_denorm_mode_16_64 3
		.amdhsa_dx10_clamp 1
		.amdhsa_ieee_mode 1
		.amdhsa_fp16_overflow 0
		.amdhsa_workgroup_processor_mode 1
		.amdhsa_memory_ordered 1
		.amdhsa_forward_progress 0
		.amdhsa_shared_vgpr_count 0
		.amdhsa_exception_fp_ieee_invalid_op 0
		.amdhsa_exception_fp_denorm_src 0
		.amdhsa_exception_fp_ieee_div_zero 0
		.amdhsa_exception_fp_ieee_overflow 0
		.amdhsa_exception_fp_ieee_underflow 0
		.amdhsa_exception_fp_ieee_inexact 0
		.amdhsa_exception_int_div_zero 0
	.end_amdhsa_kernel
	.section	.text._ZN9rocsolver6v33100L8set_diagIdidPdTnNSt9enable_ifIXoont18rocblas_is_complexIT_E18rocblas_is_complexIT1_EEiE4typeELi0EEEvPS5_llT2_lT0_lSA_b,"axG",@progbits,_ZN9rocsolver6v33100L8set_diagIdidPdTnNSt9enable_ifIXoont18rocblas_is_complexIT_E18rocblas_is_complexIT1_EEiE4typeELi0EEEvPS5_llT2_lT0_lSA_b,comdat
.Lfunc_end67:
	.size	_ZN9rocsolver6v33100L8set_diagIdidPdTnNSt9enable_ifIXoont18rocblas_is_complexIT_E18rocblas_is_complexIT1_EEiE4typeELi0EEEvPS5_llT2_lT0_lSA_b, .Lfunc_end67-_ZN9rocsolver6v33100L8set_diagIdidPdTnNSt9enable_ifIXoont18rocblas_is_complexIT_E18rocblas_is_complexIT1_EEiE4typeELi0EEEvPS5_llT2_lT0_lSA_b
                                        ; -- End function
	.section	.AMDGPU.csdata,"",@progbits
; Kernel info:
; codeLenInByte = 344
; NumSgprs: 19
; NumVgprs: 9
; ScratchSize: 0
; MemoryBound: 0
; FloatMode: 240
; IeeeMode: 1
; LDSByteSize: 0 bytes/workgroup (compile time only)
; SGPRBlocks: 2
; VGPRBlocks: 1
; NumSGPRsForWavesPerEU: 19
; NumVGPRsForWavesPerEU: 9
; Occupancy: 16
; WaveLimiterHint : 0
; COMPUTE_PGM_RSRC2:SCRATCH_EN: 0
; COMPUTE_PGM_RSRC2:USER_SGPR: 14
; COMPUTE_PGM_RSRC2:TRAP_HANDLER: 0
; COMPUTE_PGM_RSRC2:TGID_X_EN: 1
; COMPUTE_PGM_RSRC2:TGID_Y_EN: 1
; COMPUTE_PGM_RSRC2:TGID_Z_EN: 0
; COMPUTE_PGM_RSRC2:TIDIG_COMP_CNT: 1
	.section	.text._ZN9rocsolver6v33100L11set_taubetaIdidPdEEvPT_lS4_T2_llPT1_ll,"axG",@progbits,_ZN9rocsolver6v33100L11set_taubetaIdidPdEEvPT_lS4_T2_llPT1_ll,comdat
	.globl	_ZN9rocsolver6v33100L11set_taubetaIdidPdEEvPT_lS4_T2_llPT1_ll ; -- Begin function _ZN9rocsolver6v33100L11set_taubetaIdidPdEEvPT_lS4_T2_llPT1_ll
	.p2align	8
	.type	_ZN9rocsolver6v33100L11set_taubetaIdidPdEEvPT_lS4_T2_llPT1_ll,@function
_ZN9rocsolver6v33100L11set_taubetaIdidPdEEvPT_lS4_T2_llPT1_ll: ; @_ZN9rocsolver6v33100L11set_taubetaIdidPdEEvPT_lS4_T2_llPT1_ll
; %bb.0:
	s_mov_b32 s20, s15
	s_load_b512 s[4:19], s[0:1], 0x0
	s_ashr_i32 s21, s20, 31
	s_mov_b64 s[2:3], 0
	s_waitcnt lgkmcnt(0)
	s_cmp_eq_u64 s[16:17], 0
	s_cbranch_scc1 .LBB68_2
; %bb.1:
	s_load_b64 s[0:1], s[0:1], 0x40
	s_waitcnt lgkmcnt(0)
	s_mul_i32 s1, s20, s1
	s_mul_hi_u32 s2, s20, s0
	s_mul_i32 s3, s21, s0
	s_add_i32 s1, s2, s1
	s_mul_i32 s0, s20, s0
	s_add_i32 s1, s1, s3
	s_delay_alu instid0(SALU_CYCLE_1) | instskip(NEXT) | instid1(SALU_CYCLE_1)
	s_lshl_b64 s[0:1], s[0:1], 3
	s_add_u32 s2, s16, s0
	s_addc_u32 s3, s17, s1
	s_lshl_b64 s[0:1], s[18:19], 3
	s_delay_alu instid0(SALU_CYCLE_1)
	s_add_u32 s2, s2, s0
	s_addc_u32 s3, s3, s1
.LBB68_2:
	s_mul_i32 s0, s20, s15
	s_mul_hi_u32 s1, s20, s14
	s_mul_i32 s15, s21, s14
	s_add_i32 s1, s1, s0
	s_mul_i32 s0, s20, s14
	s_add_i32 s1, s1, s15
	s_mul_i32 s7, s20, s7
	s_lshl_b64 s[0:1], s[0:1], 3
	s_delay_alu instid0(SALU_CYCLE_1) | instskip(SKIP_2) | instid1(SALU_CYCLE_1)
	s_add_u32 s10, s10, s0
	s_addc_u32 s11, s11, s1
	s_lshl_b64 s[0:1], s[12:13], 3
	s_add_u32 s0, s10, s0
	s_mul_hi_u32 s10, s20, s6
	s_addc_u32 s1, s11, s1
	s_add_i32 s7, s10, s7
	s_mul_i32 s10, s21, s6
	s_mul_i32 s6, s20, s6
	s_add_i32 s7, s7, s10
	s_delay_alu instid0(SALU_CYCLE_1) | instskip(NEXT) | instid1(SALU_CYCLE_1)
	s_lshl_b64 s[6:7], s[6:7], 3
	s_add_u32 s4, s4, s6
	s_addc_u32 s5, s5, s7
	s_lshl_b64 s[6:7], s[20:21], 3
	s_delay_alu instid0(SALU_CYCLE_1)
	s_add_u32 s6, s8, s6
	s_addc_u32 s7, s9, s7
	s_cmp_eq_u64 s[2:3], 0
	s_load_b64 s[8:9], s[6:7], 0x0
	s_cselect_b32 s10, -1, 0
	s_cmp_lg_u64 s[2:3], 0
	s_cselect_b32 s11, -1, 0
	s_waitcnt lgkmcnt(0)
	v_cmp_ngt_f64_e64 s12, s[8:9], 0
	s_delay_alu instid0(VALU_DEP_1)
	s_and_b32 vcc_lo, exec_lo, s12
	s_mov_b32 s12, 0
	s_cbranch_vccz .LBB68_5
; %bb.3:
	v_dual_mov_b32 v0, 0 :: v_dual_mov_b32 v1, 0x3ff00000
	s_mov_b32 s14, 0
	s_and_b32 vcc_lo, exec_lo, s11
	global_store_b64 v0, v[0:1], s[6:7]
	v_mov_b32_e32 v1, v0
	global_store_b64 v0, v[0:1], s[4:5]
	s_cbranch_vccz .LBB68_6
; %bb.4:
	global_load_b64 v[0:1], v0, s[0:1]
	s_mov_b32 s13, -1
	s_and_b32 vcc_lo, exec_lo, s14
	s_cbranch_vccnz .LBB68_7
	s_branch .LBB68_8
.LBB68_5:
	s_mov_b32 s14, -1
.LBB68_6:
	s_mov_b32 s13, 0
                                        ; implicit-def: $vgpr0_vgpr1
	s_and_b32 vcc_lo, exec_lo, s14
	s_cbranch_vccz .LBB68_8
.LBB68_7:
	s_load_b64 s[12:13], s[0:1], 0x0
	v_mov_b32_e32 v12, 0
	s_waitcnt vmcnt(0) lgkmcnt(0)
	v_fma_f64 v[0:1], s[12:13], s[12:13], s[8:9]
	s_delay_alu instid0(VALU_DEP_1) | instskip(SKIP_3) | instid1(VALU_DEP_1)
	v_cmp_gt_f64_e32 vcc_lo, 0x10000000, v[0:1]
	v_cndmask_b32_e64 v2, 0, 1, vcc_lo
	s_and_b32 s8, vcc_lo, exec_lo
	s_cselect_b32 s8, 0xffffff80, 0
	v_lshlrev_b32_e32 v2, 8, v2
	s_delay_alu instid0(VALU_DEP_1) | instskip(NEXT) | instid1(VALU_DEP_1)
	v_ldexp_f64 v[0:1], v[0:1], v2
	v_rsq_f64_e32 v[2:3], v[0:1]
	v_cmp_class_f64_e64 vcc_lo, v[0:1], 0x260
	s_waitcnt_depctr 0xfff
	v_mul_f64 v[4:5], v[0:1], v[2:3]
	v_mul_f64 v[2:3], v[2:3], 0.5
	s_delay_alu instid0(VALU_DEP_1) | instskip(NEXT) | instid1(VALU_DEP_1)
	v_fma_f64 v[6:7], -v[2:3], v[4:5], 0.5
	v_fma_f64 v[4:5], v[4:5], v[6:7], v[4:5]
	v_fma_f64 v[2:3], v[2:3], v[6:7], v[2:3]
	s_delay_alu instid0(VALU_DEP_2) | instskip(NEXT) | instid1(VALU_DEP_1)
	v_fma_f64 v[6:7], -v[4:5], v[4:5], v[0:1]
	v_fma_f64 v[4:5], v[6:7], v[2:3], v[4:5]
	s_delay_alu instid0(VALU_DEP_1) | instskip(NEXT) | instid1(VALU_DEP_1)
	v_fma_f64 v[6:7], -v[4:5], v[4:5], v[0:1]
	v_fma_f64 v[2:3], v[6:7], v[2:3], v[4:5]
	s_delay_alu instid0(VALU_DEP_1) | instskip(NEXT) | instid1(VALU_DEP_1)
	v_ldexp_f64 v[2:3], v[2:3], s8
	v_dual_cndmask_b32 v1, v3, v1 :: v_dual_cndmask_b32 v0, v2, v0
	v_cmp_ge_f64_e64 vcc_lo, s[12:13], 0
	s_delay_alu instid0(VALU_DEP_2) | instskip(NEXT) | instid1(VALU_DEP_1)
	v_xor_b32_e32 v2, 0x80000000, v1
	v_cndmask_b32_e32 v1, v1, v2, vcc_lo
	s_delay_alu instid0(VALU_DEP_1) | instskip(SKIP_2) | instid1(VALU_DEP_1)
	v_add_f64 v[2:3], s[12:13], -v[0:1]
	s_mov_b32 s12, s10
	s_mov_b32 s13, s11
	v_div_scale_f64 v[4:5], null, v[2:3], v[2:3], 1.0
	v_div_scale_f64 v[10:11], vcc_lo, 1.0, v[2:3], 1.0
	s_delay_alu instid0(VALU_DEP_2) | instskip(SKIP_2) | instid1(VALU_DEP_1)
	v_rcp_f64_e32 v[6:7], v[4:5]
	s_waitcnt_depctr 0xfff
	v_fma_f64 v[8:9], -v[4:5], v[6:7], 1.0
	v_fma_f64 v[6:7], v[6:7], v[8:9], v[6:7]
	s_delay_alu instid0(VALU_DEP_1) | instskip(NEXT) | instid1(VALU_DEP_1)
	v_fma_f64 v[8:9], -v[4:5], v[6:7], 1.0
	v_fma_f64 v[6:7], v[6:7], v[8:9], v[6:7]
	s_delay_alu instid0(VALU_DEP_1) | instskip(NEXT) | instid1(VALU_DEP_1)
	v_mul_f64 v[8:9], v[10:11], v[6:7]
	v_fma_f64 v[4:5], -v[4:5], v[8:9], v[10:11]
	s_delay_alu instid0(VALU_DEP_1) | instskip(NEXT) | instid1(VALU_DEP_1)
	v_div_fmas_f64 v[4:5], v[4:5], v[6:7], v[8:9]
	v_div_fixup_f64 v[2:3], v[4:5], v[2:3], 1.0
	global_store_b64 v12, v[2:3], s[6:7]
	global_load_b64 v[2:3], v12, s[0:1]
	s_waitcnt vmcnt(0)
	v_add_f64 v[2:3], v[0:1], -v[2:3]
	s_delay_alu instid0(VALU_DEP_1) | instskip(NEXT) | instid1(VALU_DEP_1)
	v_div_scale_f64 v[4:5], null, v[0:1], v[0:1], v[2:3]
	v_rcp_f64_e32 v[6:7], v[4:5]
	s_waitcnt_depctr 0xfff
	v_fma_f64 v[8:9], -v[4:5], v[6:7], 1.0
	s_delay_alu instid0(VALU_DEP_1) | instskip(NEXT) | instid1(VALU_DEP_1)
	v_fma_f64 v[6:7], v[6:7], v[8:9], v[6:7]
	v_fma_f64 v[8:9], -v[4:5], v[6:7], 1.0
	s_delay_alu instid0(VALU_DEP_1) | instskip(SKIP_1) | instid1(VALU_DEP_1)
	v_fma_f64 v[6:7], v[6:7], v[8:9], v[6:7]
	v_div_scale_f64 v[8:9], vcc_lo, v[2:3], v[0:1], v[2:3]
	v_mul_f64 v[10:11], v[8:9], v[6:7]
	s_delay_alu instid0(VALU_DEP_1) | instskip(NEXT) | instid1(VALU_DEP_1)
	v_fma_f64 v[4:5], -v[4:5], v[10:11], v[8:9]
	v_div_fmas_f64 v[4:5], v[4:5], v[6:7], v[10:11]
	s_delay_alu instid0(VALU_DEP_1)
	v_div_fixup_f64 v[2:3], v[4:5], v[0:1], v[2:3]
	global_store_b64 v12, v[2:3], s[4:5]
.LBB68_8:
	s_and_not1_b32 vcc_lo, exec_lo, s13
	s_cbranch_vccz .LBB68_11
; %bb.9:
	s_and_not1_b32 vcc_lo, exec_lo, s12
	s_cbranch_vccz .LBB68_12
; %bb.10:
	s_endpgm
.LBB68_11:
	v_dual_mov_b32 v2, s2 :: v_dual_mov_b32 v3, s3
	s_waitcnt vmcnt(0)
	flat_store_b64 v[2:3], v[0:1]
	v_mov_b32_e32 v0, 0
	v_mov_b32_e32 v1, 0x3ff00000
.LBB68_12:
	v_mov_b32_e32 v2, 0
	s_waitcnt vmcnt(0) lgkmcnt(0)
	global_store_b64 v2, v[0:1], s[0:1]
	s_endpgm
	.section	.rodata,"a",@progbits
	.p2align	6, 0x0
	.amdhsa_kernel _ZN9rocsolver6v33100L11set_taubetaIdidPdEEvPT_lS4_T2_llPT1_ll
		.amdhsa_group_segment_fixed_size 0
		.amdhsa_private_segment_fixed_size 0
		.amdhsa_kernarg_size 72
		.amdhsa_user_sgpr_count 15
		.amdhsa_user_sgpr_dispatch_ptr 0
		.amdhsa_user_sgpr_queue_ptr 0
		.amdhsa_user_sgpr_kernarg_segment_ptr 1
		.amdhsa_user_sgpr_dispatch_id 0
		.amdhsa_user_sgpr_private_segment_size 0
		.amdhsa_wavefront_size32 1
		.amdhsa_uses_dynamic_stack 0
		.amdhsa_enable_private_segment 0
		.amdhsa_system_sgpr_workgroup_id_x 1
		.amdhsa_system_sgpr_workgroup_id_y 0
		.amdhsa_system_sgpr_workgroup_id_z 0
		.amdhsa_system_sgpr_workgroup_info 0
		.amdhsa_system_vgpr_workitem_id 0
		.amdhsa_next_free_vgpr 13
		.amdhsa_next_free_sgpr 22
		.amdhsa_reserve_vcc 1
		.amdhsa_float_round_mode_32 0
		.amdhsa_float_round_mode_16_64 0
		.amdhsa_float_denorm_mode_32 3
		.amdhsa_float_denorm_mode_16_64 3
		.amdhsa_dx10_clamp 1
		.amdhsa_ieee_mode 1
		.amdhsa_fp16_overflow 0
		.amdhsa_workgroup_processor_mode 1
		.amdhsa_memory_ordered 1
		.amdhsa_forward_progress 0
		.amdhsa_shared_vgpr_count 0
		.amdhsa_exception_fp_ieee_invalid_op 0
		.amdhsa_exception_fp_denorm_src 0
		.amdhsa_exception_fp_ieee_div_zero 0
		.amdhsa_exception_fp_ieee_overflow 0
		.amdhsa_exception_fp_ieee_underflow 0
		.amdhsa_exception_fp_ieee_inexact 0
		.amdhsa_exception_int_div_zero 0
	.end_amdhsa_kernel
	.section	.text._ZN9rocsolver6v33100L11set_taubetaIdidPdEEvPT_lS4_T2_llPT1_ll,"axG",@progbits,_ZN9rocsolver6v33100L11set_taubetaIdidPdEEvPT_lS4_T2_llPT1_ll,comdat
.Lfunc_end68:
	.size	_ZN9rocsolver6v33100L11set_taubetaIdidPdEEvPT_lS4_T2_llPT1_ll, .Lfunc_end68-_ZN9rocsolver6v33100L11set_taubetaIdidPdEEvPT_lS4_T2_llPT1_ll
                                        ; -- End function
	.section	.AMDGPU.csdata,"",@progbits
; Kernel info:
; codeLenInByte = 904
; NumSgprs: 24
; NumVgprs: 13
; ScratchSize: 0
; MemoryBound: 0
; FloatMode: 240
; IeeeMode: 1
; LDSByteSize: 0 bytes/workgroup (compile time only)
; SGPRBlocks: 2
; VGPRBlocks: 1
; NumSGPRsForWavesPerEU: 24
; NumVGPRsForWavesPerEU: 13
; Occupancy: 16
; WaveLimiterHint : 0
; COMPUTE_PGM_RSRC2:SCRATCH_EN: 0
; COMPUTE_PGM_RSRC2:USER_SGPR: 15
; COMPUTE_PGM_RSRC2:TRAP_HANDLER: 0
; COMPUTE_PGM_RSRC2:TGID_X_EN: 1
; COMPUTE_PGM_RSRC2:TGID_Y_EN: 0
; COMPUTE_PGM_RSRC2:TGID_Z_EN: 0
; COMPUTE_PGM_RSRC2:TIDIG_COMP_CNT: 0
	.section	.text._ZN9rocsolver6v33100L20latrd_dot_scale_axpyILi64EdiPdEEvT1_T2_llPT0_llS6_l,"axG",@progbits,_ZN9rocsolver6v33100L20latrd_dot_scale_axpyILi64EdiPdEEvT1_T2_llPT0_llS6_l,comdat
	.globl	_ZN9rocsolver6v33100L20latrd_dot_scale_axpyILi64EdiPdEEvT1_T2_llPT0_llS6_l ; -- Begin function _ZN9rocsolver6v33100L20latrd_dot_scale_axpyILi64EdiPdEEvT1_T2_llPT0_llS6_l
	.p2align	8
	.type	_ZN9rocsolver6v33100L20latrd_dot_scale_axpyILi64EdiPdEEvT1_T2_llPT0_llS6_l,@function
_ZN9rocsolver6v33100L20latrd_dot_scale_axpyILi64EdiPdEEvT1_T2_llPT0_llS6_l: ; @_ZN9rocsolver6v33100L20latrd_dot_scale_axpyILi64EdiPdEEvT1_T2_llPT0_llS6_l
; %bb.0:
	s_clause 0x1
	s_load_b32 s6, s[0:1], 0x0
	s_load_b512 s[16:31], s[0:1], 0x8
	v_mov_b32_e32 v1, 0
	v_dual_mov_b32 v2, 0 :: v_dual_lshlrev_b32 v11, 3, v0
	s_ashr_i32 s13, s15, 31
	s_waitcnt lgkmcnt(0)
	v_cmp_gt_i32_e32 vcc_lo, s6, v0
	s_mul_i32 s10, s20, s13
	s_mul_hi_u32 s11, s20, s15
	s_mul_i32 s12, s21, s15
	s_mul_i32 s4, s20, s15
	;; [unrolled: 1-line block ×3, first 2 shown]
	s_mul_hi_u32 s9, s26, s15
	s_mul_i32 s8, s27, s15
	s_mul_i32 s2, s26, s15
	s_and_saveexec_b32 s14, vcc_lo
	s_cbranch_execz .LBB69_6
; %bb.1:
	s_add_i32 s0, s11, s10
	v_dual_mov_b32 v1, 0 :: v_dual_lshlrev_b32 v12, 3, v0
	s_add_i32 s5, s0, s12
	s_lshl_b64 s[0:1], s[18:19], 3
	s_lshl_b64 s[20:21], s[4:5], 3
	v_dual_mov_b32 v2, 0 :: v_dual_mov_b32 v13, v0
	s_add_u32 s0, s20, s0
	s_addc_u32 s1, s21, s1
	s_add_u32 s5, s16, s0
	s_addc_u32 s26, s17, s1
	s_add_i32 s0, s9, s7
	s_delay_alu instid0(SALU_CYCLE_1)
	s_add_i32 s3, s0, s8
	s_lshl_b64 s[0:1], s[24:25], 3
	s_lshl_b64 s[20:21], s[2:3], 3
	v_add_co_u32 v3, s3, s5, v12
	s_add_u32 s0, s20, s0
	s_addc_u32 s1, s21, s1
	s_add_u32 s0, s22, s0
	s_addc_u32 s1, s23, s1
	v_add_co_u32 v5, s0, s0, v12
	v_add_co_ci_u32_e64 v4, null, s26, 0, s3
	v_add_co_ci_u32_e64 v6, null, s1, 0, s0
	s_mov_b32 s3, 0
	s_set_inst_prefetch_distance 0x1
	s_branch .LBB69_3
	.p2align	6
.LBB69_2:                               ;   in Loop: Header=BB69_3 Depth=1
	s_or_b32 exec_lo, exec_lo, s1
	s_waitcnt vmcnt(0)
	v_mul_f64 v[7:8], v[7:8], v[9:10]
	v_add_nc_u32_e32 v13, 64, v13
	v_add_co_u32 v3, s0, 0x200, v3
	s_delay_alu instid0(VALU_DEP_1) | instskip(NEXT) | instid1(VALU_DEP_3)
	v_add_co_ci_u32_e64 v4, s0, 0, v4, s0
	v_cmp_le_i32_e64 s0, s6, v13
	v_add_co_u32 v5, s1, 0x200, v5
	s_delay_alu instid0(VALU_DEP_1) | instskip(SKIP_1) | instid1(VALU_DEP_4)
	v_add_co_ci_u32_e64 v6, s1, 0, v6, s1
	v_add_nc_u32_e32 v12, 0x200, v12
	s_or_b32 s3, s0, s3
	v_add_f64 v[1:2], v[1:2], v[7:8]
	s_and_not1_b32 exec_lo, exec_lo, s3
	s_cbranch_execz .LBB69_5
.LBB69_3:                               ; =>This Inner Loop Header: Depth=1
	global_load_b64 v[7:8], v[3:4], off
	global_load_b64 v[9:10], v[5:6], off
	s_mov_b32 s1, exec_lo
	v_cmpx_gt_u32_e32 64, v13
	s_cbranch_execz .LBB69_2
; %bb.4:                                ;   in Loop: Header=BB69_3 Depth=1
	s_waitcnt vmcnt(0)
	ds_store_2addr_stride64_b64 v12, v[7:8], v[9:10] offset1:1
	s_branch .LBB69_2
.LBB69_5:
	s_set_inst_prefetch_distance 0x2
	s_or_b32 exec_lo, exec_lo, s3
.LBB69_6:
	s_delay_alu instid0(SALU_CYCLE_1) | instskip(SKIP_2) | instid1(VALU_DEP_1)
	s_or_b32 exec_lo, exec_lo, s14
	v_mbcnt_lo_u32_b32 v5, -1, 0
	s_mov_b32 s1, exec_lo
	v_cmp_ne_u32_e64 s0, 31, v5
	s_delay_alu instid0(VALU_DEP_1) | instskip(SKIP_1) | instid1(VALU_DEP_2)
	v_add_co_ci_u32_e64 v3, s0, 0, v5, s0
	v_cmp_gt_u32_e64 s0, 30, v5
	v_lshlrev_b32_e32 v4, 2, v3
	ds_bpermute_b32 v3, v4, v1
	ds_bpermute_b32 v4, v4, v2
	s_waitcnt lgkmcnt(0)
	v_add_f64 v[1:2], v[1:2], v[3:4]
	v_cndmask_b32_e64 v3, 0, 1, s0
	v_cmp_gt_u32_e64 s0, 28, v5
	s_delay_alu instid0(VALU_DEP_2) | instskip(NEXT) | instid1(VALU_DEP_1)
	v_lshlrev_b32_e32 v3, 1, v3
	v_add_lshl_u32 v4, v3, v5, 2
	ds_bpermute_b32 v3, v4, v1
	ds_bpermute_b32 v4, v4, v2
	s_waitcnt lgkmcnt(0)
	v_add_f64 v[1:2], v[1:2], v[3:4]
	v_cndmask_b32_e64 v3, 0, 1, s0
	v_cmp_gt_u32_e64 s0, 24, v5
	s_delay_alu instid0(VALU_DEP_2) | instskip(NEXT) | instid1(VALU_DEP_1)
	v_lshlrev_b32_e32 v3, 2, v3
	v_add_lshl_u32 v4, v3, v5, 2
	;; [unrolled: 9-line block ×3, first 2 shown]
	ds_bpermute_b32 v3, v4, v1
	ds_bpermute_b32 v4, v4, v2
	s_waitcnt lgkmcnt(0)
	v_add_f64 v[1:2], v[1:2], v[3:4]
	v_cndmask_b32_e64 v3, 0, 1, s0
	s_delay_alu instid0(VALU_DEP_1) | instskip(NEXT) | instid1(VALU_DEP_1)
	v_lshlrev_b32_e32 v3, 4, v3
	v_add_lshl_u32 v4, v3, v5, 2
	ds_bpermute_b32 v3, v4, v1
	ds_bpermute_b32 v4, v4, v2
	s_waitcnt lgkmcnt(0)
	v_add_f64 v[1:2], v[1:2], v[3:4]
	v_and_b32_e32 v3, 31, v0
	s_delay_alu instid0(VALU_DEP_1)
	v_cmpx_eq_u32_e32 0, v3
	s_cbranch_execz .LBB69_8
; %bb.7:
	v_lshrrev_b32_e32 v3, 2, v0
	ds_store_b64 v3, v[1:2] offset:1024
.LBB69_8:
	s_or_b32 exec_lo, exec_lo, s1
	s_delay_alu instid0(SALU_CYCLE_1)
	s_mov_b32 s1, exec_lo
	s_waitcnt lgkmcnt(0)
	s_barrier
	buffer_gl0_inv
	v_cmpx_eq_u32_e32 0, v0
	s_cbranch_execz .LBB69_10
; %bb.9:
	s_mul_i32 s0, s15, s31
	s_mul_hi_u32 s3, s15, s30
	s_mul_i32 s5, s13, s30
	s_add_i32 s0, s3, s0
	s_mul_i32 s20, s15, s30
	s_add_i32 s21, s0, s5
	v_mov_b32_e32 v5, 0
	s_lshl_b64 s[14:15], s[20:21], 3
	s_delay_alu instid0(SALU_CYCLE_1)
	s_add_u32 s14, s28, s14
	s_addc_u32 s15, s29, s15
	ds_load_b64 v[3:4], v5 offset:1032
	s_load_b64 s[14:15], s[14:15], 0x0
	s_waitcnt lgkmcnt(0)
	v_add_f64 v[1:2], v[1:2], v[3:4]
	v_mul_f64 v[3:4], s[14:15], -0.5
	s_delay_alu instid0(VALU_DEP_1)
	v_mul_f64 v[1:2], v[1:2], v[3:4]
	ds_store_b64 v5, v[1:2] offset:1024
.LBB69_10:
	s_or_b32 exec_lo, exec_lo, s1
	s_waitcnt lgkmcnt(0)
	s_barrier
	buffer_gl0_inv
	s_and_saveexec_b32 s0, vcc_lo
	s_cbranch_execz .LBB69_17
; %bb.11:
	s_add_i32 s0, s11, s10
	v_mov_b32_e32 v1, 0
	s_add_i32 s5, s0, s12
	s_lshl_b64 s[0:1], s[18:19], 3
	s_lshl_b64 s[4:5], s[4:5], 3
	ds_load_b64 v[1:2], v1 offset:1024
	s_add_u32 s0, s4, s0
	s_addc_u32 s1, s5, s1
	s_add_u32 s4, s16, s0
	s_addc_u32 s5, s17, s1
	s_add_i32 s0, s9, s7
	v_add_co_u32 v3, s4, s4, v11
	s_add_i32 s3, s0, s8
	s_lshl_b64 s[0:1], s[24:25], 3
	s_lshl_b64 s[2:3], s[2:3], 3
	v_add_co_ci_u32_e64 v4, null, s5, 0, s4
	s_add_u32 s0, s2, s0
	s_addc_u32 s1, s3, s1
	s_add_u32 s0, s22, s0
	s_addc_u32 s1, s23, s1
	v_add_co_u32 v5, s0, s0, v11
	s_delay_alu instid0(VALU_DEP_1)
	v_add_co_ci_u32_e64 v6, null, s1, 0, s0
	s_mov_b32 s1, 0
	s_set_inst_prefetch_distance 0x1
	s_branch .LBB69_13
	.p2align	6
.LBB69_12:                              ;   in Loop: Header=BB69_13 Depth=1
	s_or_b32 exec_lo, exec_lo, s0
	v_add_nc_u32_e32 v0, 64, v0
	v_add_co_u32 v3, vcc_lo, 0x200, v3
	v_add_co_ci_u32_e32 v4, vcc_lo, 0, v4, vcc_lo
	s_delay_alu instid0(VALU_DEP_3) | instskip(SKIP_1) | instid1(VALU_DEP_1)
	v_cmp_le_i32_e32 vcc_lo, s6, v0
	v_add_co_u32 v5, s0, 0x200, v5
	v_add_co_ci_u32_e64 v6, s0, 0, v6, s0
	v_add_nc_u32_e32 v11, 0x200, v11
	s_or_b32 s1, vcc_lo, s1
	s_delay_alu instid0(SALU_CYCLE_1)
	s_and_not1_b32 exec_lo, exec_lo, s1
	s_cbranch_execz .LBB69_17
.LBB69_13:                              ; =>This Inner Loop Header: Depth=1
	s_mov_b32 s0, exec_lo
	v_cmpx_lt_u32_e32 63, v0
	s_xor_b32 s0, exec_lo, s0
	s_cbranch_execz .LBB69_15
; %bb.14:                               ;   in Loop: Header=BB69_13 Depth=1
	global_load_b64 v[7:8], v[5:6], off
	global_load_b64 v[9:10], v[3:4], off
	s_waitcnt vmcnt(0) lgkmcnt(0)
	v_fma_f64 v[7:8], v[1:2], v[9:10], v[7:8]
	global_store_b64 v[5:6], v[7:8], off
.LBB69_15:                              ;   in Loop: Header=BB69_13 Depth=1
	s_and_not1_saveexec_b32 s0, s0
	s_cbranch_execz .LBB69_12
; %bb.16:                               ;   in Loop: Header=BB69_13 Depth=1
	ds_load_2addr_stride64_b64 v[7:10], v11 offset1:1
	s_waitcnt lgkmcnt(0)
	v_fma_f64 v[7:8], v[1:2], v[7:8], v[9:10]
	global_store_b64 v[5:6], v[7:8], off
	s_branch .LBB69_12
.LBB69_17:
	s_set_inst_prefetch_distance 0x2
	s_nop 0
	s_sendmsg sendmsg(MSG_DEALLOC_VGPRS)
	s_endpgm
	.section	.rodata,"a",@progbits
	.p2align	6, 0x0
	.amdhsa_kernel _ZN9rocsolver6v33100L20latrd_dot_scale_axpyILi64EdiPdEEvT1_T2_llPT0_llS6_l
		.amdhsa_group_segment_fixed_size 1040
		.amdhsa_private_segment_fixed_size 0
		.amdhsa_kernarg_size 72
		.amdhsa_user_sgpr_count 14
		.amdhsa_user_sgpr_dispatch_ptr 0
		.amdhsa_user_sgpr_queue_ptr 0
		.amdhsa_user_sgpr_kernarg_segment_ptr 1
		.amdhsa_user_sgpr_dispatch_id 0
		.amdhsa_user_sgpr_private_segment_size 0
		.amdhsa_wavefront_size32 1
		.amdhsa_uses_dynamic_stack 0
		.amdhsa_enable_private_segment 0
		.amdhsa_system_sgpr_workgroup_id_x 1
		.amdhsa_system_sgpr_workgroup_id_y 0
		.amdhsa_system_sgpr_workgroup_id_z 1
		.amdhsa_system_sgpr_workgroup_info 0
		.amdhsa_system_vgpr_workitem_id 0
		.amdhsa_next_free_vgpr 14
		.amdhsa_next_free_sgpr 32
		.amdhsa_reserve_vcc 1
		.amdhsa_float_round_mode_32 0
		.amdhsa_float_round_mode_16_64 0
		.amdhsa_float_denorm_mode_32 3
		.amdhsa_float_denorm_mode_16_64 3
		.amdhsa_dx10_clamp 1
		.amdhsa_ieee_mode 1
		.amdhsa_fp16_overflow 0
		.amdhsa_workgroup_processor_mode 1
		.amdhsa_memory_ordered 1
		.amdhsa_forward_progress 0
		.amdhsa_shared_vgpr_count 0
		.amdhsa_exception_fp_ieee_invalid_op 0
		.amdhsa_exception_fp_denorm_src 0
		.amdhsa_exception_fp_ieee_div_zero 0
		.amdhsa_exception_fp_ieee_overflow 0
		.amdhsa_exception_fp_ieee_underflow 0
		.amdhsa_exception_fp_ieee_inexact 0
		.amdhsa_exception_int_div_zero 0
	.end_amdhsa_kernel
	.section	.text._ZN9rocsolver6v33100L20latrd_dot_scale_axpyILi64EdiPdEEvT1_T2_llPT0_llS6_l,"axG",@progbits,_ZN9rocsolver6v33100L20latrd_dot_scale_axpyILi64EdiPdEEvT1_T2_llPT0_llS6_l,comdat
.Lfunc_end69:
	.size	_ZN9rocsolver6v33100L20latrd_dot_scale_axpyILi64EdiPdEEvT1_T2_llPT0_llS6_l, .Lfunc_end69-_ZN9rocsolver6v33100L20latrd_dot_scale_axpyILi64EdiPdEEvT1_T2_llPT0_llS6_l
                                        ; -- End function
	.section	.AMDGPU.csdata,"",@progbits
; Kernel info:
; codeLenInByte = 1180
; NumSgprs: 34
; NumVgprs: 14
; ScratchSize: 0
; MemoryBound: 1
; FloatMode: 240
; IeeeMode: 1
; LDSByteSize: 1040 bytes/workgroup (compile time only)
; SGPRBlocks: 4
; VGPRBlocks: 1
; NumSGPRsForWavesPerEU: 34
; NumVGPRsForWavesPerEU: 14
; Occupancy: 16
; WaveLimiterHint : 0
; COMPUTE_PGM_RSRC2:SCRATCH_EN: 0
; COMPUTE_PGM_RSRC2:USER_SGPR: 14
; COMPUTE_PGM_RSRC2:TRAP_HANDLER: 0
; COMPUTE_PGM_RSRC2:TGID_X_EN: 1
; COMPUTE_PGM_RSRC2:TGID_Y_EN: 0
; COMPUTE_PGM_RSRC2:TGID_Z_EN: 1
; COMPUTE_PGM_RSRC2:TIDIG_COMP_CNT: 0
	.section	.text._ZN9rocsolver6v33100L7set_tauIdEEviPT_S3_l,"axG",@progbits,_ZN9rocsolver6v33100L7set_tauIdEEviPT_S3_l,comdat
	.globl	_ZN9rocsolver6v33100L7set_tauIdEEviPT_S3_l ; -- Begin function _ZN9rocsolver6v33100L7set_tauIdEEviPT_S3_l
	.p2align	8
	.type	_ZN9rocsolver6v33100L7set_tauIdEEviPT_S3_l,@function
_ZN9rocsolver6v33100L7set_tauIdEEviPT_S3_l: ; @_ZN9rocsolver6v33100L7set_tauIdEEviPT_S3_l
; %bb.0:
	s_clause 0x1
	s_load_b32 s2, s[0:1], 0x2c
	s_load_b32 s3, s[0:1], 0x0
	s_waitcnt lgkmcnt(0)
	s_and_b32 s2, s2, 0xffff
	s_delay_alu instid0(SALU_CYCLE_1) | instskip(SKIP_1) | instid1(VALU_DEP_1)
	v_mad_u64_u32 v[1:2], null, s15, s2, v[0:1]
	s_mov_b32 s2, exec_lo
	v_cmpx_gt_i32_e64 s3, v1
	s_cbranch_execz .LBB70_2
; %bb.1:
	s_load_b128 s[4:7], s[0:1], 0x8
	v_ashrrev_i32_e32 v2, 31, v1
	s_load_b64 s[0:1], s[0:1], 0x18
	s_delay_alu instid0(VALU_DEP_1) | instskip(SKIP_1) | instid1(VALU_DEP_1)
	v_lshlrev_b64 v[3:4], 3, v[1:2]
	s_waitcnt lgkmcnt(0)
	v_add_co_u32 v3, vcc_lo, s4, v3
	s_delay_alu instid0(VALU_DEP_2)
	v_add_co_ci_u32_e32 v4, vcc_lo, s5, v4, vcc_lo
	v_mul_lo_u32 v0, v1, s1
	v_mul_lo_u32 v2, v2, s0
	v_mad_u64_u32 v[5:6], null, v1, s0, 0
	global_load_b64 v[3:4], v[3:4], off
	v_add3_u32 v6, v6, v0, v2
	s_delay_alu instid0(VALU_DEP_1) | instskip(NEXT) | instid1(VALU_DEP_1)
	v_lshlrev_b64 v[0:1], 3, v[5:6]
	v_add_co_u32 v0, vcc_lo, s6, v0
	s_delay_alu instid0(VALU_DEP_2)
	v_add_co_ci_u32_e32 v1, vcc_lo, s7, v1, vcc_lo
	s_waitcnt vmcnt(0)
	global_store_b64 v[0:1], v[3:4], off
.LBB70_2:
	s_nop 0
	s_sendmsg sendmsg(MSG_DEALLOC_VGPRS)
	s_endpgm
	.section	.rodata,"a",@progbits
	.p2align	6, 0x0
	.amdhsa_kernel _ZN9rocsolver6v33100L7set_tauIdEEviPT_S3_l
		.amdhsa_group_segment_fixed_size 0
		.amdhsa_private_segment_fixed_size 0
		.amdhsa_kernarg_size 288
		.amdhsa_user_sgpr_count 15
		.amdhsa_user_sgpr_dispatch_ptr 0
		.amdhsa_user_sgpr_queue_ptr 0
		.amdhsa_user_sgpr_kernarg_segment_ptr 1
		.amdhsa_user_sgpr_dispatch_id 0
		.amdhsa_user_sgpr_private_segment_size 0
		.amdhsa_wavefront_size32 1
		.amdhsa_uses_dynamic_stack 0
		.amdhsa_enable_private_segment 0
		.amdhsa_system_sgpr_workgroup_id_x 1
		.amdhsa_system_sgpr_workgroup_id_y 0
		.amdhsa_system_sgpr_workgroup_id_z 0
		.amdhsa_system_sgpr_workgroup_info 0
		.amdhsa_system_vgpr_workitem_id 0
		.amdhsa_next_free_vgpr 7
		.amdhsa_next_free_sgpr 16
		.amdhsa_reserve_vcc 1
		.amdhsa_float_round_mode_32 0
		.amdhsa_float_round_mode_16_64 0
		.amdhsa_float_denorm_mode_32 3
		.amdhsa_float_denorm_mode_16_64 3
		.amdhsa_dx10_clamp 1
		.amdhsa_ieee_mode 1
		.amdhsa_fp16_overflow 0
		.amdhsa_workgroup_processor_mode 1
		.amdhsa_memory_ordered 1
		.amdhsa_forward_progress 0
		.amdhsa_shared_vgpr_count 0
		.amdhsa_exception_fp_ieee_invalid_op 0
		.amdhsa_exception_fp_denorm_src 0
		.amdhsa_exception_fp_ieee_div_zero 0
		.amdhsa_exception_fp_ieee_overflow 0
		.amdhsa_exception_fp_ieee_underflow 0
		.amdhsa_exception_fp_ieee_inexact 0
		.amdhsa_exception_int_div_zero 0
	.end_amdhsa_kernel
	.section	.text._ZN9rocsolver6v33100L7set_tauIdEEviPT_S3_l,"axG",@progbits,_ZN9rocsolver6v33100L7set_tauIdEEviPT_S3_l,comdat
.Lfunc_end70:
	.size	_ZN9rocsolver6v33100L7set_tauIdEEviPT_S3_l, .Lfunc_end70-_ZN9rocsolver6v33100L7set_tauIdEEviPT_S3_l
                                        ; -- End function
	.section	.AMDGPU.csdata,"",@progbits
; Kernel info:
; codeLenInByte = 204
; NumSgprs: 18
; NumVgprs: 7
; ScratchSize: 0
; MemoryBound: 0
; FloatMode: 240
; IeeeMode: 1
; LDSByteSize: 0 bytes/workgroup (compile time only)
; SGPRBlocks: 2
; VGPRBlocks: 0
; NumSGPRsForWavesPerEU: 18
; NumVGPRsForWavesPerEU: 7
; Occupancy: 16
; WaveLimiterHint : 0
; COMPUTE_PGM_RSRC2:SCRATCH_EN: 0
; COMPUTE_PGM_RSRC2:USER_SGPR: 15
; COMPUTE_PGM_RSRC2:TRAP_HANDLER: 0
; COMPUTE_PGM_RSRC2:TGID_X_EN: 1
; COMPUTE_PGM_RSRC2:TGID_Y_EN: 0
; COMPUTE_PGM_RSRC2:TGID_Z_EN: 0
; COMPUTE_PGM_RSRC2:TIDIG_COMP_CNT: 0
	.section	.text._ZN9rocsolver6v33100L24sytd2_upper_kernel_smallILi256EdidPdEEvT1_T3_lS3_lPT2_lS6_lPT0_l,"axG",@progbits,_ZN9rocsolver6v33100L24sytd2_upper_kernel_smallILi256EdidPdEEvT1_T3_lS3_lPT2_lS6_lPT0_l,comdat
	.globl	_ZN9rocsolver6v33100L24sytd2_upper_kernel_smallILi256EdidPdEEvT1_T3_lS3_lPT2_lS6_lPT0_l ; -- Begin function _ZN9rocsolver6v33100L24sytd2_upper_kernel_smallILi256EdidPdEEvT1_T3_lS3_lPT2_lS6_lPT0_l
	.p2align	8
	.type	_ZN9rocsolver6v33100L24sytd2_upper_kernel_smallILi256EdidPdEEvT1_T3_lS3_lPT2_lS6_lPT0_l,@function
_ZN9rocsolver6v33100L24sytd2_upper_kernel_smallILi256EdidPdEEvT1_T3_lS3_lPT2_lS6_lPT0_l: ; @_ZN9rocsolver6v33100L24sytd2_upper_kernel_smallILi256EdidPdEEvT1_T3_lS3_lPT2_lS6_lPT0_l
; %bb.0:
	s_clause 0x3
	s_load_b64 s[2:3], s[0:1], 0x20
	s_load_b32 s14, s[0:1], 0x0
	s_load_b128 s[4:7], s[0:1], 0x8
	s_load_b32 s18, s[0:1], 0x18
	s_ashr_i32 s12, s15, 31
	v_and_b32_e32 v1, 0x7f, v0
	v_lshrrev_b32_e32 v11, 7, v0
	s_delay_alu instid0(VALU_DEP_2)
	v_lshlrev_b32_e32 v12, 3, v1
	s_waitcnt lgkmcnt(0)
	s_mul_i32 s3, s15, s3
	s_mul_hi_u32 s8, s15, s2
	s_mul_i32 s9, s12, s2
	s_add_i32 s3, s8, s3
	s_mul_i32 s2, s15, s2
	s_add_i32 s3, s3, s9
	s_delay_alu instid0(SALU_CYCLE_1) | instskip(SKIP_4) | instid1(SALU_CYCLE_1)
	s_lshl_b64 s[8:9], s[2:3], 3
	v_cmp_gt_i32_e64 s2, s14, v1
	s_add_u32 s3, s4, s8
	s_addc_u32 s8, s5, s9
	s_lshl_b64 s[4:5], s[6:7], 3
	s_add_u32 s16, s3, s4
	s_addc_u32 s17, s8, s5
	s_and_saveexec_b32 s4, s2
	s_cbranch_execz .LBB71_6
; %bb.1:
	v_lshrrev_b32_e32 v5, 7, v0
	v_mov_b32_e32 v7, v1
	s_mov_b32 s5, 0
	s_lshl_b32 s6, s14, 4
	s_lshl_b32 s7, s18, 1
	v_mul_lo_u32 v2, s14, v5
	v_cmp_gt_u32_e32 vcc_lo, s14, v5
	s_delay_alu instid0(VALU_DEP_2) | instskip(SKIP_1) | instid1(VALU_DEP_2)
	v_lshl_add_u32 v4, v2, 3, v12
	v_mad_u64_u32 v[2:3], null, s18, v5, v[1:2]
	v_add3_u32 v6, v4, 0, 8
	s_set_inst_prefetch_distance 0x1
	s_branch .LBB71_3
	.p2align	6
.LBB71_2:                               ;   in Loop: Header=BB71_3 Depth=1
	s_or_b32 exec_lo, exec_lo, s8
	v_add_nc_u32_e32 v7, 0x80, v7
	v_add_nc_u32_e32 v6, 0x400, v6
	;; [unrolled: 1-line block ×3, first 2 shown]
	s_delay_alu instid0(VALU_DEP_3) | instskip(NEXT) | instid1(VALU_DEP_1)
	v_cmp_le_i32_e64 s3, s14, v7
	s_or_b32 s5, s3, s5
	s_delay_alu instid0(SALU_CYCLE_1)
	s_and_not1_b32 exec_lo, exec_lo, s5
	s_cbranch_execz .LBB71_6
.LBB71_3:                               ; =>This Loop Header: Depth=1
                                        ;     Child Loop BB71_5 Depth 2
	s_and_saveexec_b32 s8, vcc_lo
	s_cbranch_execz .LBB71_2
; %bb.4:                                ;   in Loop: Header=BB71_3 Depth=1
	s_delay_alu instid0(VALU_DEP_2)
	v_mov_b32_e32 v3, v2
	v_dual_mov_b32 v8, v6 :: v_dual_mov_b32 v9, v5
	s_mov_b32 s9, 0
	.p2align	6
.LBB71_5:                               ;   Parent Loop BB71_3 Depth=1
                                        ; =>  This Inner Loop Header: Depth=2
	s_delay_alu instid0(VALU_DEP_2) | instskip(NEXT) | instid1(VALU_DEP_2)
	v_ashrrev_i32_e32 v4, 31, v3
	v_add_nc_u32_e32 v9, 2, v9
	s_delay_alu instid0(VALU_DEP_2) | instskip(SKIP_1) | instid1(VALU_DEP_2)
	v_lshlrev_b64 v[13:14], 3, v[3:4]
	v_add_nc_u32_e32 v3, s7, v3
	v_add_co_u32 v13, s3, s16, v13
	s_delay_alu instid0(VALU_DEP_1)
	v_add_co_ci_u32_e64 v14, s3, s17, v14, s3
	v_cmp_le_i32_e64 s3, s14, v9
	global_load_b64 v[13:14], v[13:14], off
	s_or_b32 s9, s3, s9
	s_waitcnt vmcnt(0)
	ds_store_b64 v8, v[13:14]
	v_add_nc_u32_e32 v8, s6, v8
	s_and_not1_b32 exec_lo, exec_lo, s9
	s_cbranch_execnz .LBB71_5
	s_branch .LBB71_2
.LBB71_6:
	s_set_inst_prefetch_distance 0x2
	s_or_b32 exec_lo, exec_lo, s4
	s_waitcnt lgkmcnt(0)
	s_barrier
	buffer_gl0_inv
	s_and_saveexec_b32 s4, s2
	s_cbranch_execz .LBB71_14
; %bb.7:
	v_lshrrev_b32_e32 v2, 7, v0
	v_mul_lo_u32 v3, s14, v1
	s_mov_b32 s5, 0
	s_lshl_b32 s6, s14, 10
	s_lshl_b32 s7, s14, 4
	v_mul_lo_u32 v4, s14, v2
	v_lshlrev_b32_e32 v5, 3, v2
	v_cmp_gt_u32_e32 vcc_lo, s14, v2
	s_delay_alu instid0(VALU_DEP_2) | instskip(SKIP_2) | instid1(VALU_DEP_3)
	v_lshl_add_u32 v3, v3, 3, v5
	v_mov_b32_e32 v5, v1
	v_lshl_add_u32 v4, v4, 3, v12
	v_add3_u32 v3, v3, 0, 8
	s_delay_alu instid0(VALU_DEP_2)
	v_add3_u32 v4, v4, 0, 8
	s_set_inst_prefetch_distance 0x1
	s_branch .LBB71_9
	.p2align	6
.LBB71_8:                               ;   in Loop: Header=BB71_9 Depth=1
	s_or_b32 exec_lo, exec_lo, s8
	v_add_nc_u32_e32 v5, 0x80, v5
	v_add_nc_u32_e32 v3, s6, v3
	;; [unrolled: 1-line block ×3, first 2 shown]
	s_delay_alu instid0(VALU_DEP_3) | instskip(NEXT) | instid1(VALU_DEP_1)
	v_cmp_le_i32_e64 s3, s14, v5
	s_or_b32 s5, s3, s5
	s_delay_alu instid0(SALU_CYCLE_1)
	s_and_not1_b32 exec_lo, exec_lo, s5
	s_cbranch_execz .LBB71_14
.LBB71_9:                               ; =>This Loop Header: Depth=1
                                        ;     Child Loop BB71_12 Depth 2
	s_and_saveexec_b32 s8, vcc_lo
	s_cbranch_execz .LBB71_8
; %bb.10:                               ;   in Loop: Header=BB71_9 Depth=1
	v_dual_mov_b32 v6, v4 :: v_dual_mov_b32 v7, v3
	v_mov_b32_e32 v8, v2
	s_mov_b32 s9, 0
	s_branch .LBB71_12
	.p2align	6
.LBB71_11:                              ;   in Loop: Header=BB71_12 Depth=2
	s_or_b32 exec_lo, exec_lo, s10
	v_add_nc_u32_e32 v8, 2, v8
	v_add_nc_u32_e32 v7, 16, v7
	;; [unrolled: 1-line block ×3, first 2 shown]
	s_delay_alu instid0(VALU_DEP_3) | instskip(NEXT) | instid1(VALU_DEP_1)
	v_cmp_le_i32_e64 s3, s14, v8
	s_or_b32 s9, s3, s9
	s_delay_alu instid0(SALU_CYCLE_1)
	s_and_not1_b32 exec_lo, exec_lo, s9
	s_cbranch_execz .LBB71_8
.LBB71_12:                              ;   Parent Loop BB71_9 Depth=1
                                        ; =>  This Inner Loop Header: Depth=2
	s_mov_b32 s10, exec_lo
	s_delay_alu instid0(VALU_DEP_1)
	v_cmpx_gt_u32_e64 v5, v8
	s_cbranch_execz .LBB71_11
; %bb.13:                               ;   in Loop: Header=BB71_12 Depth=2
	ds_load_b64 v[9:10], v7
	s_waitcnt lgkmcnt(0)
	ds_store_b64 v6, v[9:10]
	s_branch .LBB71_11
.LBB71_14:
	s_set_inst_prefetch_distance 0x2
	s_or_b32 exec_lo, exec_lo, s4
	s_cmp_lt_i32 s14, 2
	s_waitcnt lgkmcnt(0)
	s_barrier
	buffer_gl0_inv
	s_cbranch_scc1 .LBB71_65
; %bb.15:
	s_load_b256 s[4:11], s[0:1], 0x38
	v_mbcnt_lo_u32_b32 v2, -1, 0
	s_mul_i32 s3, s14, s14
	s_mov_b32 s29, s14
	s_delay_alu instid0(VALU_DEP_1) | instskip(SKIP_2) | instid1(VALU_DEP_2)
	v_cmp_ne_u32_e32 vcc_lo, 31, v2
	v_add_co_ci_u32_e32 v3, vcc_lo, 0, v2, vcc_lo
	v_cmp_gt_u32_e32 vcc_lo, 30, v2
	v_lshlrev_b32_e32 v13, 2, v3
	v_cndmask_b32_e64 v4, 0, 1, vcc_lo
	v_cmp_gt_u32_e32 vcc_lo, 28, v2
	s_waitcnt lgkmcnt(0)
	s_mul_i32 s1, s15, s7
	s_mul_hi_u32 s7, s15, s6
	s_mul_i32 s13, s12, s6
	s_add_i32 s1, s7, s1
	s_mul_i32 s0, s15, s6
	s_add_i32 s1, s1, s13
	s_mul_i32 s6, s15, s11
	s_lshl_b64 s[0:1], s[0:1], 3
	s_mul_hi_u32 s7, s15, s10
	s_add_u32 s19, s4, s0
	s_mul_i32 s11, s12, s10
	s_addc_u32 s20, s5, s1
	s_add_i32 s1, s7, s6
	v_cndmask_b32_e64 v5, 0, 1, vcc_lo
	v_cmp_gt_u32_e32 vcc_lo, 24, v2
	s_mul_i32 s0, s15, s10
	s_add_i32 s1, s1, s11
	v_lshlrev_b32_e32 v3, 1, v4
	s_lshl_b64 s[0:1], s[0:1], 3
	v_cndmask_b32_e64 v6, 0, 1, vcc_lo
	v_cmp_gt_u32_e32 vcc_lo, 16, v2
	s_add_u32 s15, s8, s0
	s_addc_u32 s21, s9, s1
	s_lshl_b32 s0, s3, 3
	s_lshl_b32 s22, s14, 3
	s_add_i32 s0, s0, 0
	v_cndmask_b32_e64 v7, 0, 1, vcc_lo
	s_add_i32 s27, s0, s22
	s_add_i32 s23, s0, 8
	;; [unrolled: 1-line block ×3, first 2 shown]
	v_lshlrev_b32_e32 v4, 2, v5
	v_add_lshl_u32 v14, v3, v2, 2
	s_cmp_eq_u64 s[4:5], 0
	v_lshlrev_b32_e32 v3, 3, v0
	v_lshlrev_b32_e32 v5, 3, v6
	;; [unrolled: 1-line block ×3, first 2 shown]
	s_cselect_b32 s25, -1, 0
	s_cmp_lg_u64 s[4:5], 0
	v_add_lshl_u32 v15, v4, v2, 2
	s_cselect_b32 s26, -1, 0
	s_add_i32 s3, s14, -1
	v_add_nc_u32_e32 v4, 8, v3
	s_mul_i32 s3, s14, s3
	v_and_b32_e32 v7, 31, v0
	v_add_lshl_u32 v16, v5, v2, 2
	v_add_lshl_u32 v17, v6, v2, 2
	v_lshrrev_b32_e32 v2, 2, v0
	s_lshl_b32 s3, s3, 3
	s_add_i32 s4, s22, 8
	v_add3_u32 v19, 0, s3, v4
	s_mul_i32 s3, s14, s4
	v_cmp_eq_u32_e64 s0, 0, v7
	v_cmp_eq_u32_e64 s1, 0, v0
	v_add_nc_u32_e32 v18, s23, v3
	v_add_nc_u32_e32 v20, 0, v4
	v_add3_u32 v21, 0, s3, v4
	v_add_nc_u32_e32 v22, s24, v2
	v_mov_b32_e32 v2, 0
	s_add_i32 s27, s27, 8
	s_sub_i32 s28, 0, s22
	s_branch .LBB71_17
.LBB71_16:                              ;   in Loop: Header=BB71_17 Depth=1
	s_set_inst_prefetch_distance 0x2
	s_or_b32 exec_lo, exec_lo, s4
	v_add_nc_u32_e32 v19, s28, v19
	s_cmp_lt_i32 s29, 3
	s_mov_b32 s29, s30
	s_waitcnt lgkmcnt(0)
	s_barrier
	buffer_gl0_inv
	s_cbranch_scc1 .LBB71_65
.LBB71_17:                              ; =>This Loop Header: Depth=1
                                        ;     Child Loop BB71_19 Depth 2
                                        ;     Child Loop BB71_22 Depth 2
	;; [unrolled: 1-line block ×4, first 2 shown]
                                        ;       Child Loop BB71_45 Depth 3
                                        ;     Child Loop BB71_48 Depth 2
                                        ;     Child Loop BB71_51 Depth 2
	;; [unrolled: 1-line block ×4, first 2 shown]
                                        ;       Child Loop BB71_63 Depth 3
	s_add_i32 s30, s29, -1
	s_delay_alu instid0(SALU_CYCLE_1) | instskip(NEXT) | instid1(VALU_DEP_1)
	v_cmp_gt_i32_e64 s3, s30, v0
	s_and_saveexec_b32 s4, s3
	s_cbranch_execz .LBB71_20
; %bb.18:                               ;   in Loop: Header=BB71_17 Depth=1
	v_dual_mov_b32 v3, v19 :: v_dual_mov_b32 v4, v18
	v_mov_b32_e32 v5, v0
	s_mov_b32 s5, 0
.LBB71_19:                              ;   Parent Loop BB71_17 Depth=1
                                        ; =>  This Inner Loop Header: Depth=2
	ds_load_b64 v[6:7], v3
	v_add_nc_u32_e32 v5, 0x100, v5
	v_add_nc_u32_e32 v3, 0x800, v3
	s_delay_alu instid0(VALU_DEP_2)
	v_cmp_le_i32_e32 vcc_lo, s30, v5
	s_or_b32 s5, vcc_lo, s5
	s_waitcnt lgkmcnt(0)
	ds_store_b64 v4, v[6:7]
	v_add_nc_u32_e32 v4, 0x800, v4
	s_and_not1_b32 exec_lo, exec_lo, s5
	s_cbranch_execnz .LBB71_19
.LBB71_20:                              ;   in Loop: Header=BB71_17 Depth=1
	s_or_b32 exec_lo, exec_lo, s4
	s_add_i32 s6, s29, -2
	v_mov_b32_e32 v3, 0
	v_mov_b32_e32 v4, 0
	v_cmp_gt_i32_e64 s4, s6, v0
	s_waitcnt lgkmcnt(0)
	s_barrier
	buffer_gl0_inv
	s_and_saveexec_b32 s5, s4
	s_cbranch_execz .LBB71_24
; %bb.21:                               ;   in Loop: Header=BB71_17 Depth=1
	v_dual_mov_b32 v3, 0 :: v_dual_mov_b32 v6, v0
	v_dual_mov_b32 v4, 0 :: v_dual_mov_b32 v5, v18
	s_mov_b32 s7, 0
.LBB71_22:                              ;   Parent Loop BB71_17 Depth=1
                                        ; =>  This Inner Loop Header: Depth=2
	ds_load_b64 v[7:8], v5
	v_add_nc_u32_e32 v6, 0x100, v6
	v_add_nc_u32_e32 v5, 0x800, v5
	s_delay_alu instid0(VALU_DEP_2) | instskip(SKIP_3) | instid1(VALU_DEP_1)
	v_cmp_le_i32_e32 vcc_lo, s6, v6
	s_or_b32 s7, vcc_lo, s7
	s_waitcnt lgkmcnt(0)
	v_mul_f64 v[7:8], v[7:8], v[7:8]
	v_add_f64 v[3:4], v[3:4], v[7:8]
	s_and_not1_b32 exec_lo, exec_lo, s7
	s_cbranch_execnz .LBB71_22
; %bb.23:                               ;   in Loop: Header=BB71_17 Depth=1
	s_or_b32 exec_lo, exec_lo, s7
.LBB71_24:                              ;   in Loop: Header=BB71_17 Depth=1
	s_delay_alu instid0(SALU_CYCLE_1)
	s_or_b32 exec_lo, exec_lo, s5
	ds_bpermute_b32 v5, v13, v3
	ds_bpermute_b32 v6, v13, v4
	s_waitcnt lgkmcnt(0)
	v_add_f64 v[3:4], v[3:4], v[5:6]
	ds_bpermute_b32 v5, v14, v3
	ds_bpermute_b32 v6, v14, v4
	s_waitcnt lgkmcnt(0)
	v_add_f64 v[3:4], v[3:4], v[5:6]
	;; [unrolled: 4-line block ×5, first 2 shown]
	s_and_saveexec_b32 s5, s0
	s_cbranch_execz .LBB71_26
; %bb.25:                               ;   in Loop: Header=BB71_17 Depth=1
	ds_store_b64 v22, v[3:4] offset:8
.LBB71_26:                              ;   in Loop: Header=BB71_17 Depth=1
	s_or_b32 exec_lo, exec_lo, s5
	s_waitcnt lgkmcnt(0)
	s_barrier
	buffer_gl0_inv
	s_and_saveexec_b32 s31, s1
	s_cbranch_execz .LBB71_39
; %bb.27:                               ;   in Loop: Header=BB71_17 Depth=1
	v_mov_b32_e32 v9, s24
	s_lshl_b32 s5, s6, 3
	s_mov_b32 s7, 0
	s_add_i32 s33, s23, s5
	s_mov_b32 s34, s7
	ds_load_2addr_b64 v[5:8], v9 offset0:2 offset1:3
	ds_load_2addr_b64 v[23:26], v9 offset0:4 offset1:5
	s_mov_b32 s5, exec_lo
                                        ; implicit-def: $sgpr8_sgpr9
                                        ; implicit-def: $sgpr10_sgpr11
                                        ; implicit-def: $sgpr12_sgpr13
	s_waitcnt lgkmcnt(1)
	v_add_f64 v[3:4], v[3:4], v[5:6]
	s_delay_alu instid0(VALU_DEP_1) | instskip(SKIP_1) | instid1(VALU_DEP_1)
	v_add_f64 v[3:4], v[3:4], v[7:8]
	s_waitcnt lgkmcnt(0)
	v_add_f64 v[3:4], v[3:4], v[23:24]
	s_delay_alu instid0(VALU_DEP_1) | instskip(SKIP_4) | instid1(VALU_DEP_1)
	v_add_f64 v[7:8], v[3:4], v[25:26]
	ds_load_2addr_b64 v[3:6], v9 offset0:6 offset1:7
	ds_load_b64 v[9:10], v9 offset:64
	s_waitcnt lgkmcnt(1)
	v_add_f64 v[3:4], v[7:8], v[3:4]
	v_add_f64 v[3:4], v[3:4], v[5:6]
	s_waitcnt lgkmcnt(0)
	s_delay_alu instid0(VALU_DEP_1) | instskip(NEXT) | instid1(VALU_DEP_1)
	v_add_f64 v[7:8], v[3:4], v[9:10]
                                        ; implicit-def: $vgpr3_vgpr4
	v_cmpx_nlt_f64_e32 0, v[7:8]
	s_xor_b32 s5, exec_lo, s5
	s_cbranch_execz .LBB71_32
; %bb.28:                               ;   in Loop: Header=BB71_17 Depth=1
	v_mov_b32_e32 v3, v2
	s_and_b32 vcc_lo, exec_lo, s26
	ds_store_b64 v2, v[2:3]
	s_cbranch_vccz .LBB71_30
; %bb.29:                               ;   in Loop: Header=BB71_17 Depth=1
	v_mov_b32_e32 v3, s33
	s_mov_b32 s34, -1
	s_mov_b64 s[12:13], 1.0
	ds_load_b64 v[3:4], v3
	s_branch .LBB71_31
.LBB71_30:                              ;   in Loop: Header=BB71_17 Depth=1
	s_mov_b32 s34, 0
                                        ; implicit-def: $vgpr3_vgpr4
                                        ; implicit-def: $sgpr12_sgpr13
.LBB71_31:                              ;   in Loop: Header=BB71_17 Depth=1
	s_mov_b64 s[10:11], 0
	s_mov_b64 s[8:9], 1.0
	s_and_b32 s34, s34, exec_lo
                                        ; implicit-def: $vgpr7_vgpr8
.LBB71_32:                              ;   in Loop: Header=BB71_17 Depth=1
	s_or_saveexec_b32 s35, s5
	v_dual_mov_b32 v5, s12 :: v_dual_mov_b32 v6, s13
	s_mov_b32 s5, 0
	s_xor_b32 exec_lo, exec_lo, s35
	s_cbranch_execz .LBB71_34
; %bb.33:                               ;   in Loop: Header=BB71_17 Depth=1
	s_waitcnt lgkmcnt(0)
	v_mov_b32_e32 v3, s33
	s_and_not1_b32 s12, s34, exec_lo
	s_and_b32 s13, s26, exec_lo
	s_delay_alu instid0(SALU_CYCLE_1) | instskip(SKIP_3) | instid1(VALU_DEP_1)
	s_or_b32 s34, s12, s13
	ds_load_b64 v[5:6], v3
	s_waitcnt lgkmcnt(0)
	v_fma_f64 v[3:4], v[5:6], v[5:6], v[7:8]
	v_cmp_gt_f64_e32 vcc_lo, 0x10000000, v[3:4]
	v_cndmask_b32_e64 v7, 0, 1, vcc_lo
	s_delay_alu instid0(VALU_DEP_1) | instskip(NEXT) | instid1(VALU_DEP_1)
	v_lshlrev_b32_e32 v7, 8, v7
	v_ldexp_f64 v[3:4], v[3:4], v7
	s_delay_alu instid0(VALU_DEP_1) | instskip(SKIP_3) | instid1(VALU_DEP_1)
	v_rsq_f64_e32 v[7:8], v[3:4]
	s_waitcnt_depctr 0xfff
	v_mul_f64 v[9:10], v[3:4], v[7:8]
	v_mul_f64 v[7:8], v[7:8], 0.5
	v_fma_f64 v[23:24], -v[7:8], v[9:10], 0.5
	s_delay_alu instid0(VALU_DEP_1) | instskip(SKIP_1) | instid1(VALU_DEP_2)
	v_fma_f64 v[9:10], v[9:10], v[23:24], v[9:10]
	v_fma_f64 v[7:8], v[7:8], v[23:24], v[7:8]
	v_fma_f64 v[23:24], -v[9:10], v[9:10], v[3:4]
	s_delay_alu instid0(VALU_DEP_1) | instskip(NEXT) | instid1(VALU_DEP_1)
	v_fma_f64 v[9:10], v[23:24], v[7:8], v[9:10]
	v_fma_f64 v[23:24], -v[9:10], v[9:10], v[3:4]
	s_delay_alu instid0(VALU_DEP_1) | instskip(SKIP_2) | instid1(VALU_DEP_2)
	v_fma_f64 v[7:8], v[23:24], v[7:8], v[9:10]
	v_cndmask_b32_e64 v9, 0, 0xffffff80, vcc_lo
	v_cmp_class_f64_e64 vcc_lo, v[3:4], 0x260
	v_ldexp_f64 v[7:8], v[7:8], v9
	s_delay_alu instid0(VALU_DEP_1) | instskip(SKIP_1) | instid1(VALU_DEP_2)
	v_dual_cndmask_b32 v4, v8, v4 :: v_dual_cndmask_b32 v3, v7, v3
	v_cmp_le_f64_e32 vcc_lo, 0, v[5:6]
	v_xor_b32_e32 v7, 0x80000000, v4
	s_delay_alu instid0(VALU_DEP_1) | instskip(NEXT) | instid1(VALU_DEP_1)
	v_cndmask_b32_e32 v4, v4, v7, vcc_lo
	v_add_f64 v[7:8], v[5:6], -v[3:4]
	v_add_f64 v[5:6], v[3:4], -v[5:6]
	s_delay_alu instid0(VALU_DEP_2) | instskip(NEXT) | instid1(VALU_DEP_2)
	v_div_scale_f64 v[9:10], null, v[7:8], v[7:8], 1.0
	v_div_scale_f64 v[23:24], null, v[3:4], v[3:4], v[5:6]
	v_div_scale_f64 v[33:34], vcc_lo, 1.0, v[7:8], 1.0
	s_delay_alu instid0(VALU_DEP_3) | instskip(NEXT) | instid1(VALU_DEP_2)
	v_rcp_f64_e32 v[25:26], v[9:10]
	v_rcp_f64_e32 v[27:28], v[23:24]
	s_waitcnt_depctr 0xfff
	v_fma_f64 v[29:30], -v[9:10], v[25:26], 1.0
	v_fma_f64 v[31:32], -v[23:24], v[27:28], 1.0
	s_delay_alu instid0(VALU_DEP_2) | instskip(NEXT) | instid1(VALU_DEP_2)
	v_fma_f64 v[25:26], v[25:26], v[29:30], v[25:26]
	v_fma_f64 v[27:28], v[27:28], v[31:32], v[27:28]
	s_delay_alu instid0(VALU_DEP_2) | instskip(NEXT) | instid1(VALU_DEP_2)
	v_fma_f64 v[29:30], -v[9:10], v[25:26], 1.0
	v_fma_f64 v[31:32], -v[23:24], v[27:28], 1.0
	s_delay_alu instid0(VALU_DEP_2) | instskip(SKIP_1) | instid1(VALU_DEP_3)
	v_fma_f64 v[25:26], v[25:26], v[29:30], v[25:26]
	v_div_scale_f64 v[29:30], s5, v[5:6], v[3:4], v[5:6]
	v_fma_f64 v[27:28], v[27:28], v[31:32], v[27:28]
	s_delay_alu instid0(VALU_DEP_3) | instskip(NEXT) | instid1(VALU_DEP_2)
	v_mul_f64 v[31:32], v[33:34], v[25:26]
	v_mul_f64 v[35:36], v[29:30], v[27:28]
	s_delay_alu instid0(VALU_DEP_2) | instskip(NEXT) | instid1(VALU_DEP_2)
	v_fma_f64 v[9:10], -v[9:10], v[31:32], v[33:34]
	v_fma_f64 v[23:24], -v[23:24], v[35:36], v[29:30]
	s_delay_alu instid0(VALU_DEP_2) | instskip(SKIP_2) | instid1(VALU_DEP_2)
	v_div_fmas_f64 v[9:10], v[9:10], v[25:26], v[31:32]
	s_mov_b32 vcc_lo, s5
	s_and_b32 s5, s25, exec_lo
	v_div_fmas_f64 v[23:24], v[23:24], v[27:28], v[35:36]
	s_delay_alu instid0(VALU_DEP_1) | instskip(NEXT) | instid1(VALU_DEP_3)
	v_div_fixup_f64 v[23:24], v[23:24], v[3:4], v[5:6]
	v_div_fixup_f64 v[5:6], v[9:10], v[7:8], 1.0
	ds_store_b64 v2, v[23:24]
.LBB71_34:                              ;   in Loop: Header=BB71_17 Depth=1
	s_or_b32 exec_lo, exec_lo, s35
	s_and_saveexec_b32 s12, s34
	s_cbranch_execz .LBB71_36
; %bb.35:                               ;   in Loop: Header=BB71_17 Depth=1
	s_lshl_b64 s[34:35], s[6:7], 3
	s_delay_alu instid0(SALU_CYCLE_1)
	s_add_u32 s34, s19, s34
	s_addc_u32 s35, s20, s35
	s_or_b32 s5, s5, exec_lo
	s_waitcnt lgkmcnt(0)
	global_store_b64 v2, v[3:4], s[34:35]
	v_mov_b32_e32 v3, 0
	v_mov_b32_e32 v4, 0x3ff00000
.LBB71_36:                              ;   in Loop: Header=BB71_17 Depth=1
	s_or_b32 exec_lo, exec_lo, s12
	v_dual_mov_b32 v7, s10 :: v_dual_mov_b32 v8, s11
	v_dual_mov_b32 v10, s9 :: v_dual_mov_b32 v9, s8
	s_and_saveexec_b32 s8, s5
	s_cbranch_execz .LBB71_38
; %bb.37:                               ;   in Loop: Header=BB71_17 Depth=1
	v_dual_mov_b32 v7, s33 :: v_dual_mov_b32 v10, v6
	v_mov_b32_e32 v9, v5
	s_waitcnt lgkmcnt(0)
	ds_store_b64 v7, v[3:4]
	ds_load_b64 v[7:8], v2
.LBB71_38:                              ;   in Loop: Header=BB71_17 Depth=1
	s_or_b32 exec_lo, exec_lo, s8
	s_lshl_b64 s[8:9], s[6:7], 3
	s_waitcnt lgkmcnt(0)
	v_mov_b32_e32 v3, s24
	s_add_u32 s8, s15, s8
	s_addc_u32 s9, s21, s9
	global_store_b64 v2, v[7:8], s[8:9]
	ds_store_b64 v3, v[9:10] offset:8
.LBB71_39:                              ;   in Loop: Header=BB71_17 Depth=1
	s_or_b32 exec_lo, exec_lo, s31
	s_waitcnt lgkmcnt(0)
	s_waitcnt_vscnt null, 0x0
	s_barrier
	buffer_gl0_inv
	s_and_saveexec_b32 s5, s4
	s_cbranch_execz .LBB71_42
; %bb.40:                               ;   in Loop: Header=BB71_17 Depth=1
	v_dual_mov_b32 v3, v18 :: v_dual_mov_b32 v4, v0
	s_mov_b32 s4, 0
	.p2align	6
.LBB71_41:                              ;   Parent Loop BB71_17 Depth=1
                                        ; =>  This Inner Loop Header: Depth=2
	s_delay_alu instid0(VALU_DEP_1)
	v_dual_mov_b32 v7, s24 :: v_dual_add_nc_u32 v4, 0x100, v4
	ds_load_b64 v[5:6], v3
	ds_load_b64 v[7:8], v7 offset:8
	v_cmp_le_i32_e32 vcc_lo, s6, v4
	s_or_b32 s4, vcc_lo, s4
	s_waitcnt lgkmcnt(0)
	v_mul_f64 v[5:6], v[7:8], v[5:6]
	ds_store_b64 v3, v[5:6]
	v_add_nc_u32_e32 v3, 0x800, v3
	s_and_not1_b32 exec_lo, exec_lo, s4
	s_cbranch_execnz .LBB71_41
.LBB71_42:                              ;   in Loop: Header=BB71_17 Depth=1
	s_or_b32 exec_lo, exec_lo, s5
	s_waitcnt lgkmcnt(0)
	s_barrier
	buffer_gl0_inv
	s_and_saveexec_b32 s4, s3
	s_cbranch_execz .LBB71_49
; %bb.43:                               ;   in Loop: Header=BB71_17 Depth=1
	v_mov_b32_e32 v5, v20
	v_mov_b32_e32 v6, v0
	s_mov_b32 s5, 0
	s_set_inst_prefetch_distance 0x1
	.p2align	6
.LBB71_44:                              ;   Parent Loop BB71_17 Depth=1
                                        ; =>  This Loop Header: Depth=2
                                        ;       Child Loop BB71_45 Depth 3
	v_mov_b32_e32 v3, 0
	v_dual_mov_b32 v4, 0 :: v_dual_mov_b32 v7, v5
	s_mov_b32 s6, s23
	s_mov_b32 s7, 0
.LBB71_45:                              ;   Parent Loop BB71_17 Depth=1
                                        ;     Parent Loop BB71_44 Depth=2
                                        ; =>    This Inner Loop Header: Depth=3
	v_mov_b32_e32 v10, s6
	s_add_i32 s7, s7, 1
	s_add_i32 s6, s6, 8
	s_cmp_ge_i32 s7, s30
	ds_load_b64 v[8:9], v7
	ds_load_b64 v[23:24], v10
	v_add_nc_u32_e32 v7, s22, v7
	s_waitcnt lgkmcnt(0)
	v_fma_f64 v[3:4], v[8:9], v[23:24], v[3:4]
	s_cbranch_scc0 .LBB71_45
; %bb.46:                               ;   in Loop: Header=BB71_44 Depth=2
	ds_load_b64 v[7:8], v2
	v_add_nc_u32_e32 v5, 0x800, v5
	s_waitcnt lgkmcnt(0)
	v_mul_f64 v[3:4], v[3:4], v[7:8]
	v_lshl_add_u32 v7, v6, 3, s27
	v_add_nc_u32_e32 v6, 0x100, v6
	s_delay_alu instid0(VALU_DEP_1)
	v_cmp_le_i32_e32 vcc_lo, s30, v6
	s_or_b32 s5, vcc_lo, s5
	ds_store_b64 v7, v[3:4]
	s_and_not1_b32 exec_lo, exec_lo, s5
	s_cbranch_execnz .LBB71_44
; %bb.47:                               ;   in Loop: Header=BB71_17 Depth=1
	s_set_inst_prefetch_distance 0x2
	s_or_b32 exec_lo, exec_lo, s5
	v_mov_b32_e32 v3, v0
	s_mov_b32 s5, 0
	s_mov_b32 s6, 0
.LBB71_48:                              ;   Parent Loop BB71_17 Depth=1
                                        ; =>  This Inner Loop Header: Depth=2
	s_delay_alu instid0(SALU_CYCLE_1) | instskip(NEXT) | instid1(VALU_DEP_2)
	v_add_nc_u32_e32 v4, s6, v18
	v_add_nc_u32_e32 v3, 0x100, v3
	;; [unrolled: 1-line block ×3, first 2 shown]
	s_addk_i32 s6, 0x800
	ds_load_b64 v[4:5], v4
	v_cmp_le_i32_e32 vcc_lo, s30, v3
	s_or_b32 s5, vcc_lo, s5
	s_waitcnt lgkmcnt(0)
	ds_store_b64 v6, v[4:5]
	s_and_not1_b32 exec_lo, exec_lo, s5
	s_cbranch_execnz .LBB71_48
.LBB71_49:                              ;   in Loop: Header=BB71_17 Depth=1
	s_or_b32 exec_lo, exec_lo, s4
	v_mov_b32_e32 v3, 0
	v_mov_b32_e32 v4, 0
	s_waitcnt lgkmcnt(0)
	s_barrier
	buffer_gl0_inv
	s_and_saveexec_b32 s4, s3
	s_cbranch_execz .LBB71_53
; %bb.50:                               ;   in Loop: Header=BB71_17 Depth=1
	v_dual_mov_b32 v3, 0 :: v_dual_mov_b32 v6, v21
	v_dual_mov_b32 v4, 0 :: v_dual_mov_b32 v5, v18
	v_mov_b32_e32 v7, v0
	s_mov_b32 s5, 0
	.p2align	6
.LBB71_51:                              ;   Parent Loop BB71_17 Depth=1
                                        ; =>  This Inner Loop Header: Depth=2
	ds_load_b64 v[8:9], v5
	ds_load_b64 v[23:24], v6
	v_add_nc_u32_e32 v7, 0x100, v7
	v_add_nc_u32_e32 v6, 0x800, v6
	;; [unrolled: 1-line block ×3, first 2 shown]
	s_delay_alu instid0(VALU_DEP_3) | instskip(SKIP_3) | instid1(VALU_DEP_1)
	v_cmp_le_i32_e32 vcc_lo, s30, v7
	s_or_b32 s5, vcc_lo, s5
	s_waitcnt lgkmcnt(0)
	v_mul_f64 v[8:9], v[8:9], v[23:24]
	v_add_f64 v[3:4], v[3:4], v[8:9]
	s_and_not1_b32 exec_lo, exec_lo, s5
	s_cbranch_execnz .LBB71_51
; %bb.52:                               ;   in Loop: Header=BB71_17 Depth=1
	s_or_b32 exec_lo, exec_lo, s5
.LBB71_53:                              ;   in Loop: Header=BB71_17 Depth=1
	s_delay_alu instid0(SALU_CYCLE_1)
	s_or_b32 exec_lo, exec_lo, s4
	ds_bpermute_b32 v5, v13, v3
	ds_bpermute_b32 v6, v13, v4
	s_waitcnt lgkmcnt(0)
	v_add_f64 v[3:4], v[3:4], v[5:6]
	ds_bpermute_b32 v5, v14, v3
	ds_bpermute_b32 v6, v14, v4
	s_waitcnt lgkmcnt(0)
	v_add_f64 v[3:4], v[3:4], v[5:6]
	;; [unrolled: 4-line block ×5, first 2 shown]
	s_and_saveexec_b32 s4, s0
	s_cbranch_execz .LBB71_55
; %bb.54:                               ;   in Loop: Header=BB71_17 Depth=1
	ds_store_b64 v22, v[3:4] offset:8
.LBB71_55:                              ;   in Loop: Header=BB71_17 Depth=1
	s_or_b32 exec_lo, exec_lo, s4
	s_waitcnt lgkmcnt(0)
	s_barrier
	buffer_gl0_inv
	s_and_saveexec_b32 s4, s1
	s_cbranch_execz .LBB71_57
; %bb.56:                               ;   in Loop: Header=BB71_17 Depth=1
	v_mov_b32_e32 v27, s24
	ds_load_2addr_b64 v[5:8], v27 offset0:2 offset1:3
	ds_load_b64 v[23:24], v2
	s_waitcnt lgkmcnt(1)
	v_add_f64 v[3:4], v[3:4], v[5:6]
	s_delay_alu instid0(VALU_DEP_1) | instskip(SKIP_4) | instid1(VALU_DEP_1)
	v_add_f64 v[25:26], v[3:4], v[7:8]
	ds_load_2addr_b64 v[3:6], v27 offset0:4 offset1:5
	ds_load_2addr_b64 v[7:10], v27 offset0:6 offset1:7
	s_waitcnt lgkmcnt(1)
	v_add_f64 v[3:4], v[25:26], v[3:4]
	v_add_f64 v[3:4], v[3:4], v[5:6]
	ds_load_b64 v[5:6], v27 offset:64
	s_waitcnt lgkmcnt(1)
	v_add_f64 v[3:4], v[3:4], v[7:8]
	s_delay_alu instid0(VALU_DEP_1) | instskip(SKIP_1) | instid1(VALU_DEP_1)
	v_add_f64 v[3:4], v[3:4], v[9:10]
	s_waitcnt lgkmcnt(0)
	v_add_f64 v[3:4], v[3:4], v[5:6]
	v_mul_f64 v[5:6], v[23:24], -0.5
	s_delay_alu instid0(VALU_DEP_1)
	v_mul_f64 v[3:4], v[3:4], v[5:6]
	ds_store_b64 v27, v[3:4] offset:8
.LBB71_57:                              ;   in Loop: Header=BB71_17 Depth=1
	s_or_b32 exec_lo, exec_lo, s4
	s_waitcnt lgkmcnt(0)
	s_barrier
	buffer_gl0_inv
	s_and_saveexec_b32 s4, s3
	s_cbranch_execz .LBB71_60
; %bb.58:                               ;   in Loop: Header=BB71_17 Depth=1
	v_dual_mov_b32 v3, v18 :: v_dual_mov_b32 v4, v21
	v_mov_b32_e32 v5, v0
	s_mov_b32 s5, 0
	.p2align	6
.LBB71_59:                              ;   Parent Loop BB71_17 Depth=1
                                        ; =>  This Inner Loop Header: Depth=2
	s_delay_alu instid0(VALU_DEP_1)
	v_dual_mov_b32 v10, s24 :: v_dual_add_nc_u32 v5, 0x100, v5
	ds_load_b64 v[6:7], v3
	ds_load_b64 v[8:9], v4
	ds_load_b64 v[23:24], v10 offset:8
	v_add_nc_u32_e32 v3, 0x800, v3
	v_cmp_le_i32_e32 vcc_lo, s30, v5
	s_or_b32 s5, vcc_lo, s5
	s_waitcnt lgkmcnt(0)
	v_fma_f64 v[6:7], v[23:24], v[6:7], v[8:9]
	ds_store_b64 v4, v[6:7]
	v_add_nc_u32_e32 v4, 0x800, v4
	s_and_not1_b32 exec_lo, exec_lo, s5
	s_cbranch_execnz .LBB71_59
.LBB71_60:                              ;   in Loop: Header=BB71_17 Depth=1
	s_or_b32 exec_lo, exec_lo, s4
	s_waitcnt lgkmcnt(0)
	s_barrier
	buffer_gl0_inv
	s_and_saveexec_b32 s4, s3
	s_cbranch_execz .LBB71_16
; %bb.61:                               ;   in Loop: Header=BB71_17 Depth=1
	v_mov_b32_e32 v3, v20
	v_mov_b32_e32 v4, v0
	s_mov_b32 s3, 0
	s_set_inst_prefetch_distance 0x1
	.p2align	6
.LBB71_62:                              ;   Parent Loop BB71_17 Depth=1
                                        ; =>  This Loop Header: Depth=2
                                        ;       Child Loop BB71_63 Depth 3
	s_delay_alu instid0(VALU_DEP_1) | instskip(SKIP_3) | instid1(VALU_DEP_1)
	v_dual_mov_b32 v7, v3 :: v_dual_lshlrev_b32 v6, 3, v4
	s_mov_b32 s5, s27
	s_mov_b32 s6, s23
	;; [unrolled: 1-line block ×3, first 2 shown]
	v_add_nc_u32_e32 v5, s23, v6
	v_add_nc_u32_e32 v6, s27, v6
	.p2align	6
.LBB71_63:                              ;   Parent Loop BB71_17 Depth=1
                                        ;     Parent Loop BB71_62 Depth=2
                                        ; =>    This Inner Loop Header: Depth=3
	v_mov_b32_e32 v10, s5
	s_add_i32 s7, s7, 1
	s_add_i32 s5, s5, 8
	ds_load_b64 v[8:9], v7
	ds_load_b64 v[23:24], v5
	;; [unrolled: 1-line block ×4, first 2 shown]
	v_mov_b32_e32 v10, s6
	s_add_i32 s6, s6, 8
	s_cmp_ge_i32 s7, s30
	s_waitcnt lgkmcnt(1)
	v_fma_f64 v[8:9], -v[23:24], v[25:26], v[8:9]
	ds_load_b64 v[23:24], v10
	s_waitcnt lgkmcnt(0)
	v_fma_f64 v[8:9], -v[27:28], v[23:24], v[8:9]
	ds_store_b64 v7, v[8:9]
	v_add_nc_u32_e32 v7, s22, v7
	s_cbranch_scc0 .LBB71_63
; %bb.64:                               ;   in Loop: Header=BB71_62 Depth=2
	v_add_nc_u32_e32 v4, 0x100, v4
	v_add_nc_u32_e32 v3, 0x800, v3
	s_delay_alu instid0(VALU_DEP_2) | instskip(SKIP_1) | instid1(SALU_CYCLE_1)
	v_cmp_le_i32_e32 vcc_lo, s30, v4
	s_or_b32 s3, vcc_lo, s3
	s_and_not1_b32 exec_lo, exec_lo, s3
	s_cbranch_execnz .LBB71_62
	s_branch .LBB71_16
.LBB71_65:
	s_and_saveexec_b32 s0, s2
	s_cbranch_execz .LBB71_73
; %bb.66:
	v_mul_lo_u32 v0, s14, v11
	v_mad_u64_u32 v[2:3], null, s18, v11, v[1:2]
	v_cmp_gt_u32_e32 vcc_lo, s14, v11
	s_lshl_b32 s1, s18, 1
	s_mov_b32 s2, 0
	s_lshl_b32 s3, s14, 4
	s_delay_alu instid0(VALU_DEP_3) | instskip(NEXT) | instid1(VALU_DEP_1)
	v_lshl_add_u32 v0, v0, 3, v12
	v_add3_u32 v0, v0, 0, 8
	s_set_inst_prefetch_distance 0x1
	s_branch .LBB71_68
	.p2align	6
.LBB71_67:                              ;   in Loop: Header=BB71_68 Depth=1
	s_or_b32 exec_lo, exec_lo, s4
	v_add_nc_u32_e32 v1, 0x80, v1
	v_add_nc_u32_e32 v2, 0x80, v2
	;; [unrolled: 1-line block ×3, first 2 shown]
	s_delay_alu instid0(VALU_DEP_3) | instskip(NEXT) | instid1(VALU_DEP_1)
	v_cmp_le_i32_e64 s0, s14, v1
	s_or_b32 s2, s0, s2
	s_delay_alu instid0(SALU_CYCLE_1)
	s_and_not1_b32 exec_lo, exec_lo, s2
	s_cbranch_execz .LBB71_73
.LBB71_68:                              ; =>This Loop Header: Depth=1
                                        ;     Child Loop BB71_71 Depth 2
	s_and_saveexec_b32 s4, vcc_lo
	s_cbranch_execz .LBB71_67
; %bb.69:                               ;   in Loop: Header=BB71_68 Depth=1
	v_dual_mov_b32 v5, v0 :: v_dual_mov_b32 v6, v11
	v_mov_b32_e32 v3, v2
	s_mov_b32 s5, 0
	s_branch .LBB71_71
	.p2align	6
.LBB71_70:                              ;   in Loop: Header=BB71_71 Depth=2
	s_or_b32 exec_lo, exec_lo, s6
	v_add_nc_u32_e32 v6, 2, v6
	v_add_nc_u32_e32 v3, s1, v3
	v_add_nc_u32_e32 v5, s3, v5
	s_delay_alu instid0(VALU_DEP_3) | instskip(NEXT) | instid1(VALU_DEP_1)
	v_cmp_le_i32_e64 s0, s14, v6
	s_or_b32 s5, s0, s5
	s_delay_alu instid0(SALU_CYCLE_1)
	s_and_not1_b32 exec_lo, exec_lo, s5
	s_cbranch_execz .LBB71_67
.LBB71_71:                              ;   Parent Loop BB71_68 Depth=1
                                        ; =>  This Inner Loop Header: Depth=2
	s_mov_b32 s6, exec_lo
	v_cmpx_le_u32_e64 v1, v6
	s_cbranch_execz .LBB71_70
; %bb.72:                               ;   in Loop: Header=BB71_71 Depth=2
	ds_load_b64 v[7:8], v5
	v_ashrrev_i32_e32 v4, 31, v3
	s_delay_alu instid0(VALU_DEP_1) | instskip(NEXT) | instid1(VALU_DEP_1)
	v_lshlrev_b64 v[9:10], 3, v[3:4]
	v_add_co_u32 v9, s0, s16, v9
	s_delay_alu instid0(VALU_DEP_1)
	v_add_co_ci_u32_e64 v10, s0, s17, v10, s0
	s_waitcnt lgkmcnt(0)
	global_store_b64 v[9:10], v[7:8], off
	s_branch .LBB71_70
.LBB71_73:
	s_set_inst_prefetch_distance 0x2
	s_nop 0
	s_sendmsg sendmsg(MSG_DEALLOC_VGPRS)
	s_endpgm
	.section	.rodata,"a",@progbits
	.p2align	6, 0x0
	.amdhsa_kernel _ZN9rocsolver6v33100L24sytd2_upper_kernel_smallILi256EdidPdEEvT1_T3_lS3_lPT2_lS6_lPT0_l
		.amdhsa_group_segment_fixed_size 0
		.amdhsa_private_segment_fixed_size 0
		.amdhsa_kernarg_size 88
		.amdhsa_user_sgpr_count 14
		.amdhsa_user_sgpr_dispatch_ptr 0
		.amdhsa_user_sgpr_queue_ptr 0
		.amdhsa_user_sgpr_kernarg_segment_ptr 1
		.amdhsa_user_sgpr_dispatch_id 0
		.amdhsa_user_sgpr_private_segment_size 0
		.amdhsa_wavefront_size32 1
		.amdhsa_uses_dynamic_stack 0
		.amdhsa_enable_private_segment 0
		.amdhsa_system_sgpr_workgroup_id_x 1
		.amdhsa_system_sgpr_workgroup_id_y 0
		.amdhsa_system_sgpr_workgroup_id_z 1
		.amdhsa_system_sgpr_workgroup_info 0
		.amdhsa_system_vgpr_workitem_id 0
		.amdhsa_next_free_vgpr 37
		.amdhsa_next_free_sgpr 36
		.amdhsa_reserve_vcc 1
		.amdhsa_float_round_mode_32 0
		.amdhsa_float_round_mode_16_64 0
		.amdhsa_float_denorm_mode_32 3
		.amdhsa_float_denorm_mode_16_64 3
		.amdhsa_dx10_clamp 1
		.amdhsa_ieee_mode 1
		.amdhsa_fp16_overflow 0
		.amdhsa_workgroup_processor_mode 1
		.amdhsa_memory_ordered 1
		.amdhsa_forward_progress 0
		.amdhsa_shared_vgpr_count 0
		.amdhsa_exception_fp_ieee_invalid_op 0
		.amdhsa_exception_fp_denorm_src 0
		.amdhsa_exception_fp_ieee_div_zero 0
		.amdhsa_exception_fp_ieee_overflow 0
		.amdhsa_exception_fp_ieee_underflow 0
		.amdhsa_exception_fp_ieee_inexact 0
		.amdhsa_exception_int_div_zero 0
	.end_amdhsa_kernel
	.section	.text._ZN9rocsolver6v33100L24sytd2_upper_kernel_smallILi256EdidPdEEvT1_T3_lS3_lPT2_lS6_lPT0_l,"axG",@progbits,_ZN9rocsolver6v33100L24sytd2_upper_kernel_smallILi256EdidPdEEvT1_T3_lS3_lPT2_lS6_lPT0_l,comdat
.Lfunc_end71:
	.size	_ZN9rocsolver6v33100L24sytd2_upper_kernel_smallILi256EdidPdEEvT1_T3_lS3_lPT2_lS6_lPT0_l, .Lfunc_end71-_ZN9rocsolver6v33100L24sytd2_upper_kernel_smallILi256EdidPdEEvT1_T3_lS3_lPT2_lS6_lPT0_l
                                        ; -- End function
	.section	.AMDGPU.csdata,"",@progbits
; Kernel info:
; codeLenInByte = 3912
; NumSgprs: 38
; NumVgprs: 37
; ScratchSize: 0
; MemoryBound: 0
; FloatMode: 240
; IeeeMode: 1
; LDSByteSize: 0 bytes/workgroup (compile time only)
; SGPRBlocks: 4
; VGPRBlocks: 4
; NumSGPRsForWavesPerEU: 38
; NumVGPRsForWavesPerEU: 37
; Occupancy: 16
; WaveLimiterHint : 0
; COMPUTE_PGM_RSRC2:SCRATCH_EN: 0
; COMPUTE_PGM_RSRC2:USER_SGPR: 14
; COMPUTE_PGM_RSRC2:TRAP_HANDLER: 0
; COMPUTE_PGM_RSRC2:TGID_X_EN: 1
; COMPUTE_PGM_RSRC2:TGID_Y_EN: 0
; COMPUTE_PGM_RSRC2:TGID_Z_EN: 1
; COMPUTE_PGM_RSRC2:TIDIG_COMP_CNT: 0
	.section	.text._ZN9rocsolver6v33100L8copy_matIdPdNS0_7no_maskEEEvNS0_17copymat_directionEiiT0_iilPT_T1_13rocblas_fill_17rocblas_diagonal_,"axG",@progbits,_ZN9rocsolver6v33100L8copy_matIdPdNS0_7no_maskEEEvNS0_17copymat_directionEiiT0_iilPT_T1_13rocblas_fill_17rocblas_diagonal_,comdat
	.globl	_ZN9rocsolver6v33100L8copy_matIdPdNS0_7no_maskEEEvNS0_17copymat_directionEiiT0_iilPT_T1_13rocblas_fill_17rocblas_diagonal_ ; -- Begin function _ZN9rocsolver6v33100L8copy_matIdPdNS0_7no_maskEEEvNS0_17copymat_directionEiiT0_iilPT_T1_13rocblas_fill_17rocblas_diagonal_
	.p2align	8
	.type	_ZN9rocsolver6v33100L8copy_matIdPdNS0_7no_maskEEEvNS0_17copymat_directionEiiT0_iilPT_T1_13rocblas_fill_17rocblas_diagonal_,@function
_ZN9rocsolver6v33100L8copy_matIdPdNS0_7no_maskEEEvNS0_17copymat_directionEiiT0_iilPT_T1_13rocblas_fill_17rocblas_diagonal_: ; @_ZN9rocsolver6v33100L8copy_matIdPdNS0_7no_maskEEEvNS0_17copymat_directionEiiT0_iilPT_T1_13rocblas_fill_17rocblas_diagonal_
; %bb.0:
	s_clause 0x1
	s_load_b32 s2, s[0:1], 0x4c
	s_load_b128 s[8:11], s[0:1], 0x0
	v_and_b32_e32 v2, 0x3ff, v0
	v_bfe_u32 v3, v0, 10, 10
	s_waitcnt lgkmcnt(0)
	s_lshr_b32 s3, s2, 16
	s_and_b32 s2, s2, 0xffff
	s_delay_alu instid0(VALU_DEP_1) | instid1(SALU_CYCLE_1)
	v_mad_u64_u32 v[0:1], null, s13, s2, v[2:3]
	v_mad_u64_u32 v[1:2], null, s14, s3, v[3:4]
	s_delay_alu instid0(VALU_DEP_2) | instskip(NEXT) | instid1(VALU_DEP_2)
	v_cmp_gt_u32_e32 vcc_lo, s9, v0
	v_cmp_gt_u32_e64 s2, s10, v1
	s_delay_alu instid0(VALU_DEP_1) | instskip(NEXT) | instid1(SALU_CYCLE_1)
	s_and_b32 s2, s2, vcc_lo
	s_and_saveexec_b32 s3, s2
	s_cbranch_execz .LBB72_14
; %bb.1:
	s_load_b64 s[4:5], s[0:1], 0x34
	s_waitcnt lgkmcnt(0)
	s_cmpk_lt_i32 s4, 0x7a
	s_cbranch_scc1 .LBB72_4
; %bb.2:
	s_cmpk_gt_i32 s4, 0x7a
	s_cbranch_scc0 .LBB72_5
; %bb.3:
	s_cmpk_lg_i32 s4, 0x7b
	s_mov_b32 s3, -1
	s_cselect_b32 s6, -1, 0
	s_cbranch_execz .LBB72_6
	s_branch .LBB72_7
.LBB72_4:
	s_mov_b32 s6, 0
	s_mov_b32 s3, 0
	s_cbranch_execnz .LBB72_8
	s_branch .LBB72_10
.LBB72_5:
	s_mov_b32 s3, 0
	s_mov_b32 s6, 0
.LBB72_6:
	v_cmp_gt_u32_e32 vcc_lo, v0, v1
	v_cmp_le_u32_e64 s2, v0, v1
	s_and_not1_b32 s3, s3, exec_lo
	s_and_not1_b32 s6, s6, exec_lo
	s_and_b32 s7, vcc_lo, exec_lo
	s_delay_alu instid0(VALU_DEP_1)
	s_and_b32 s2, s2, exec_lo
	s_or_b32 s3, s3, s7
	s_or_b32 s6, s6, s2
.LBB72_7:
	s_branch .LBB72_10
.LBB72_8:
	s_cmpk_eq_i32 s4, 0x79
	s_mov_b32 s6, -1
	s_cbranch_scc0 .LBB72_10
; %bb.9:
	v_cmp_gt_u32_e32 vcc_lo, v1, v0
	v_cmp_le_u32_e64 s2, v1, v0
	s_and_not1_b32 s3, s3, exec_lo
	s_and_b32 s4, vcc_lo, exec_lo
	s_delay_alu instid0(VALU_DEP_1)
	s_or_not1_b32 s6, s2, exec_lo
	s_or_b32 s3, s3, s4
.LBB72_10:
	s_and_saveexec_b32 s2, s6
; %bb.11:
	v_cmp_eq_u32_e32 vcc_lo, v0, v1
	s_cmpk_eq_i32 s5, 0x83
	s_cselect_b32 s4, -1, 0
	s_and_not1_b32 s3, s3, exec_lo
	s_and_b32 s4, s4, vcc_lo
	s_delay_alu instid0(SALU_CYCLE_1) | instskip(NEXT) | instid1(SALU_CYCLE_1)
	s_and_b32 s4, s4, exec_lo
	s_or_b32 s3, s3, s4
; %bb.12:
	s_or_b32 exec_lo, exec_lo, s2
	s_delay_alu instid0(SALU_CYCLE_1)
	s_and_b32 exec_lo, exec_lo, s3
	s_cbranch_execz .LBB72_14
; %bb.13:
	s_load_b256 s[0:7], s[0:1], 0x10
	s_ashr_i32 s12, s10, 31
	s_mul_i32 s16, s9, s15
	s_ashr_i32 s11, s9, 31
	s_mul_i32 s17, s16, s12
	s_mul_hi_u32 s14, s9, s15
	s_mul_i32 s11, s11, s15
	s_waitcnt lgkmcnt(0)
	s_mul_i32 s5, s15, s5
	s_mul_hi_u32 s12, s15, s4
	s_mul_i32 s4, s15, s4
	s_add_i32 s5, s12, s5
	s_ashr_i32 s13, s2, 31
	s_lshl_b64 s[4:5], s[4:5], 3
	s_mov_b32 s12, s2
	s_add_u32 s2, s0, s4
	s_addc_u32 s4, s1, s5
	s_lshl_b64 s[0:1], s[12:13], 3
	s_mul_hi_u32 s5, s16, s10
	s_add_u32 s2, s2, s0
	s_addc_u32 s4, s4, s1
	s_add_i32 s0, s14, s11
	s_add_i32 s1, s5, s17
	s_mul_i32 s5, s0, s10
	s_mul_i32 s0, s16, s10
	s_add_i32 s1, s1, s5
	s_delay_alu instid0(SALU_CYCLE_1) | instskip(NEXT) | instid1(SALU_CYCLE_1)
	s_lshl_b64 s[0:1], s[0:1], 3
	s_add_u32 s0, s6, s0
	s_addc_u32 s1, s7, s1
	s_cmp_eq_u32 s8, 0
	s_cselect_b32 s5, s3, s9
	s_cselect_b32 s6, s2, s0
	v_mad_u64_u32 v[2:3], null, v1, s5, v[0:1]
	v_mov_b32_e32 v3, 0
	s_cselect_b32 s5, s4, s1
	s_cselect_b32 s3, s9, s3
	s_cselect_b32 s0, s0, s2
	v_mad_u64_u32 v[6:7], null, v1, s3, v[0:1]
	s_delay_alu instid0(VALU_DEP_3) | instskip(SKIP_2) | instid1(VALU_DEP_2)
	v_lshlrev_b64 v[4:5], 3, v[2:3]
	v_mov_b32_e32 v7, v3
	s_cselect_b32 s1, s1, s4
	v_add_co_u32 v4, vcc_lo, s6, v4
	s_delay_alu instid0(VALU_DEP_3) | instskip(NEXT) | instid1(VALU_DEP_3)
	v_add_co_ci_u32_e32 v5, vcc_lo, s5, v5, vcc_lo
	v_lshlrev_b64 v[0:1], 3, v[6:7]
	global_load_b64 v[4:5], v[4:5], off
	v_add_co_u32 v0, vcc_lo, s0, v0
	v_add_co_ci_u32_e32 v1, vcc_lo, s1, v1, vcc_lo
	s_waitcnt vmcnt(0)
	global_store_b64 v[0:1], v[4:5], off
.LBB72_14:
	s_nop 0
	s_sendmsg sendmsg(MSG_DEALLOC_VGPRS)
	s_endpgm
	.section	.rodata,"a",@progbits
	.p2align	6, 0x0
	.amdhsa_kernel _ZN9rocsolver6v33100L8copy_matIdPdNS0_7no_maskEEEvNS0_17copymat_directionEiiT0_iilPT_T1_13rocblas_fill_17rocblas_diagonal_
		.amdhsa_group_segment_fixed_size 0
		.amdhsa_private_segment_fixed_size 0
		.amdhsa_kernarg_size 320
		.amdhsa_user_sgpr_count 13
		.amdhsa_user_sgpr_dispatch_ptr 0
		.amdhsa_user_sgpr_queue_ptr 0
		.amdhsa_user_sgpr_kernarg_segment_ptr 1
		.amdhsa_user_sgpr_dispatch_id 0
		.amdhsa_user_sgpr_private_segment_size 0
		.amdhsa_wavefront_size32 1
		.amdhsa_uses_dynamic_stack 0
		.amdhsa_enable_private_segment 0
		.amdhsa_system_sgpr_workgroup_id_x 1
		.amdhsa_system_sgpr_workgroup_id_y 1
		.amdhsa_system_sgpr_workgroup_id_z 1
		.amdhsa_system_sgpr_workgroup_info 0
		.amdhsa_system_vgpr_workitem_id 1
		.amdhsa_next_free_vgpr 8
		.amdhsa_next_free_sgpr 18
		.amdhsa_reserve_vcc 1
		.amdhsa_float_round_mode_32 0
		.amdhsa_float_round_mode_16_64 0
		.amdhsa_float_denorm_mode_32 3
		.amdhsa_float_denorm_mode_16_64 3
		.amdhsa_dx10_clamp 1
		.amdhsa_ieee_mode 1
		.amdhsa_fp16_overflow 0
		.amdhsa_workgroup_processor_mode 1
		.amdhsa_memory_ordered 1
		.amdhsa_forward_progress 0
		.amdhsa_shared_vgpr_count 0
		.amdhsa_exception_fp_ieee_invalid_op 0
		.amdhsa_exception_fp_denorm_src 0
		.amdhsa_exception_fp_ieee_div_zero 0
		.amdhsa_exception_fp_ieee_overflow 0
		.amdhsa_exception_fp_ieee_underflow 0
		.amdhsa_exception_fp_ieee_inexact 0
		.amdhsa_exception_int_div_zero 0
	.end_amdhsa_kernel
	.section	.text._ZN9rocsolver6v33100L8copy_matIdPdNS0_7no_maskEEEvNS0_17copymat_directionEiiT0_iilPT_T1_13rocblas_fill_17rocblas_diagonal_,"axG",@progbits,_ZN9rocsolver6v33100L8copy_matIdPdNS0_7no_maskEEEvNS0_17copymat_directionEiiT0_iilPT_T1_13rocblas_fill_17rocblas_diagonal_,comdat
.Lfunc_end72:
	.size	_ZN9rocsolver6v33100L8copy_matIdPdNS0_7no_maskEEEvNS0_17copymat_directionEiiT0_iilPT_T1_13rocblas_fill_17rocblas_diagonal_, .Lfunc_end72-_ZN9rocsolver6v33100L8copy_matIdPdNS0_7no_maskEEEvNS0_17copymat_directionEiiT0_iilPT_T1_13rocblas_fill_17rocblas_diagonal_
                                        ; -- End function
	.section	.AMDGPU.csdata,"",@progbits
; Kernel info:
; codeLenInByte = 572
; NumSgprs: 20
; NumVgprs: 8
; ScratchSize: 0
; MemoryBound: 0
; FloatMode: 240
; IeeeMode: 1
; LDSByteSize: 0 bytes/workgroup (compile time only)
; SGPRBlocks: 2
; VGPRBlocks: 0
; NumSGPRsForWavesPerEU: 20
; NumVGPRsForWavesPerEU: 8
; Occupancy: 16
; WaveLimiterHint : 0
; COMPUTE_PGM_RSRC2:SCRATCH_EN: 0
; COMPUTE_PGM_RSRC2:USER_SGPR: 13
; COMPUTE_PGM_RSRC2:TRAP_HANDLER: 0
; COMPUTE_PGM_RSRC2:TGID_X_EN: 1
; COMPUTE_PGM_RSRC2:TGID_Y_EN: 1
; COMPUTE_PGM_RSRC2:TGID_Z_EN: 1
; COMPUTE_PGM_RSRC2:TIDIG_COMP_CNT: 1
	.section	.text._ZN9rocsolver6v33100L26latrd_lower_updateA_kernelIdPdEEviiT0_iilPT_iil,"axG",@progbits,_ZN9rocsolver6v33100L26latrd_lower_updateA_kernelIdPdEEviiT0_iilPT_iil,comdat
	.globl	_ZN9rocsolver6v33100L26latrd_lower_updateA_kernelIdPdEEviiT0_iilPT_iil ; -- Begin function _ZN9rocsolver6v33100L26latrd_lower_updateA_kernelIdPdEEviiT0_iilPT_iil
	.p2align	8
	.type	_ZN9rocsolver6v33100L26latrd_lower_updateA_kernelIdPdEEviiT0_iilPT_iil,@function
_ZN9rocsolver6v33100L26latrd_lower_updateA_kernelIdPdEEviiT0_iilPT_iil: ; @_ZN9rocsolver6v33100L26latrd_lower_updateA_kernelIdPdEEviiT0_iilPT_iil
; %bb.0:
	s_clause 0x2
	s_load_b32 s2, s[0:1], 0x44
	s_load_b64 s[22:23], s[0:1], 0x38
	s_load_b64 s[20:21], s[0:1], 0x0
	s_mov_b32 s25, 0
	s_waitcnt lgkmcnt(0)
	s_and_b32 s12, s2, 0xffff
	s_sub_i32 s20, s20, s21
	v_cvt_f32_u32_e32 v1, s12
	s_sub_i32 s4, 0, s12
	s_add_i32 s5, s20, -1
	s_delay_alu instid0(SALU_CYCLE_1) | instskip(NEXT) | instid1(VALU_DEP_1)
	s_abs_i32 s6, s5
	v_rcp_iflag_f32_e32 v1, v1
	s_ashr_i32 s5, s5, 31
	s_waitcnt_depctr 0xfff
	v_mul_f32_e32 v1, 0x4f7ffffe, v1
	s_delay_alu instid0(VALU_DEP_1) | instskip(NEXT) | instid1(VALU_DEP_1)
	v_cvt_u32_f32_e32 v1, v1
	v_readfirstlane_b32 s3, v1
	s_delay_alu instid0(VALU_DEP_1) | instskip(NEXT) | instid1(SALU_CYCLE_1)
	s_mul_i32 s4, s4, s3
	s_mul_hi_u32 s4, s3, s4
	s_delay_alu instid0(SALU_CYCLE_1) | instskip(NEXT) | instid1(SALU_CYCLE_1)
	s_add_i32 s3, s3, s4
	s_mul_hi_u32 s3, s6, s3
	s_delay_alu instid0(SALU_CYCLE_1) | instskip(NEXT) | instid1(SALU_CYCLE_1)
	s_mul_i32 s4, s3, s12
	s_sub_i32 s4, s6, s4
	s_add_i32 s6, s3, 1
	s_sub_i32 s7, s4, s12
	s_cmp_ge_u32 s4, s12
	s_cselect_b32 s3, s6, s3
	s_cselect_b32 s4, s7, s4
	s_add_i32 s6, s3, 1
	s_cmp_ge_u32 s4, s12
	s_cselect_b32 s3, s6, s3
	s_abs_i32 s4, s22
	s_xor_b32 s3, s3, s5
	v_cvt_f32_u32_e32 v1, s4
	s_sub_i32 s7, 0, s4
	s_sub_i32 s3, s3, s5
	s_delay_alu instid0(VALU_DEP_1) | instskip(SKIP_2) | instid1(VALU_DEP_1)
	v_rcp_iflag_f32_e32 v1, v1
	s_waitcnt_depctr 0xfff
	v_mul_f32_e32 v1, 0x4f7ffffe, v1
	v_cvt_u32_f32_e32 v1, v1
	s_delay_alu instid0(VALU_DEP_1) | instskip(NEXT) | instid1(VALU_DEP_1)
	v_readfirstlane_b32 s6, v1
	s_mul_i32 s7, s7, s6
	s_delay_alu instid0(SALU_CYCLE_1)
	s_mul_hi_u32 s5, s6, s7
	s_abs_i32 s7, s3
	s_add_i32 s6, s6, s5
	s_xor_b32 s3, s3, s22
	s_mul_hi_u32 s5, s7, s6
	s_ashr_i32 s3, s3, 31
	s_mul_i32 s6, s5, s4
	s_delay_alu instid0(SALU_CYCLE_1)
	s_sub_i32 s6, s7, s6
	s_add_i32 s7, s5, 1
	s_sub_i32 s8, s6, s4
	s_cmp_ge_u32 s6, s4
	s_cselect_b32 s5, s7, s5
	s_cselect_b32 s6, s8, s6
	s_add_i32 s7, s5, 1
	s_cmp_ge_u32 s6, s4
	s_cselect_b32 s4, s7, s5
	s_delay_alu instid0(SALU_CYCLE_1) | instskip(NEXT) | instid1(SALU_CYCLE_1)
	s_xor_b32 s4, s4, s3
	s_sub_i32 s24, s4, s3
	s_delay_alu instid0(SALU_CYCLE_1)
	s_cmp_lt_i32 s24, 0
	s_cbranch_scc1 .LBB73_20
; %bb.1:
	s_clause 0x1
	s_load_b256 s[4:11], s[0:1], 0x8
	s_load_b128 s[16:19], s[0:1], 0x28
	s_lshr_b32 s26, s2, 16
	s_ashr_i32 s27, s15, 31
	v_cvt_f32_u32_e32 v1, s26
	s_delay_alu instid0(VALU_DEP_1)
	v_rcp_iflag_f32_e32 v1, v1
	s_waitcnt_depctr 0xfff
	v_mul_f32_e32 v1, 0x4f7ffffe, v1
	s_waitcnt lgkmcnt(0)
	s_mul_i32 s2, s15, s9
	s_mul_hi_u32 s3, s15, s8
	s_ashr_i32 s1, s6, 31
	s_mov_b32 s0, s6
	s_mul_i32 s6, s27, s8
	s_add_i32 s3, s3, s2
	s_mul_i32 s2, s15, s8
	s_add_i32 s3, s3, s6
	s_mul_i32 s6, s15, s19
	s_lshl_b64 s[2:3], s[2:3], 3
	s_mul_hi_u32 s8, s15, s18
	s_add_u32 s2, s4, s2
	s_addc_u32 s3, s5, s3
	s_lshl_b64 s[0:1], s[0:1], 3
	s_mul_i32 s27, s27, s18
	s_add_u32 s9, s2, s0
	s_addc_u32 s19, s3, s1
	s_add_i32 s1, s8, s6
	s_mul_i32 s0, s15, s18
	s_add_i32 s1, s1, s27
	s_mov_b32 s2, s16
	s_lshl_b64 s[0:1], s[0:1], 3
	s_ashr_i32 s3, s16, 31
	s_add_u32 s4, s10, s0
	s_addc_u32 s5, s11, s1
	s_lshl_b64 s[0:1], s[2:3], 3
	v_cvt_u32_f32_e32 v1, v1
	s_add_u32 s10, s4, s0
	s_addc_u32 s11, s5, s1
	s_ashr_i32 s1, s21, 31
	s_ashr_i32 s0, s7, 31
	s_add_u32 s2, s7, 1
	s_addc_u32 s0, s0, 0
	s_mul_i32 s3, s2, s1
	s_mul_hi_u32 s4, s2, s21
	s_mul_i32 s0, s0, s21
	s_add_i32 s3, s4, s3
	s_mul_i32 s2, s2, s21
	s_add_i32 s3, s3, s0
	s_mov_b32 s0, s21
	s_lshl_b64 s[2:3], s[2:3], 3
	s_mul_i32 s18, s22, s12
	s_add_u32 s4, s9, s2
	s_addc_u32 s5, s19, s3
	s_lshl_b64 s[0:1], s[0:1], 3
	v_readfirstlane_b32 s2, v1
	s_add_u32 s6, s9, s0
	s_addc_u32 s8, s19, s1
	s_add_u32 s9, s10, s0
	s_addc_u32 s10, s11, s1
	s_sub_i32 s0, 0, s26
	s_add_i32 s1, s21, -1
	s_mul_i32 s0, s0, s2
	s_abs_i32 s3, s1
	s_mul_hi_u32 s0, s2, s0
	s_ashr_i32 s1, s1, 31
	s_add_i32 s2, s2, s0
	s_delay_alu instid0(SALU_CYCLE_1) | instskip(NEXT) | instid1(SALU_CYCLE_1)
	s_mul_hi_u32 s0, s3, s2
	s_mul_i32 s2, s0, s26
	s_delay_alu instid0(SALU_CYCLE_1)
	s_sub_i32 s2, s3, s2
	s_add_i32 s3, s0, 1
	s_sub_i32 s11, s2, s26
	s_cmp_ge_u32 s2, s26
	s_cselect_b32 s0, s3, s0
	s_cselect_b32 s2, s11, s2
	s_add_i32 s3, s0, 1
	s_cmp_ge_u32 s2, s26
	s_mul_i32 s11, s23, s26
	s_cselect_b32 s0, s3, s0
	s_abs_i32 s2, s23
	s_xor_b32 s0, s0, s1
	v_cvt_f32_u32_e32 v1, s2
	s_sub_i32 s0, s0, s1
	s_delay_alu instid0(VALU_DEP_1) | instskip(SKIP_2) | instid1(VALU_DEP_1)
	v_rcp_iflag_f32_e32 v1, v1
	s_waitcnt_depctr 0xfff
	v_mul_f32_e32 v1, 0x4f7ffffe, v1
	v_cvt_u32_f32_e32 v2, v1
	v_bfe_u32 v1, v0, 10, 10
	v_and_b32_e32 v0, 0x3ff, v0
	s_delay_alu instid0(VALU_DEP_3) | instskip(NEXT) | instid1(VALU_DEP_3)
	v_readfirstlane_b32 s3, v2
	v_mad_u64_u32 v[2:3], null, s14, s26, v[1:2]
	s_sub_i32 s14, 0, s2
	v_mul_u32_u24_e32 v5, s12, v1
	s_delay_alu instid0(VALU_DEP_3)
	s_mul_i32 s14, s14, s3
	v_lshl_add_u32 v15, v0, 3, 0
	s_mul_hi_u32 s1, s3, s14
	s_abs_i32 s14, s0
	s_add_i32 s3, s3, s1
	s_xor_b32 s0, s0, s23
	s_mul_hi_u32 s1, s14, s3
	s_ashr_i32 s15, s0, 31
	s_mul_i32 s3, s1, s2
	v_mad_u64_u32 v[3:4], null, s13, s12, v[0:1]
	s_sub_i32 s3, s14, s3
	s_add_i32 s14, s1, 1
	s_sub_i32 s16, s3, s2
	s_cmp_ge_u32 s3, s2
	v_mul_lo_u32 v17, s7, v2
	s_cselect_b32 s1, s14, s1
	s_cselect_b32 s3, s16, s3
	s_add_i32 s14, s1, 1
	s_cmp_ge_u32 s3, s2
	v_mul_lo_u32 v18, s17, v2
	s_cselect_b32 s1, s14, s1
	v_cmp_eq_u32_e64 s0, 0, v1
	s_xor_b32 s2, s1, s15
	v_lshl_add_u32 v16, v5, 3, v15
	s_sub_i32 s15, s2, s15
	v_cmp_eq_u32_e64 s1, 0, v2
	v_cmp_gt_u16_e64 s16, s26, 1
	s_cmp_gt_i32 s15, -1
	s_mul_i32 s7, s11, s7
	s_cselect_b32 s14, -1, 0
	s_add_i32 s15, s15, 1
	s_mul_i32 s17, s11, s17
	s_branch .LBB73_3
.LBB73_2:                               ;   in Loop: Header=BB73_3 Depth=1
	s_or_b32 exec_lo, exec_lo, s2
	v_add_nc_u32_e32 v3, s18, v3
	s_add_i32 s2, s25, 1
	s_cmp_eq_u32 s25, s24
	s_mov_b32 s25, s2
	s_cbranch_scc1 .LBB73_20
.LBB73_3:                               ; =>This Loop Header: Depth=1
                                        ;     Child Loop BB73_12 Depth 2
                                        ;     Child Loop BB73_9 Depth 2
	s_mul_i32 s2, s25, s22
	v_mov_b32_e32 v6, 0
	s_add_i32 s2, s2, s13
	v_mov_b32_e32 v7, 0
	v_mad_u64_u32 v[4:5], null, s2, s12, v[0:1]
	s_delay_alu instid0(VALU_DEP_1) | instskip(SKIP_1) | instid1(VALU_DEP_2)
	v_cmp_gt_i32_e64 s2, s20, v4
	v_ashrrev_i32_e32 v5, 31, v4
	s_and_b32 s19, s1, s2
	s_delay_alu instid0(SALU_CYCLE_1)
	s_and_saveexec_b32 s3, s19
	s_cbranch_execz .LBB73_5
; %bb.4:                                ;   in Loop: Header=BB73_3 Depth=1
	s_delay_alu instid0(VALU_DEP_1) | instskip(NEXT) | instid1(VALU_DEP_1)
	v_lshlrev_b64 v[6:7], 3, v[4:5]
	v_add_co_u32 v6, vcc_lo, s4, v6
	s_delay_alu instid0(VALU_DEP_2)
	v_add_co_ci_u32_e32 v7, vcc_lo, s5, v7, vcc_lo
	global_load_b64 v[6:7], v[6:7], off
.LBB73_5:                               ;   in Loop: Header=BB73_3 Depth=1
	s_or_b32 exec_lo, exec_lo, s3
	v_dual_mov_b32 v19, v2 :: v_dual_mov_b32 v10, v17
	v_mov_b32_e32 v8, v18
	s_and_not1_b32 vcc_lo, exec_lo, s14
	s_mov_b32 s19, s15
	s_cbranch_vccz .LBB73_12
.LBB73_6:                               ;   in Loop: Header=BB73_3 Depth=1
	s_and_not1_b32 vcc_lo, exec_lo, s16
	s_mov_b32 s3, s26
	s_waitcnt vmcnt(0)
	ds_store_b64 v16, v[6:7]
	s_waitcnt lgkmcnt(0)
	s_waitcnt_vscnt null, 0x0
	s_barrier
	buffer_gl0_inv
	s_cbranch_vccnz .LBB73_18
	.p2align	6
; %bb.7:                                ;   in Loop: Header=BB73_3 Depth=1
	s_lshr_b32 s19, s3, 1
	s_mov_b32 s23, exec_lo
	v_cmpx_gt_u32_e64 s19, v1
	s_cbranch_execz .LBB73_9
.LBB73_8:                               ;   in Loop: Header=BB73_3 Depth=1
	v_add_nc_u32_e32 v8, s19, v1
	s_delay_alu instid0(VALU_DEP_1) | instskip(NEXT) | instid1(VALU_DEP_1)
	v_mul_u32_u24_e32 v8, s12, v8
	v_lshl_add_u32 v8, v8, 3, v15
	ds_load_b64 v[8:9], v8
	s_waitcnt lgkmcnt(0)
	v_add_f64 v[6:7], v[6:7], v[8:9]
	ds_store_b64 v16, v[6:7]
.LBB73_9:                               ;   Parent Loop BB73_3 Depth=1
                                        ; =>  This Inner Loop Header: Depth=2
	s_or_b32 exec_lo, exec_lo, s23
	s_cmp_lt_u32 s3, 4
	s_waitcnt lgkmcnt(0)
	s_barrier
	buffer_gl0_inv
	s_cbranch_scc1 .LBB73_18
; %bb.10:                               ;   in Loop: Header=BB73_9 Depth=2
	s_mov_b32 s3, s19
	s_delay_alu instid0(SALU_CYCLE_1)
	s_lshr_b32 s19, s3, 1
	s_mov_b32 s23, exec_lo
	v_cmpx_gt_u32_e64 s19, v1
	s_cbranch_execnz .LBB73_8
	s_branch .LBB73_9
.LBB73_11:                              ;   in Loop: Header=BB73_12 Depth=2
	s_or_b32 exec_lo, exec_lo, s3
	v_add_nc_u32_e32 v10, s7, v10
	v_add_nc_u32_e32 v8, s17, v8
	;; [unrolled: 1-line block ×3, first 2 shown]
	s_add_i32 s19, s19, -1
	s_delay_alu instid0(SALU_CYCLE_1)
	s_cmp_eq_u32 s19, 0
	s_cbranch_scc1 .LBB73_6
.LBB73_12:                              ;   Parent Loop BB73_3 Depth=1
                                        ; =>  This Inner Loop Header: Depth=2
	s_waitcnt vmcnt(0)
	v_mov_b32_e32 v11, 0
	v_mov_b32_e32 v12, 0
	v_cmp_gt_i32_e32 vcc_lo, s21, v19
	s_delay_alu instid0(VALU_DEP_2)
	v_dual_mov_b32 v14, v12 :: v_dual_mov_b32 v13, v11
	s_and_saveexec_b32 s23, vcc_lo
	s_cbranch_execnz .LBB73_15
; %bb.13:                               ;   in Loop: Header=BB73_12 Depth=2
	s_or_b32 exec_lo, exec_lo, s23
	s_and_saveexec_b32 s23, vcc_lo
	s_cbranch_execnz .LBB73_16
.LBB73_14:                              ;   in Loop: Header=BB73_12 Depth=2
	s_or_b32 exec_lo, exec_lo, s23
	s_and_b32 s23, s2, vcc_lo
	s_delay_alu instid0(SALU_CYCLE_1)
	s_and_saveexec_b32 s3, s23
	s_cbranch_execz .LBB73_11
	s_branch .LBB73_17
.LBB73_15:                              ;   in Loop: Header=BB73_12 Depth=2
	v_ashrrev_i32_e32 v9, 31, v8
	s_delay_alu instid0(VALU_DEP_1) | instskip(NEXT) | instid1(VALU_DEP_1)
	v_lshlrev_b64 v[13:14], 3, v[8:9]
	v_add_co_u32 v13, s3, s9, v13
	s_delay_alu instid0(VALU_DEP_1)
	v_add_co_ci_u32_e64 v14, s3, s10, v14, s3
	global_load_b64 v[13:14], v[13:14], off
	s_or_b32 exec_lo, exec_lo, s23
	s_and_saveexec_b32 s23, vcc_lo
	s_cbranch_execz .LBB73_14
.LBB73_16:                              ;   in Loop: Header=BB73_12 Depth=2
	v_ashrrev_i32_e32 v11, 31, v10
	s_delay_alu instid0(VALU_DEP_1) | instskip(NEXT) | instid1(VALU_DEP_1)
	v_lshlrev_b64 v[11:12], 3, v[10:11]
	v_add_co_u32 v11, s3, s6, v11
	s_delay_alu instid0(VALU_DEP_1) | instskip(SKIP_3) | instid1(SALU_CYCLE_1)
	v_add_co_ci_u32_e64 v12, s3, s8, v12, s3
	global_load_b64 v[11:12], v[11:12], off
	s_or_b32 exec_lo, exec_lo, s23
	s_and_b32 s23, s2, vcc_lo
	s_and_saveexec_b32 s3, s23
	s_cbranch_execz .LBB73_11
.LBB73_17:                              ;   in Loop: Header=BB73_12 Depth=2
	v_add_nc_u32_e32 v20, v3, v8
	v_add_nc_u32_e32 v22, v3, v10
	s_delay_alu instid0(VALU_DEP_2) | instskip(NEXT) | instid1(VALU_DEP_2)
	v_ashrrev_i32_e32 v21, 31, v20
	v_ashrrev_i32_e32 v23, 31, v22
	s_delay_alu instid0(VALU_DEP_2) | instskip(NEXT) | instid1(VALU_DEP_2)
	v_lshlrev_b64 v[20:21], 3, v[20:21]
	v_lshlrev_b64 v[22:23], 3, v[22:23]
	s_delay_alu instid0(VALU_DEP_2) | instskip(NEXT) | instid1(VALU_DEP_3)
	v_add_co_u32 v20, vcc_lo, s9, v20
	v_add_co_ci_u32_e32 v21, vcc_lo, s10, v21, vcc_lo
	s_delay_alu instid0(VALU_DEP_3) | instskip(NEXT) | instid1(VALU_DEP_4)
	v_add_co_u32 v22, vcc_lo, s6, v22
	v_add_co_ci_u32_e32 v23, vcc_lo, s8, v23, vcc_lo
	global_load_b64 v[20:21], v[20:21], off
	global_load_b64 v[22:23], v[22:23], off
	s_waitcnt vmcnt(1)
	v_mul_f64 v[11:12], v[11:12], v[20:21]
	s_waitcnt vmcnt(0)
	s_delay_alu instid0(VALU_DEP_1) | instskip(NEXT) | instid1(VALU_DEP_1)
	v_fma_f64 v[11:12], v[13:14], v[22:23], v[11:12]
	v_add_f64 v[6:7], v[6:7], -v[11:12]
	s_branch .LBB73_11
.LBB73_18:                              ;   in Loop: Header=BB73_3 Depth=1
	s_and_b32 s3, s0, s2
	s_delay_alu instid0(SALU_CYCLE_1)
	s_and_saveexec_b32 s2, s3
	s_cbranch_execz .LBB73_2
; %bb.19:                               ;   in Loop: Header=BB73_3 Depth=1
	v_lshlrev_b64 v[4:5], 3, v[4:5]
	s_delay_alu instid0(VALU_DEP_1) | instskip(NEXT) | instid1(VALU_DEP_2)
	v_add_co_u32 v4, vcc_lo, s4, v4
	v_add_co_ci_u32_e32 v5, vcc_lo, s5, v5, vcc_lo
	global_store_b64 v[4:5], v[6:7], off
	s_branch .LBB73_2
.LBB73_20:
	s_nop 0
	s_sendmsg sendmsg(MSG_DEALLOC_VGPRS)
	s_endpgm
	.section	.rodata,"a",@progbits
	.p2align	6, 0x0
	.amdhsa_kernel _ZN9rocsolver6v33100L26latrd_lower_updateA_kernelIdPdEEviiT0_iilPT_iil
		.amdhsa_group_segment_fixed_size 0
		.amdhsa_private_segment_fixed_size 0
		.amdhsa_kernarg_size 312
		.amdhsa_user_sgpr_count 13
		.amdhsa_user_sgpr_dispatch_ptr 0
		.amdhsa_user_sgpr_queue_ptr 0
		.amdhsa_user_sgpr_kernarg_segment_ptr 1
		.amdhsa_user_sgpr_dispatch_id 0
		.amdhsa_user_sgpr_private_segment_size 0
		.amdhsa_wavefront_size32 1
		.amdhsa_uses_dynamic_stack 0
		.amdhsa_enable_private_segment 0
		.amdhsa_system_sgpr_workgroup_id_x 1
		.amdhsa_system_sgpr_workgroup_id_y 1
		.amdhsa_system_sgpr_workgroup_id_z 1
		.amdhsa_system_sgpr_workgroup_info 0
		.amdhsa_system_vgpr_workitem_id 1
		.amdhsa_next_free_vgpr 24
		.amdhsa_next_free_sgpr 28
		.amdhsa_reserve_vcc 1
		.amdhsa_float_round_mode_32 0
		.amdhsa_float_round_mode_16_64 0
		.amdhsa_float_denorm_mode_32 3
		.amdhsa_float_denorm_mode_16_64 3
		.amdhsa_dx10_clamp 1
		.amdhsa_ieee_mode 1
		.amdhsa_fp16_overflow 0
		.amdhsa_workgroup_processor_mode 1
		.amdhsa_memory_ordered 1
		.amdhsa_forward_progress 0
		.amdhsa_shared_vgpr_count 0
		.amdhsa_exception_fp_ieee_invalid_op 0
		.amdhsa_exception_fp_denorm_src 0
		.amdhsa_exception_fp_ieee_div_zero 0
		.amdhsa_exception_fp_ieee_overflow 0
		.amdhsa_exception_fp_ieee_underflow 0
		.amdhsa_exception_fp_ieee_inexact 0
		.amdhsa_exception_int_div_zero 0
	.end_amdhsa_kernel
	.section	.text._ZN9rocsolver6v33100L26latrd_lower_updateA_kernelIdPdEEviiT0_iilPT_iil,"axG",@progbits,_ZN9rocsolver6v33100L26latrd_lower_updateA_kernelIdPdEEviiT0_iilPT_iil,comdat
.Lfunc_end73:
	.size	_ZN9rocsolver6v33100L26latrd_lower_updateA_kernelIdPdEEviiT0_iilPT_iil, .Lfunc_end73-_ZN9rocsolver6v33100L26latrd_lower_updateA_kernelIdPdEEviiT0_iilPT_iil
                                        ; -- End function
	.section	.AMDGPU.csdata,"",@progbits
; Kernel info:
; codeLenInByte = 1636
; NumSgprs: 30
; NumVgprs: 24
; ScratchSize: 0
; MemoryBound: 0
; FloatMode: 240
; IeeeMode: 1
; LDSByteSize: 0 bytes/workgroup (compile time only)
; SGPRBlocks: 3
; VGPRBlocks: 2
; NumSGPRsForWavesPerEU: 30
; NumVGPRsForWavesPerEU: 24
; Occupancy: 16
; WaveLimiterHint : 0
; COMPUTE_PGM_RSRC2:SCRATCH_EN: 0
; COMPUTE_PGM_RSRC2:USER_SGPR: 13
; COMPUTE_PGM_RSRC2:TRAP_HANDLER: 0
; COMPUTE_PGM_RSRC2:TGID_X_EN: 1
; COMPUTE_PGM_RSRC2:TGID_Y_EN: 1
; COMPUTE_PGM_RSRC2:TGID_Z_EN: 1
; COMPUTE_PGM_RSRC2:TIDIG_COMP_CNT: 1
	.section	.text._ZN9rocsolver6v33100L33latrd_lower_computeW_gemvt_kernelILi256EdPdEEviiT1_iilPT0_iilS5_iilS5_l,"axG",@progbits,_ZN9rocsolver6v33100L33latrd_lower_computeW_gemvt_kernelILi256EdPdEEviiT1_iilPT0_iilS5_iilS5_l,comdat
	.globl	_ZN9rocsolver6v33100L33latrd_lower_computeW_gemvt_kernelILi256EdPdEEviiT1_iilPT0_iilS5_iilS5_l ; -- Begin function _ZN9rocsolver6v33100L33latrd_lower_computeW_gemvt_kernelILi256EdPdEEviiT1_iilPT0_iilS5_iilS5_l
	.p2align	8
	.type	_ZN9rocsolver6v33100L33latrd_lower_computeW_gemvt_kernelILi256EdPdEEviiT1_iilPT0_iilS5_iilS5_l,@function
_ZN9rocsolver6v33100L33latrd_lower_computeW_gemvt_kernelILi256EdPdEEviiT1_iilPT0_iilS5_iilS5_l: ; @_ZN9rocsolver6v33100L33latrd_lower_computeW_gemvt_kernelILi256EdPdEEviiT1_iilPT0_iilS5_iilS5_l
; %bb.0:
	s_clause 0x1
	s_load_b64 s[24:25], s[0:1], 0x0
	s_load_b128 s[16:19], s[0:1], 0x30
	s_ashr_i32 s27, s15, 31
	s_waitcnt lgkmcnt(0)
	s_cmp_lt_i32 s14, s25
	s_cselect_b32 s26, -1, 0
	s_delay_alu instid0(SALU_CYCLE_1) | instskip(SKIP_1) | instid1(SALU_CYCLE_1)
	s_and_b32 s2, s26, exec_lo
	s_cselect_b32 s2, 0, s25
	s_sub_i32 s2, s14, s2
	s_delay_alu instid0(SALU_CYCLE_1)
	s_ashr_i32 s3, s2, 31
	s_cmp_eq_u32 s2, s25
	s_cbranch_scc1 .LBB74_12
; %bb.1:
	s_clause 0x1
	s_load_b256 s[4:11], s[0:1], 0x8
	s_load_b64 s[28:29], s[0:1], 0x28
	s_mul_i32 s30, s15, s17
	s_mul_hi_u32 s31, s15, s16
	s_waitcnt lgkmcnt(0)
	s_mul_i32 s9, s15, s9
	s_mul_hi_u32 s12, s15, s8
	s_mul_i32 s13, s27, s8
	s_add_i32 s9, s12, s9
	s_mul_i32 s8, s15, s8
	s_add_i32 s9, s9, s13
	s_ashr_i32 s13, s6, 31
	s_lshl_b64 s[20:21], s[8:9], 3
	s_mov_b32 s12, s6
	s_add_u32 s6, s4, s20
	s_addc_u32 s8, s5, s21
	s_lshl_b64 s[22:23], s[12:13], 3
	s_mul_i32 s9, s27, s16
	s_add_u32 s14, s6, s22
	s_addc_u32 s17, s8, s23
	s_add_i32 s6, s31, s30
	s_mul_i32 s8, s15, s16
	s_add_i32 s9, s6, s9
	s_mov_b32 s12, s28
	s_lshl_b64 s[8:9], s[8:9], 3
	s_ashr_i32 s13, s28, 31
	s_add_u32 s6, s10, s8
	s_addc_u32 s11, s11, s9
	s_lshl_b64 s[8:9], s[12:13], 3
	s_mov_b32 s10, s25
	s_add_u32 s6, s6, s8
	s_addc_u32 s8, s11, s9
	s_not_b32 s16, s25
	s_ashr_i32 s13, s7, 31
	s_add_i32 s16, s16, s24
	s_ashr_i32 s11, s25, 31
	s_and_b32 s9, s26, exec_lo
	v_cmp_gt_i32_e32 vcc_lo, s16, v0
	s_cselect_b32 s12, s8, s17
	s_cselect_b32 s6, s6, s14
	s_lshl_b64 s[8:9], s[10:11], 3
	s_delay_alu instid0(SALU_CYCLE_1) | instskip(SKIP_4) | instid1(SALU_CYCLE_1)
	s_add_u32 s6, s6, s8
	s_addc_u32 s12, s12, s9
	s_and_b32 s24, s26, exec_lo
	v_cndmask_b32_e32 v1, 0, v0, vcc_lo
	s_cselect_b32 s24, s29, s7
	s_mul_hi_i32 s25, s24, s2
	s_mul_i32 s24, s24, s2
	s_delay_alu instid0(VALU_DEP_1)
	v_lshlrev_b32_e32 v3, 3, v1
	s_lshl_b64 s[24:25], s[24:25], 3
	v_mov_b32_e32 v1, 0
	v_mov_b32_e32 v2, 0
	s_add_u32 s6, s24, s6
	s_addc_u32 s12, s25, s12
	s_ashr_i32 s24, s16, 31
	v_add_co_u32 v7, s6, s6, v3
	s_lshr_b32 s24, s24, 24
	v_add_co_ci_u32_e64 v8, null, s12, 0, s6
	s_add_i32 s24, s16, s24
	s_mov_b32 s12, s7
	s_and_b32 s6, s24, 0xffffff00
	s_cmpk_lt_i32 s16, 0x100
	s_cbranch_scc1 .LBB74_4
; %bb.2:
	s_lshl_b64 s[24:25], s[12:13], 3
	v_lshlrev_b32_e32 v1, 3, v0
	s_add_u32 s7, s24, 8
	s_addc_u32 s24, s25, 0
	s_mul_i32 s11, s7, s11
	s_mul_hi_u32 s13, s7, s10
	s_mul_i32 s24, s24, s10
	s_add_i32 s11, s13, s11
	s_mul_i32 s7, s7, s10
	s_add_i32 s11, s11, s24
	s_add_u32 s7, s20, s7
	s_addc_u32 s11, s21, s11
	s_add_u32 s7, s7, s22
	s_addc_u32 s11, s11, s23
	;; [unrolled: 2-line block ×3, first 2 shown]
	v_add_co_u32 v5, s4, s4, v1
	v_add_co_u32 v3, vcc_lo, v7, 8
	v_add_co_ci_u32_e64 v6, null, s5, 0, s4
	v_add_co_ci_u32_e32 v4, vcc_lo, 0, v8, vcc_lo
	s_delay_alu instid0(VALU_DEP_4)
	v_add_co_u32 v5, vcc_lo, v5, 8
	v_mov_b32_e32 v1, 0
	v_mov_b32_e32 v2, 0
	v_add_co_ci_u32_e32 v6, vcc_lo, 0, v6, vcc_lo
	s_mov_b32 s4, 0
	.p2align	6
.LBB74_3:                               ; =>This Inner Loop Header: Depth=1
	global_load_b64 v[9:10], v[3:4], off
	global_load_b64 v[11:12], v[5:6], off
	v_add_co_u32 v5, vcc_lo, 0x800, v5
	v_add_co_ci_u32_e32 v6, vcc_lo, 0, v6, vcc_lo
	v_add_co_u32 v3, vcc_lo, 0x800, v3
	v_add_co_ci_u32_e32 v4, vcc_lo, 0, v4, vcc_lo
	s_addk_i32 s4, 0x100
	s_delay_alu instid0(SALU_CYCLE_1)
	s_cmp_ge_i32 s4, s6
	s_waitcnt vmcnt(0)
	v_fma_f64 v[1:2], v[9:10], v[11:12], v[1:2]
	s_cbranch_scc0 .LBB74_3
.LBB74_4:
	v_add_nc_u32_e32 v3, s6, v0
	s_mov_b32 s4, exec_lo
	s_delay_alu instid0(VALU_DEP_1)
	v_cmpx_gt_i32_e64 s16, v3
	s_cbranch_execz .LBB74_6
; %bb.5:
	s_mul_hi_i32 s11, s12, s10
	s_mul_i32 s10, s12, s10
	v_ashrrev_i32_e32 v4, 31, v3
	s_lshl_b64 s[10:11], s[10:11], 3
	s_delay_alu instid0(SALU_CYCLE_1)
	s_add_u32 s5, s14, s10
	s_addc_u32 s7, s17, s11
	s_add_u32 s5, s5, s8
	s_addc_u32 s8, s7, s9
	s_ashr_i32 s7, s6, 31
	v_lshlrev_b64 v[3:4], 3, v[3:4]
	s_lshl_b64 s[6:7], s[6:7], 3
	s_delay_alu instid0(SALU_CYCLE_1) | instskip(SKIP_1) | instid1(VALU_DEP_3)
	v_add_co_u32 v5, vcc_lo, v7, s6
	v_add_co_ci_u32_e32 v6, vcc_lo, s7, v8, vcc_lo
	v_add_co_u32 v3, vcc_lo, s5, v3
	s_delay_alu instid0(VALU_DEP_4)
	v_add_co_ci_u32_e32 v4, vcc_lo, s8, v4, vcc_lo
	global_load_b64 v[5:6], v[5:6], off offset:8
	global_load_b64 v[3:4], v[3:4], off offset:8
	s_waitcnt vmcnt(0)
	v_fma_f64 v[1:2], v[5:6], v[3:4], v[1:2]
.LBB74_6:
	s_or_b32 exec_lo, exec_lo, s4
	v_mbcnt_lo_u32_b32 v5, -1, 0
	s_mov_b32 s4, 0
	s_mov_b32 s5, exec_lo
	s_delay_alu instid0(VALU_DEP_1) | instskip(SKIP_2) | instid1(VALU_DEP_2)
	v_cmp_ne_u32_e32 vcc_lo, 31, v5
	v_add_co_ci_u32_e32 v3, vcc_lo, 0, v5, vcc_lo
	v_cmp_gt_u32_e32 vcc_lo, 30, v5
	v_lshlrev_b32_e32 v4, 2, v3
	ds_bpermute_b32 v3, v4, v1
	ds_bpermute_b32 v4, v4, v2
	s_waitcnt lgkmcnt(0)
	v_add_f64 v[1:2], v[1:2], v[3:4]
	v_cndmask_b32_e64 v3, 0, 1, vcc_lo
	v_cmp_gt_u32_e32 vcc_lo, 28, v5
	s_delay_alu instid0(VALU_DEP_2) | instskip(NEXT) | instid1(VALU_DEP_1)
	v_lshlrev_b32_e32 v3, 1, v3
	v_add_lshl_u32 v4, v3, v5, 2
	ds_bpermute_b32 v3, v4, v1
	ds_bpermute_b32 v4, v4, v2
	s_waitcnt lgkmcnt(0)
	v_add_f64 v[1:2], v[1:2], v[3:4]
	v_cndmask_b32_e64 v3, 0, 1, vcc_lo
	v_cmp_gt_u32_e32 vcc_lo, 24, v5
	s_delay_alu instid0(VALU_DEP_2) | instskip(NEXT) | instid1(VALU_DEP_1)
	v_lshlrev_b32_e32 v3, 2, v3
	v_add_lshl_u32 v4, v3, v5, 2
	;; [unrolled: 9-line block ×3, first 2 shown]
	ds_bpermute_b32 v3, v4, v1
	ds_bpermute_b32 v4, v4, v2
	s_waitcnt lgkmcnt(0)
	v_add_f64 v[1:2], v[1:2], v[3:4]
	v_cndmask_b32_e64 v3, 0, 1, vcc_lo
	s_delay_alu instid0(VALU_DEP_1) | instskip(NEXT) | instid1(VALU_DEP_1)
	v_lshlrev_b32_e32 v3, 4, v3
	v_add_lshl_u32 v4, v3, v5, 2
	ds_bpermute_b32 v3, v4, v1
	ds_bpermute_b32 v4, v4, v2
	s_waitcnt lgkmcnt(0)
	v_add_f64 v[3:4], v[1:2], v[3:4]
	v_and_b32_e32 v1, 31, v0
	s_delay_alu instid0(VALU_DEP_1)
	v_cmpx_eq_u32_e32 0, v1
	s_cbranch_execz .LBB74_8
; %bb.7:
	v_lshrrev_b32_e32 v1, 2, v0
	ds_store_b64 v1, v[3:4]
.LBB74_8:
	s_or_b32 exec_lo, exec_lo, s5
	v_mov_b32_e32 v1, 0
	v_mov_b32_e32 v2, 0
	s_mov_b32 s5, exec_lo
	s_waitcnt lgkmcnt(0)
	s_barrier
	buffer_gl0_inv
	v_cmpx_eq_u32_e32 0, v0
	s_cbranch_execz .LBB74_10
; %bb.9:
	v_mov_b32_e32 v13, 0
	s_mov_b32 s4, exec_lo
	ds_load_2addr_b64 v[5:8], v13 offset0:1 offset1:2
	ds_load_2addr_b64 v[9:12], v13 offset0:3 offset1:4
	s_waitcnt lgkmcnt(1)
	v_add_f64 v[1:2], v[3:4], v[5:6]
	s_delay_alu instid0(VALU_DEP_1) | instskip(SKIP_1) | instid1(VALU_DEP_1)
	v_add_f64 v[1:2], v[1:2], v[7:8]
	s_waitcnt lgkmcnt(0)
	v_add_f64 v[1:2], v[1:2], v[9:10]
	s_delay_alu instid0(VALU_DEP_1) | instskip(SKIP_4) | instid1(VALU_DEP_1)
	v_add_f64 v[5:6], v[1:2], v[11:12]
	ds_load_2addr_b64 v[1:4], v13 offset0:5 offset1:6
	ds_load_b64 v[7:8], v13 offset:56
	s_waitcnt lgkmcnt(1)
	v_add_f64 v[1:2], v[5:6], v[1:2]
	v_add_f64 v[1:2], v[1:2], v[3:4]
	s_waitcnt lgkmcnt(0)
	s_delay_alu instid0(VALU_DEP_1)
	v_add_f64 v[1:2], v[1:2], v[7:8]
.LBB74_10:
	s_or_b32 exec_lo, exec_lo, s5
	s_and_saveexec_b32 s5, s4
	s_cbranch_execnz .LBB74_13
.LBB74_11:
	s_endpgm
.LBB74_12:
	v_mov_b32_e32 v1, 0
	v_mov_b32_e32 v2, 0
	s_mov_b32 s4, -1
	s_delay_alu instid0(SALU_CYCLE_1)
	s_and_saveexec_b32 s5, s4
	s_cbranch_execz .LBB74_11
.LBB74_13:
	v_cmp_eq_u32_e32 vcc_lo, 0, v0
	s_and_b32 exec_lo, exec_lo, vcc_lo
	s_cbranch_execz .LBB74_11
; %bb.14:
	s_clause 0x2
	s_load_b32 s8, s[0:1], 0x40
	s_load_b64 s[10:11], s[0:1], 0x58
	s_load_b128 s[4:7], s[0:1], 0x48
	v_mov_b32_e32 v0, 0
	s_waitcnt lgkmcnt(0)
	s_ashr_i32 s9, s8, 31
	s_mul_i32 s1, s15, s11
	s_mul_hi_u32 s11, s15, s10
	s_mul_i32 s12, s27, s10
	s_add_i32 s1, s11, s1
	s_mul_i32 s0, s15, s10
	s_add_i32 s1, s1, s12
	s_mul_i32 s5, s15, s5
	s_lshl_b64 s[0:1], s[0:1], 3
	s_mul_hi_u32 s10, s15, s4
	s_add_u32 s6, s6, s0
	s_mul_i32 s11, s27, s4
	s_addc_u32 s7, s7, s1
	s_add_i32 s1, s10, s5
	s_mul_i32 s0, s15, s4
	s_add_i32 s1, s1, s11
	s_delay_alu instid0(SALU_CYCLE_1) | instskip(NEXT) | instid1(SALU_CYCLE_1)
	s_lshl_b64 s[0:1], s[0:1], 3
	s_add_u32 s4, s18, s0
	s_addc_u32 s5, s19, s1
	s_lshl_b64 s[0:1], s[8:9], 3
	s_delay_alu instid0(SALU_CYCLE_1)
	s_add_u32 s0, s4, s0
	s_addc_u32 s1, s5, s1
	s_and_b32 s4, s26, exec_lo
	s_cselect_b32 s4, s7, s1
	s_cselect_b32 s5, s6, s0
	s_lshl_b64 s[0:1], s[2:3], 3
	s_delay_alu instid0(SALU_CYCLE_1)
	s_add_u32 s0, s5, s0
	s_addc_u32 s1, s4, s1
	global_store_b64 v0, v[1:2], s[0:1]
	s_nop 0
	s_sendmsg sendmsg(MSG_DEALLOC_VGPRS)
	s_endpgm
	.section	.rodata,"a",@progbits
	.p2align	6, 0x0
	.amdhsa_kernel _ZN9rocsolver6v33100L33latrd_lower_computeW_gemvt_kernelILi256EdPdEEviiT1_iilPT0_iilS5_iilS5_l
		.amdhsa_group_segment_fixed_size 2048
		.amdhsa_private_segment_fixed_size 0
		.amdhsa_kernarg_size 96
		.amdhsa_user_sgpr_count 14
		.amdhsa_user_sgpr_dispatch_ptr 0
		.amdhsa_user_sgpr_queue_ptr 0
		.amdhsa_user_sgpr_kernarg_segment_ptr 1
		.amdhsa_user_sgpr_dispatch_id 0
		.amdhsa_user_sgpr_private_segment_size 0
		.amdhsa_wavefront_size32 1
		.amdhsa_uses_dynamic_stack 0
		.amdhsa_enable_private_segment 0
		.amdhsa_system_sgpr_workgroup_id_x 1
		.amdhsa_system_sgpr_workgroup_id_y 0
		.amdhsa_system_sgpr_workgroup_id_z 1
		.amdhsa_system_sgpr_workgroup_info 0
		.amdhsa_system_vgpr_workitem_id 0
		.amdhsa_next_free_vgpr 14
		.amdhsa_next_free_sgpr 32
		.amdhsa_reserve_vcc 1
		.amdhsa_float_round_mode_32 0
		.amdhsa_float_round_mode_16_64 0
		.amdhsa_float_denorm_mode_32 3
		.amdhsa_float_denorm_mode_16_64 3
		.amdhsa_dx10_clamp 1
		.amdhsa_ieee_mode 1
		.amdhsa_fp16_overflow 0
		.amdhsa_workgroup_processor_mode 1
		.amdhsa_memory_ordered 1
		.amdhsa_forward_progress 0
		.amdhsa_shared_vgpr_count 0
		.amdhsa_exception_fp_ieee_invalid_op 0
		.amdhsa_exception_fp_denorm_src 0
		.amdhsa_exception_fp_ieee_div_zero 0
		.amdhsa_exception_fp_ieee_overflow 0
		.amdhsa_exception_fp_ieee_underflow 0
		.amdhsa_exception_fp_ieee_inexact 0
		.amdhsa_exception_int_div_zero 0
	.end_amdhsa_kernel
	.section	.text._ZN9rocsolver6v33100L33latrd_lower_computeW_gemvt_kernelILi256EdPdEEviiT1_iilPT0_iilS5_iilS5_l,"axG",@progbits,_ZN9rocsolver6v33100L33latrd_lower_computeW_gemvt_kernelILi256EdPdEEviiT1_iilPT0_iilS5_iilS5_l,comdat
.Lfunc_end74:
	.size	_ZN9rocsolver6v33100L33latrd_lower_computeW_gemvt_kernelILi256EdPdEEviiT1_iilPT0_iilS5_iilS5_l, .Lfunc_end74-_ZN9rocsolver6v33100L33latrd_lower_computeW_gemvt_kernelILi256EdPdEEviiT1_iilPT0_iilS5_iilS5_l
                                        ; -- End function
	.section	.AMDGPU.csdata,"",@progbits
; Kernel info:
; codeLenInByte = 1396
; NumSgprs: 34
; NumVgprs: 14
; ScratchSize: 0
; MemoryBound: 0
; FloatMode: 240
; IeeeMode: 1
; LDSByteSize: 2048 bytes/workgroup (compile time only)
; SGPRBlocks: 4
; VGPRBlocks: 1
; NumSGPRsForWavesPerEU: 34
; NumVGPRsForWavesPerEU: 14
; Occupancy: 16
; WaveLimiterHint : 0
; COMPUTE_PGM_RSRC2:SCRATCH_EN: 0
; COMPUTE_PGM_RSRC2:USER_SGPR: 14
; COMPUTE_PGM_RSRC2:TRAP_HANDLER: 0
; COMPUTE_PGM_RSRC2:TGID_X_EN: 1
; COMPUTE_PGM_RSRC2:TGID_Y_EN: 0
; COMPUTE_PGM_RSRC2:TGID_Z_EN: 1
; COMPUTE_PGM_RSRC2:TIDIG_COMP_CNT: 0
	.section	.text._ZN9rocsolver6v33100L26latrd_lower_updateW_kernelIdPdEEviiT0_iilPT_iilS5_lS5_l,"axG",@progbits,_ZN9rocsolver6v33100L26latrd_lower_updateW_kernelIdPdEEviiT0_iilPT_iilS5_lS5_l,comdat
	.globl	_ZN9rocsolver6v33100L26latrd_lower_updateW_kernelIdPdEEviiT0_iilPT_iilS5_lS5_l ; -- Begin function _ZN9rocsolver6v33100L26latrd_lower_updateW_kernelIdPdEEviiT0_iilPT_iilS5_lS5_l
	.p2align	8
	.type	_ZN9rocsolver6v33100L26latrd_lower_updateW_kernelIdPdEEviiT0_iilPT_iilS5_lS5_l,@function
_ZN9rocsolver6v33100L26latrd_lower_updateW_kernelIdPdEEviiT0_iilPT_iilS5_lS5_l: ; @_ZN9rocsolver6v33100L26latrd_lower_updateW_kernelIdPdEEviiT0_iilPT_iilS5_lS5_l
; %bb.0:
	s_clause 0x2
	s_load_b32 s30, s[0:1], 0x64
	s_load_b64 s[26:27], s[0:1], 0x58
	s_load_b64 s[24:25], s[0:1], 0x0
	s_mov_b32 s29, 0
	s_waitcnt lgkmcnt(0)
	s_and_b32 s12, s30, 0xffff
	s_not_b32 s3, s25
	v_cvt_f32_u32_e32 v1, s12
	s_sub_i32 s4, 0, s12
	s_add_i32 s24, s3, s24
	s_delay_alu instid0(SALU_CYCLE_1) | instskip(NEXT) | instid1(VALU_DEP_1)
	s_add_i32 s3, s24, -1
	v_rcp_iflag_f32_e32 v1, v1
	s_abs_i32 s5, s3
	s_ashr_i32 s3, s3, 31
	s_waitcnt_depctr 0xfff
	v_mul_f32_e32 v1, 0x4f7ffffe, v1
	s_delay_alu instid0(VALU_DEP_1) | instskip(NEXT) | instid1(VALU_DEP_1)
	v_cvt_u32_f32_e32 v1, v1
	v_readfirstlane_b32 s2, v1
	s_delay_alu instid0(VALU_DEP_1) | instskip(NEXT) | instid1(SALU_CYCLE_1)
	s_mul_i32 s4, s4, s2
	s_mul_hi_u32 s4, s2, s4
	s_delay_alu instid0(SALU_CYCLE_1) | instskip(NEXT) | instid1(SALU_CYCLE_1)
	s_add_i32 s2, s2, s4
	s_mul_hi_u32 s2, s5, s2
	s_delay_alu instid0(SALU_CYCLE_1) | instskip(NEXT) | instid1(SALU_CYCLE_1)
	s_mul_i32 s4, s2, s12
	s_sub_i32 s4, s5, s4
	s_add_i32 s5, s2, 1
	s_sub_i32 s6, s4, s12
	s_cmp_ge_u32 s4, s12
	s_cselect_b32 s2, s5, s2
	s_cselect_b32 s4, s6, s4
	s_add_i32 s5, s2, 1
	s_cmp_ge_u32 s4, s12
	s_cselect_b32 s2, s5, s2
	s_abs_i32 s4, s26
	s_xor_b32 s2, s2, s3
	v_cvt_f32_u32_e32 v1, s4
	s_sub_i32 s6, 0, s4
	s_sub_i32 s2, s2, s3
	s_delay_alu instid0(VALU_DEP_1) | instskip(SKIP_2) | instid1(VALU_DEP_1)
	v_rcp_iflag_f32_e32 v1, v1
	s_waitcnt_depctr 0xfff
	v_mul_f32_e32 v1, 0x4f7ffffe, v1
	v_cvt_u32_f32_e32 v1, v1
	s_delay_alu instid0(VALU_DEP_1) | instskip(NEXT) | instid1(VALU_DEP_1)
	v_readfirstlane_b32 s5, v1
	s_mul_i32 s6, s6, s5
	s_delay_alu instid0(SALU_CYCLE_1)
	s_mul_hi_u32 s3, s5, s6
	s_abs_i32 s6, s2
	s_add_i32 s5, s5, s3
	s_xor_b32 s2, s2, s26
	s_mul_hi_u32 s3, s6, s5
	s_ashr_i32 s2, s2, 31
	s_mul_i32 s5, s3, s4
	s_delay_alu instid0(SALU_CYCLE_1)
	s_sub_i32 s5, s6, s5
	s_add_i32 s6, s3, 1
	s_sub_i32 s7, s5, s4
	s_cmp_ge_u32 s5, s4
	s_cselect_b32 s3, s6, s3
	s_cselect_b32 s5, s7, s5
	s_add_i32 s6, s3, 1
	s_cmp_ge_u32 s5, s4
	s_cselect_b32 s3, s6, s3
	s_delay_alu instid0(SALU_CYCLE_1) | instskip(NEXT) | instid1(SALU_CYCLE_1)
	s_xor_b32 s3, s3, s2
	s_sub_i32 s28, s3, s2
	s_delay_alu instid0(SALU_CYCLE_1)
	s_cmp_lt_i32 s28, 0
	s_cbranch_scc1 .LBB75_20
; %bb.1:
	s_clause 0x2
	s_load_b256 s[4:11], s[0:1], 0x8
	s_load_b64 s[2:3], s[0:1], 0x28
	s_load_b256 s[16:23], s[0:1], 0x30
	s_ashr_i32 s31, s15, 31
	s_lshr_b32 s30, s30, 16
	s_load_b64 s[0:1], s[0:1], 0x50
	v_cvt_f32_u32_e32 v1, s30
	v_mov_b32_e32 v17, 0
	s_delay_alu instid0(VALU_DEP_2)
	v_rcp_iflag_f32_e32 v1, v1
	s_waitcnt lgkmcnt(0)
	s_ashr_i32 s35, s6, 31
	s_mov_b32 s34, s6
	s_mul_i32 s6, s15, s9
	s_mul_hi_u32 s9, s15, s8
	s_mul_i32 s33, s31, s8
	s_add_i32 s6, s9, s6
	s_mul_i32 s8, s15, s8
	s_add_i32 s9, s6, s33
	s_mul_i32 s17, s15, s17
	s_lshl_b64 s[8:9], s[8:9], 3
	s_mul_hi_u32 s37, s15, s16
	s_add_u32 s8, s4, s8
	s_addc_u32 s9, s5, s9
	s_lshl_b64 s[4:5], s[34:35], 3
	s_mul_i32 s6, s31, s16
	s_add_u32 s33, s8, s4
	s_addc_u32 s34, s9, s5
	s_add_i32 s4, s37, s17
	s_mul_i32 s16, s15, s16
	s_add_i32 s17, s4, s6
	s_mov_b32 s36, s2
	s_lshl_b64 s[4:5], s[16:17], 3
	s_ashr_i32 s37, s2, 31
	s_add_u32 s2, s10, s4
	s_addc_u32 s10, s11, s5
	s_lshl_b64 s[4:5], s[36:37], 3
	s_mul_i32 s21, s15, s21
	s_mul_hi_u32 s9, s15, s20
	s_add_u32 s2, s2, s4
	s_mul_i32 s6, s31, s20
	s_addc_u32 s11, s10, s5
	s_add_i32 s4, s9, s21
	s_mul_i32 s8, s15, s20
	s_add_i32 s9, s4, s6
	s_mul_i32 s1, s15, s1
	s_lshl_b64 s[4:5], s[8:9], 3
	s_mul_hi_u32 s10, s15, s0
	s_add_u32 s6, s18, s4
	s_mul_i32 s31, s31, s0
	s_addc_u32 s8, s19, s5
	s_add_i32 s1, s10, s1
	s_mul_i32 s0, s15, s0
	s_add_i32 s1, s1, s31
	s_mul_hi_i32 s5, s3, s25
	s_lshl_b64 s[0:1], s[0:1], 3
	s_mul_i32 s4, s3, s25
	s_add_u32 s15, s22, s0
	s_addc_u32 s16, s23, s1
	s_lshl_b64 s[4:5], s[4:5], 3
	s_waitcnt_depctr 0xfff
	v_mul_f32_e32 v1, 0x4f7ffffe, v1
	s_ashr_i32 s1, s25, 31
	s_mov_b32 s0, s25
	s_add_u32 s9, s2, s4
	s_addc_u32 s10, s11, s5
	s_lshl_b64 s[0:1], s[0:1], 3
	v_cvt_u32_f32_e32 v1, v1
	s_add_u32 s17, s9, s0
	s_addc_u32 s18, s10, s1
	s_add_u32 s19, s33, s0
	s_addc_u32 s20, s34, s1
	;; [unrolled: 2-line block ×3, first 2 shown]
	v_readfirstlane_b32 s11, v1
	s_add_u32 s4, s15, s0
	s_addc_u32 s5, s16, s1
	s_sub_i32 s0, 0, s30
	s_add_i32 s1, s25, -1
	s_mul_i32 s0, s0, s11
	s_abs_i32 s15, s1
	s_mul_hi_u32 s0, s11, s0
	s_ashr_i32 s1, s1, 31
	s_add_i32 s11, s11, s0
	s_mul_i32 s31, s13, s12
	s_mul_hi_u32 s0, s15, s11
	s_delay_alu instid0(SALU_CYCLE_1) | instskip(NEXT) | instid1(SALU_CYCLE_1)
	s_mul_i32 s11, s0, s30
	s_sub_i32 s11, s15, s11
	s_add_i32 s15, s0, 1
	s_sub_i32 s16, s11, s30
	s_cmp_ge_u32 s11, s30
	s_cselect_b32 s0, s15, s0
	s_cselect_b32 s11, s16, s11
	s_add_i32 s15, s0, 1
	s_cmp_ge_u32 s11, s30
	v_cmp_gt_u16_e64 s16, s30, 1
	s_cselect_b32 s21, s15, s0
	s_abs_i32 s23, s27
	s_xor_b32 s21, s21, s1
	v_cvt_f32_u32_e32 v1, s23
	s_sub_i32 s33, 0, s23
	s_sub_i32 s1, s21, s1
	s_mul_i32 s15, s27, s30
	s_mul_i32 s11, s26, s12
	v_rcp_iflag_f32_e32 v2, v1
	v_and_b32_e32 v1, 0x3ff, v0
	v_bfe_u32 v0, v0, 10, 10
	s_delay_alu instid0(VALU_DEP_2) | instskip(NEXT) | instid1(VALU_DEP_2)
	v_lshl_add_u32 v18, v1, 3, 0
	v_cmp_eq_u32_e64 s0, 0, v0
	s_waitcnt_depctr 0xfff
	v_mul_f32_e32 v2, 0x4f7ffffe, v2
	s_delay_alu instid0(VALU_DEP_1) | instskip(SKIP_2) | instid1(VALU_DEP_3)
	v_cvt_u32_f32_e32 v4, v2
	v_mad_u64_u32 v[2:3], null, s14, s30, v[0:1]
	v_mul_u32_u24_e32 v3, s12, v0
	v_readfirstlane_b32 s14, v4
	s_delay_alu instid0(VALU_DEP_2) | instskip(NEXT) | instid1(VALU_DEP_4)
	v_lshl_add_u32 v19, v3, 3, v18
	v_mul_lo_u32 v3, s7, v2
	s_delay_alu instid0(VALU_DEP_3)
	s_mul_i32 s33, s33, s14
	v_mul_lo_u32 v4, s3, v2
	s_mul_hi_u32 s21, s14, s33
	s_abs_i32 s33, s1
	s_add_i32 s14, s14, s21
	s_xor_b32 s1, s1, s27
	s_mul_hi_u32 s14, s33, s14
	s_ashr_i32 s27, s1, 31
	s_mul_i32 s21, s14, s23
	v_add3_u32 v20, v1, v3, s31
	s_sub_i32 s1, s33, s21
	s_add_i32 s21, s14, 1
	s_sub_i32 s33, s1, s23
	s_cmp_ge_u32 s1, s23
	v_add3_u32 v21, v1, v4, s31
	s_cselect_b32 s14, s21, s14
	s_cselect_b32 s1, s33, s1
	s_add_i32 s21, s14, 1
	s_cmp_ge_u32 s1, s23
	v_cmp_eq_u32_e64 s1, 0, v2
	s_cselect_b32 s14, s21, s14
	s_mul_i32 s7, s15, s7
	s_xor_b32 s14, s14, s27
	s_delay_alu instid0(SALU_CYCLE_1)
	s_sub_i32 s23, s14, s27
	s_mul_i32 s27, s15, s3
	s_cmp_gt_i32 s23, -1
	s_cselect_b32 s14, -1, 0
	s_add_u32 s17, s17, 8
	s_addc_u32 s18, s18, 0
	s_add_u32 s19, s19, 8
	s_addc_u32 s20, s20, 0
	s_add_u32 s21, s2, 8
	s_addc_u32 s22, s22, 0
	s_add_i32 s23, s23, 1
	s_branch .LBB75_3
.LBB75_2:                               ;   in Loop: Header=BB75_3 Depth=1
	s_or_b32 exec_lo, exec_lo, s2
	v_add_nc_u32_e32 v20, s11, v20
	v_add_nc_u32_e32 v21, s11, v21
	s_add_i32 s2, s29, 1
	s_cmp_eq_u32 s29, s28
	s_mov_b32 s29, s2
	s_cbranch_scc1 .LBB75_20
.LBB75_3:                               ; =>This Loop Header: Depth=1
                                        ;     Child Loop BB75_12 Depth 2
                                        ;     Child Loop BB75_9 Depth 2
	s_mul_i32 s2, s29, s26
	v_mov_b32_e32 v5, 0
	s_add_i32 s2, s2, s13
	v_mov_b32_e32 v6, 0
	v_mad_u64_u32 v[3:4], null, s2, s12, v[1:2]
	s_delay_alu instid0(VALU_DEP_1) | instskip(SKIP_1) | instid1(VALU_DEP_2)
	v_cmp_gt_i32_e64 s2, s24, v3
	v_ashrrev_i32_e32 v4, 31, v3
	s_and_b32 s31, s1, s2
	s_delay_alu instid0(SALU_CYCLE_1)
	s_and_saveexec_b32 s3, s31
	s_cbranch_execz .LBB75_5
; %bb.4:                                ;   in Loop: Header=BB75_3 Depth=1
	s_delay_alu instid0(VALU_DEP_1) | instskip(NEXT) | instid1(VALU_DEP_1)
	v_lshlrev_b64 v[5:6], 3, v[3:4]
	v_add_co_u32 v5, vcc_lo, s17, v5
	s_delay_alu instid0(VALU_DEP_2)
	v_add_co_ci_u32_e32 v6, vcc_lo, s18, v6, vcc_lo
	global_load_b64 v[5:6], v[5:6], off
.LBB75_5:                               ;   in Loop: Header=BB75_3 Depth=1
	s_or_b32 exec_lo, exec_lo, s3
	v_mov_b32_e32 v7, v2
	v_mov_b32_e32 v9, v21
	;; [unrolled: 1-line block ×3, first 2 shown]
	s_and_not1_b32 vcc_lo, exec_lo, s14
	s_mov_b32 s31, s23
	s_cbranch_vccz .LBB75_12
.LBB75_6:                               ;   in Loop: Header=BB75_3 Depth=1
	s_and_not1_b32 vcc_lo, exec_lo, s16
	s_mov_b32 s3, s30
	s_waitcnt vmcnt(0)
	ds_store_b64 v19, v[5:6]
	s_waitcnt lgkmcnt(0)
	s_waitcnt_vscnt null, 0x0
	s_barrier
	buffer_gl0_inv
	s_cbranch_vccnz .LBB75_18
	.p2align	6
; %bb.7:                                ;   in Loop: Header=BB75_3 Depth=1
	s_lshr_b32 s31, s3, 1
	s_mov_b32 s33, exec_lo
	v_cmpx_gt_u32_e64 s31, v0
	s_cbranch_execz .LBB75_9
.LBB75_8:                               ;   in Loop: Header=BB75_3 Depth=1
	v_add_nc_u32_e32 v7, s31, v0
	s_delay_alu instid0(VALU_DEP_1) | instskip(NEXT) | instid1(VALU_DEP_1)
	v_mul_u32_u24_e32 v7, s12, v7
	v_lshl_add_u32 v7, v7, 3, v18
	ds_load_b64 v[7:8], v7
	s_waitcnt lgkmcnt(0)
	v_add_f64 v[5:6], v[5:6], v[7:8]
	ds_store_b64 v19, v[5:6]
.LBB75_9:                               ;   Parent Loop BB75_3 Depth=1
                                        ; =>  This Inner Loop Header: Depth=2
	s_or_b32 exec_lo, exec_lo, s33
	s_cmp_lt_u32 s3, 4
	s_waitcnt lgkmcnt(0)
	s_barrier
	buffer_gl0_inv
	s_cbranch_scc1 .LBB75_18
; %bb.10:                               ;   in Loop: Header=BB75_9 Depth=2
	s_mov_b32 s3, s31
	s_delay_alu instid0(SALU_CYCLE_1)
	s_lshr_b32 s31, s3, 1
	s_mov_b32 s33, exec_lo
	v_cmpx_gt_u32_e64 s31, v0
	s_cbranch_execnz .LBB75_8
	s_branch .LBB75_9
.LBB75_11:                              ;   in Loop: Header=BB75_12 Depth=2
	s_or_b32 exec_lo, exec_lo, s3
	v_add_nc_u32_e32 v11, s7, v11
	v_add_nc_u32_e32 v9, s27, v9
	;; [unrolled: 1-line block ×3, first 2 shown]
	s_add_i32 s31, s31, -1
	s_delay_alu instid0(SALU_CYCLE_1)
	s_cmp_eq_u32 s31, 0
	s_cbranch_scc1 .LBB75_6
.LBB75_12:                              ;   Parent Loop BB75_3 Depth=1
                                        ; =>  This Inner Loop Header: Depth=2
	s_waitcnt vmcnt(0)
	v_mov_b32_e32 v13, 0
	v_mov_b32_e32 v14, 0
	v_cmp_gt_i32_e32 vcc_lo, s25, v7
	v_ashrrev_i32_e32 v8, 31, v7
	s_delay_alu instid0(VALU_DEP_3)
	v_dual_mov_b32 v16, v14 :: v_dual_mov_b32 v15, v13
	s_and_saveexec_b32 s33, vcc_lo
	s_cbranch_execnz .LBB75_15
; %bb.13:                               ;   in Loop: Header=BB75_12 Depth=2
	s_or_b32 exec_lo, exec_lo, s33
	s_and_saveexec_b32 s33, vcc_lo
	s_cbranch_execnz .LBB75_16
.LBB75_14:                              ;   in Loop: Header=BB75_12 Depth=2
	s_or_b32 exec_lo, exec_lo, s33
	s_and_b32 s33, s2, vcc_lo
	s_delay_alu instid0(SALU_CYCLE_1)
	s_and_saveexec_b32 s3, s33
	s_cbranch_execz .LBB75_11
	s_branch .LBB75_17
.LBB75_15:                              ;   in Loop: Header=BB75_12 Depth=2
	s_delay_alu instid0(VALU_DEP_2) | instskip(NEXT) | instid1(VALU_DEP_1)
	v_lshlrev_b64 v[15:16], 3, v[7:8]
	v_add_co_u32 v15, s3, s6, v15
	s_delay_alu instid0(VALU_DEP_1)
	v_add_co_ci_u32_e64 v16, s3, s8, v16, s3
	global_load_b64 v[15:16], v[15:16], off
	s_or_b32 exec_lo, exec_lo, s33
	s_and_saveexec_b32 s33, vcc_lo
	s_cbranch_execz .LBB75_14
.LBB75_16:                              ;   in Loop: Header=BB75_12 Depth=2
	v_lshlrev_b64 v[12:13], 3, v[7:8]
	s_delay_alu instid0(VALU_DEP_1) | instskip(NEXT) | instid1(VALU_DEP_1)
	v_add_co_u32 v12, s3, s9, v12
	v_add_co_ci_u32_e64 v13, s3, s10, v13, s3
	global_load_b64 v[13:14], v[12:13], off
	s_or_b32 exec_lo, exec_lo, s33
	s_and_b32 s33, s2, vcc_lo
	s_delay_alu instid0(SALU_CYCLE_1)
	s_and_saveexec_b32 s3, s33
	s_cbranch_execz .LBB75_11
.LBB75_17:                              ;   in Loop: Header=BB75_12 Depth=2
	v_ashrrev_i32_e32 v10, 31, v9
	v_ashrrev_i32_e32 v12, 31, v11
	s_delay_alu instid0(VALU_DEP_2) | instskip(NEXT) | instid1(VALU_DEP_2)
	v_lshlrev_b64 v[22:23], 3, v[9:10]
	v_lshlrev_b64 v[24:25], 3, v[11:12]
	s_delay_alu instid0(VALU_DEP_2) | instskip(NEXT) | instid1(VALU_DEP_3)
	v_add_co_u32 v22, vcc_lo, s21, v22
	v_add_co_ci_u32_e32 v23, vcc_lo, s22, v23, vcc_lo
	s_delay_alu instid0(VALU_DEP_3) | instskip(NEXT) | instid1(VALU_DEP_4)
	v_add_co_u32 v24, vcc_lo, s19, v24
	v_add_co_ci_u32_e32 v25, vcc_lo, s20, v25, vcc_lo
	global_load_b64 v[22:23], v[22:23], off
	global_load_b64 v[24:25], v[24:25], off
	s_waitcnt vmcnt(1)
	v_mul_f64 v[12:13], v[13:14], v[22:23]
	s_waitcnt vmcnt(0)
	s_delay_alu instid0(VALU_DEP_1) | instskip(NEXT) | instid1(VALU_DEP_1)
	v_fma_f64 v[12:13], v[15:16], v[24:25], v[12:13]
	v_add_f64 v[5:6], v[5:6], -v[12:13]
	s_branch .LBB75_11
.LBB75_18:                              ;   in Loop: Header=BB75_3 Depth=1
	s_and_b32 s3, s0, s2
	s_delay_alu instid0(SALU_CYCLE_1)
	s_and_saveexec_b32 s2, s3
	s_cbranch_execz .LBB75_2
; %bb.19:                               ;   in Loop: Header=BB75_3 Depth=1
	global_load_b64 v[7:8], v17, s[4:5]
	v_lshlrev_b64 v[3:4], 3, v[3:4]
	s_delay_alu instid0(VALU_DEP_1) | instskip(NEXT) | instid1(VALU_DEP_2)
	v_add_co_u32 v3, vcc_lo, s17, v3
	v_add_co_ci_u32_e32 v4, vcc_lo, s18, v4, vcc_lo
	s_waitcnt vmcnt(0)
	v_mul_f64 v[5:6], v[5:6], v[7:8]
	global_store_b64 v[3:4], v[5:6], off
	s_branch .LBB75_2
.LBB75_20:
	s_nop 0
	s_sendmsg sendmsg(MSG_DEALLOC_VGPRS)
	s_endpgm
	.section	.rodata,"a",@progbits
	.p2align	6, 0x0
	.amdhsa_kernel _ZN9rocsolver6v33100L26latrd_lower_updateW_kernelIdPdEEviiT0_iilPT_iilS5_lS5_l
		.amdhsa_group_segment_fixed_size 0
		.amdhsa_private_segment_fixed_size 0
		.amdhsa_kernarg_size 344
		.amdhsa_user_sgpr_count 13
		.amdhsa_user_sgpr_dispatch_ptr 0
		.amdhsa_user_sgpr_queue_ptr 0
		.amdhsa_user_sgpr_kernarg_segment_ptr 1
		.amdhsa_user_sgpr_dispatch_id 0
		.amdhsa_user_sgpr_private_segment_size 0
		.amdhsa_wavefront_size32 1
		.amdhsa_uses_dynamic_stack 0
		.amdhsa_enable_private_segment 0
		.amdhsa_system_sgpr_workgroup_id_x 1
		.amdhsa_system_sgpr_workgroup_id_y 1
		.amdhsa_system_sgpr_workgroup_id_z 1
		.amdhsa_system_sgpr_workgroup_info 0
		.amdhsa_system_vgpr_workitem_id 1
		.amdhsa_next_free_vgpr 26
		.amdhsa_next_free_sgpr 38
		.amdhsa_reserve_vcc 1
		.amdhsa_float_round_mode_32 0
		.amdhsa_float_round_mode_16_64 0
		.amdhsa_float_denorm_mode_32 3
		.amdhsa_float_denorm_mode_16_64 3
		.amdhsa_dx10_clamp 1
		.amdhsa_ieee_mode 1
		.amdhsa_fp16_overflow 0
		.amdhsa_workgroup_processor_mode 1
		.amdhsa_memory_ordered 1
		.amdhsa_forward_progress 0
		.amdhsa_shared_vgpr_count 0
		.amdhsa_exception_fp_ieee_invalid_op 0
		.amdhsa_exception_fp_denorm_src 0
		.amdhsa_exception_fp_ieee_div_zero 0
		.amdhsa_exception_fp_ieee_overflow 0
		.amdhsa_exception_fp_ieee_underflow 0
		.amdhsa_exception_fp_ieee_inexact 0
		.amdhsa_exception_int_div_zero 0
	.end_amdhsa_kernel
	.section	.text._ZN9rocsolver6v33100L26latrd_lower_updateW_kernelIdPdEEviiT0_iilPT_iilS5_lS5_l,"axG",@progbits,_ZN9rocsolver6v33100L26latrd_lower_updateW_kernelIdPdEEviiT0_iilPT_iilS5_lS5_l,comdat
.Lfunc_end75:
	.size	_ZN9rocsolver6v33100L26latrd_lower_updateW_kernelIdPdEEviiT0_iilPT_iilS5_lS5_l, .Lfunc_end75-_ZN9rocsolver6v33100L26latrd_lower_updateW_kernelIdPdEEviiT0_iilPT_iilS5_lS5_l
                                        ; -- End function
	.section	.AMDGPU.csdata,"",@progbits
; Kernel info:
; codeLenInByte = 1768
; NumSgprs: 40
; NumVgprs: 26
; ScratchSize: 0
; MemoryBound: 0
; FloatMode: 240
; IeeeMode: 1
; LDSByteSize: 0 bytes/workgroup (compile time only)
; SGPRBlocks: 4
; VGPRBlocks: 3
; NumSGPRsForWavesPerEU: 40
; NumVGPRsForWavesPerEU: 26
; Occupancy: 16
; WaveLimiterHint : 0
; COMPUTE_PGM_RSRC2:SCRATCH_EN: 0
; COMPUTE_PGM_RSRC2:USER_SGPR: 13
; COMPUTE_PGM_RSRC2:TRAP_HANDLER: 0
; COMPUTE_PGM_RSRC2:TGID_X_EN: 1
; COMPUTE_PGM_RSRC2:TGID_Y_EN: 1
; COMPUTE_PGM_RSRC2:TGID_Z_EN: 1
; COMPUTE_PGM_RSRC2:TIDIG_COMP_CNT: 1
	.section	.text._ZN9rocsolver6v33100L20latrd_dot_scale_axpyILi1024EdiPdEEvT1_T2_llPT0_llS6_l,"axG",@progbits,_ZN9rocsolver6v33100L20latrd_dot_scale_axpyILi1024EdiPdEEvT1_T2_llPT0_llS6_l,comdat
	.globl	_ZN9rocsolver6v33100L20latrd_dot_scale_axpyILi1024EdiPdEEvT1_T2_llPT0_llS6_l ; -- Begin function _ZN9rocsolver6v33100L20latrd_dot_scale_axpyILi1024EdiPdEEvT1_T2_llPT0_llS6_l
	.p2align	8
	.type	_ZN9rocsolver6v33100L20latrd_dot_scale_axpyILi1024EdiPdEEvT1_T2_llPT0_llS6_l,@function
_ZN9rocsolver6v33100L20latrd_dot_scale_axpyILi1024EdiPdEEvT1_T2_llPT0_llS6_l: ; @_ZN9rocsolver6v33100L20latrd_dot_scale_axpyILi1024EdiPdEEvT1_T2_llPT0_llS6_l
; %bb.0:
	s_clause 0x1
	s_load_b512 s[16:31], s[0:1], 0x8
	s_load_b32 s14, s[0:1], 0x0
	s_ashr_i32 s33, s15, 31
	v_dual_mov_b32 v1, 0 :: v_dual_lshlrev_b32 v8, 3, v0
	v_mov_b32_e32 v2, 0
	v_or_b32_e32 v7, 0x400, v0
	s_waitcnt lgkmcnt(0)
	s_mul_i32 s1, s15, s27
	s_mul_hi_u32 s4, s15, s26
	s_mul_i32 s5, s33, s26
	s_add_i32 s1, s4, s1
	s_mul_i32 s2, s15, s21
	s_mul_hi_u32 s3, s15, s20
	s_mul_i32 s0, s15, s26
	s_add_i32 s1, s1, s5
	s_mul_i32 s6, s33, s20
	s_add_i32 s2, s3, s2
	s_lshl_b64 s[4:5], s[0:1], 3
	s_add_i32 s3, s2, s6
	s_add_u32 s0, s22, s4
	v_cmp_gt_i32_e32 vcc_lo, s14, v0
	s_addc_u32 s1, s23, s5
	s_lshl_b64 s[6:7], s[24:25], 3
	s_mul_i32 s2, s15, s20
	s_add_u32 s8, s0, s6
	s_addc_u32 s9, s1, s7
	s_and_saveexec_b32 s20, vcc_lo
	s_cbranch_execz .LBB76_6
; %bb.1:
	s_lshl_b64 s[10:11], s[2:3], 3
	v_or_b32_e32 v9, 0x400, v0
	s_add_u32 s0, s16, s10
	s_addc_u32 s1, s17, s11
	s_lshl_b64 s[12:13], s[18:19], 3
	s_mov_b32 s21, exec_lo
	s_add_u32 s0, s0, s12
	s_addc_u32 s1, s1, s13
	s_clause 0x1
	global_load_b64 v[3:4], v8, s[0:1]
	global_load_b64 v[5:6], v8, s[8:9]
	s_waitcnt vmcnt(0)
	v_mul_f64 v[1:2], v[3:4], v[5:6]
	ds_store_2addr_stride64_b64 v8, v[3:4], v[5:6] offset1:16
	v_add_f64 v[1:2], v[1:2], 0
	v_cmpx_gt_u32_e64 s14, v9
	s_cbranch_execz .LBB76_5
; %bb.2:
	s_add_u32 s0, s10, s12
	s_addc_u32 s1, s11, s13
	s_add_u32 s0, s16, s0
	s_addc_u32 s1, s17, s1
	v_add_co_u32 v3, s0, s0, v8
	s_delay_alu instid0(VALU_DEP_1)
	v_add_co_ci_u32_e64 v4, null, s1, 0, s0
	s_add_u32 s0, s4, s6
	s_addc_u32 s1, s5, s7
	s_add_u32 s0, s22, s0
	s_addc_u32 s1, s23, s1
	v_add_co_u32 v5, s0, s0, v8
	s_delay_alu instid0(VALU_DEP_1) | instskip(SKIP_1) | instid1(VALU_DEP_1)
	v_add_co_ci_u32_e64 v6, null, s1, 0, s0
	v_add_co_u32 v3, s0, 0x2000, v3
	v_add_co_ci_u32_e64 v4, s0, 0, v4, s0
	s_delay_alu instid0(VALU_DEP_4) | instskip(NEXT) | instid1(VALU_DEP_1)
	v_add_co_u32 v5, s0, 0x2000, v5
	v_add_co_ci_u32_e64 v6, s0, 0, v6, s0
	s_mov_b32 s10, 0
	.p2align	6
.LBB76_3:                               ; =>This Inner Loop Header: Depth=1
	global_load_b64 v[10:11], v[5:6], off
	global_load_b64 v[12:13], v[3:4], off
	v_add_nc_u32_e32 v9, 0x400, v9
	v_add_co_u32 v3, s0, 0x2000, v3
	s_delay_alu instid0(VALU_DEP_1) | instskip(NEXT) | instid1(VALU_DEP_3)
	v_add_co_ci_u32_e64 v4, s0, 0, v4, s0
	v_cmp_le_i32_e64 s0, s14, v9
	v_add_co_u32 v5, s1, 0x2000, v5
	s_delay_alu instid0(VALU_DEP_1) | instskip(NEXT) | instid1(VALU_DEP_3)
	v_add_co_ci_u32_e64 v6, s1, 0, v6, s1
	s_or_b32 s10, s0, s10
	s_waitcnt vmcnt(0)
	v_mul_f64 v[10:11], v[12:13], v[10:11]
	s_delay_alu instid0(VALU_DEP_1)
	v_add_f64 v[1:2], v[1:2], v[10:11]
	s_and_not1_b32 exec_lo, exec_lo, s10
	s_cbranch_execnz .LBB76_3
; %bb.4:
	s_or_b32 exec_lo, exec_lo, s10
.LBB76_5:
	s_delay_alu instid0(SALU_CYCLE_1)
	s_or_b32 exec_lo, exec_lo, s21
.LBB76_6:
	s_delay_alu instid0(SALU_CYCLE_1) | instskip(SKIP_2) | instid1(VALU_DEP_1)
	s_or_b32 exec_lo, exec_lo, s20
	v_mbcnt_lo_u32_b32 v5, -1, 0
	s_mov_b32 s1, exec_lo
	v_cmp_ne_u32_e64 s0, 31, v5
	s_delay_alu instid0(VALU_DEP_1) | instskip(SKIP_1) | instid1(VALU_DEP_2)
	v_add_co_ci_u32_e64 v3, s0, 0, v5, s0
	v_cmp_gt_u32_e64 s0, 30, v5
	v_lshlrev_b32_e32 v4, 2, v3
	ds_bpermute_b32 v3, v4, v1
	ds_bpermute_b32 v4, v4, v2
	s_waitcnt lgkmcnt(0)
	v_add_f64 v[1:2], v[1:2], v[3:4]
	v_cndmask_b32_e64 v3, 0, 1, s0
	v_cmp_gt_u32_e64 s0, 28, v5
	s_delay_alu instid0(VALU_DEP_2) | instskip(NEXT) | instid1(VALU_DEP_1)
	v_lshlrev_b32_e32 v3, 1, v3
	v_add_lshl_u32 v4, v3, v5, 2
	ds_bpermute_b32 v3, v4, v1
	ds_bpermute_b32 v4, v4, v2
	s_waitcnt lgkmcnt(0)
	v_add_f64 v[1:2], v[1:2], v[3:4]
	v_cndmask_b32_e64 v3, 0, 1, s0
	v_cmp_gt_u32_e64 s0, 24, v5
	s_delay_alu instid0(VALU_DEP_2) | instskip(NEXT) | instid1(VALU_DEP_1)
	v_lshlrev_b32_e32 v3, 2, v3
	v_add_lshl_u32 v4, v3, v5, 2
	;; [unrolled: 9-line block ×3, first 2 shown]
	ds_bpermute_b32 v3, v4, v1
	ds_bpermute_b32 v4, v4, v2
	s_waitcnt lgkmcnt(0)
	v_add_f64 v[1:2], v[1:2], v[3:4]
	v_cndmask_b32_e64 v3, 0, 1, s0
	s_delay_alu instid0(VALU_DEP_1) | instskip(NEXT) | instid1(VALU_DEP_1)
	v_lshlrev_b32_e32 v3, 4, v3
	v_add_lshl_u32 v4, v3, v5, 2
	ds_bpermute_b32 v3, v4, v1
	ds_bpermute_b32 v4, v4, v2
	s_waitcnt lgkmcnt(0)
	v_add_f64 v[1:2], v[1:2], v[3:4]
	v_and_b32_e32 v3, 31, v0
	s_delay_alu instid0(VALU_DEP_1)
	v_cmpx_eq_u32_e32 0, v3
	s_cbranch_execz .LBB76_8
; %bb.7:
	v_lshrrev_b32_e32 v3, 2, v0
	ds_store_b64 v3, v[1:2] offset:16384
.LBB76_8:
	s_or_b32 exec_lo, exec_lo, s1
	s_delay_alu instid0(SALU_CYCLE_1)
	s_mov_b32 s1, exec_lo
	s_waitcnt lgkmcnt(0)
	s_barrier
	buffer_gl0_inv
	v_cmpx_eq_u32_e32 0, v0
	s_cbranch_execz .LBB76_10
; %bb.9:
	v_mov_b32_e32 v0, 0x4008
	s_mul_i32 s0, s15, s31
	s_mul_hi_u32 s10, s15, s30
	s_mul_i32 s11, s33, s30
	s_add_i32 s0, s10, s0
	ds_load_2addr_b64 v[3:6], v0 offset1:1
	v_mov_b32_e32 v0, 0x4018
	s_mul_i32 s10, s15, s30
	s_add_i32 s11, s0, s11
	s_delay_alu instid0(SALU_CYCLE_1)
	s_lshl_b64 s[10:11], s[10:11], 3
	ds_load_2addr_b64 v[9:12], v0 offset1:1
	s_add_u32 s10, s28, s10
	s_addc_u32 s11, s29, s11
	s_load_b64 s[10:11], s[10:11], 0x0
	s_waitcnt lgkmcnt(0)
	v_add_f64 v[0:1], v[1:2], v[3:4]
	s_delay_alu instid0(VALU_DEP_1) | instskip(SKIP_1) | instid1(VALU_DEP_2)
	v_add_f64 v[0:1], v[0:1], v[5:6]
	v_mov_b32_e32 v6, 0x4038
	v_add_f64 v[0:1], v[0:1], v[9:10]
	s_delay_alu instid0(VALU_DEP_1)
	v_add_f64 v[4:5], v[0:1], v[11:12]
	v_mov_b32_e32 v0, 0x4028
	ds_load_2addr_b64 v[9:12], v6 offset1:1
	v_mov_b32_e32 v6, 0x4058
	ds_load_2addr_b64 v[0:3], v0 offset1:1
	s_waitcnt lgkmcnt(0)
	v_add_f64 v[0:1], v[4:5], v[0:1]
	s_delay_alu instid0(VALU_DEP_1) | instskip(NEXT) | instid1(VALU_DEP_1)
	v_add_f64 v[0:1], v[0:1], v[2:3]
	v_add_f64 v[0:1], v[0:1], v[9:10]
	s_delay_alu instid0(VALU_DEP_1)
	v_add_f64 v[4:5], v[0:1], v[11:12]
	v_mov_b32_e32 v0, 0x4048
	ds_load_2addr_b64 v[9:12], v6 offset1:1
	v_mov_b32_e32 v6, 0x4078
	ds_load_2addr_b64 v[0:3], v0 offset1:1
	s_waitcnt lgkmcnt(0)
	v_add_f64 v[0:1], v[4:5], v[0:1]
	s_delay_alu instid0(VALU_DEP_1) | instskip(NEXT) | instid1(VALU_DEP_1)
	v_add_f64 v[0:1], v[0:1], v[2:3]
	;; [unrolled: 11-line block ×6, first 2 shown]
	v_add_f64 v[0:1], v[0:1], v[9:10]
	ds_load_b64 v[9:10], v6 offset:16632
	v_add_f64 v[4:5], v[0:1], v[11:12]
	v_mov_b32_e32 v0, 0x40e8
	ds_load_2addr_b64 v[0:3], v0 offset1:1
	s_waitcnt lgkmcnt(0)
	v_add_f64 v[0:1], v[4:5], v[0:1]
	s_delay_alu instid0(VALU_DEP_1) | instskip(SKIP_1) | instid1(VALU_DEP_2)
	v_add_f64 v[0:1], v[0:1], v[2:3]
	v_mul_f64 v[2:3], s[10:11], -0.5
	v_add_f64 v[0:1], v[0:1], v[9:10]
	s_delay_alu instid0(VALU_DEP_1)
	v_mul_f64 v[0:1], v[0:1], v[2:3]
	ds_store_b64 v6, v[0:1] offset:16384
.LBB76_10:
	s_or_b32 exec_lo, exec_lo, s1
	s_waitcnt lgkmcnt(0)
	s_barrier
	buffer_gl0_inv
	s_and_saveexec_b32 s0, vcc_lo
	s_cbranch_execz .LBB76_14
; %bb.11:
	v_mov_b32_e32 v0, 0
	v_cmp_gt_i32_e32 vcc_lo, s14, v7
	ds_load_b64 v[0:1], v0 offset:16384
	ds_load_2addr_stride64_b64 v[2:5], v8 offset1:16
	s_waitcnt lgkmcnt(0)
	v_fma_f64 v[2:3], v[0:1], v[2:3], v[4:5]
	global_store_b64 v8, v[2:3], s[8:9]
	s_and_b32 exec_lo, exec_lo, vcc_lo
	s_cbranch_execz .LBB76_14
; %bb.12:
	s_add_u32 s0, s4, s6
	s_addc_u32 s1, s5, s7
	s_add_u32 s4, s22, s0
	s_addc_u32 s5, s23, s1
	s_lshl_b64 s[0:1], s[2:3], 3
	s_lshl_b64 s[2:3], s[18:19], 3
	v_add_co_u32 v2, s4, s4, v8
	s_add_u32 s0, s0, s2
	s_addc_u32 s1, s1, s3
	s_add_u32 s0, s16, s0
	v_add_co_ci_u32_e64 v3, null, s5, 0, s4
	s_addc_u32 s1, s17, s1
	v_add_co_u32 v4, s0, s0, v8
	s_delay_alu instid0(VALU_DEP_1) | instskip(SKIP_2) | instid1(VALU_DEP_4)
	v_add_co_ci_u32_e64 v5, null, s1, 0, s0
	v_add_co_u32 v2, vcc_lo, 0x2000, v2
	v_add_co_ci_u32_e32 v3, vcc_lo, 0, v3, vcc_lo
	v_add_co_u32 v4, vcc_lo, 0x2000, v4
	s_delay_alu instid0(VALU_DEP_4)
	v_add_co_ci_u32_e32 v5, vcc_lo, 0, v5, vcc_lo
	s_mov_b32 s1, 0
	.p2align	6
.LBB76_13:                              ; =>This Inner Loop Header: Depth=1
	global_load_b64 v[8:9], v[2:3], off
	global_load_b64 v[10:11], v[4:5], off
	v_add_nc_u32_e32 v7, 0x400, v7
	s_delay_alu instid0(VALU_DEP_1)
	v_cmp_le_i32_e32 vcc_lo, s14, v7
	s_or_b32 s1, vcc_lo, s1
	s_waitcnt vmcnt(0)
	v_fma_f64 v[8:9], v[0:1], v[10:11], v[8:9]
	global_store_b64 v[2:3], v[8:9], off
	v_add_co_u32 v2, s0, 0x2000, v2
	s_delay_alu instid0(VALU_DEP_1) | instskip(SKIP_1) | instid1(VALU_DEP_1)
	v_add_co_ci_u32_e64 v3, s0, 0, v3, s0
	v_add_co_u32 v4, s0, 0x2000, v4
	v_add_co_ci_u32_e64 v5, s0, 0, v5, s0
	s_and_not1_b32 exec_lo, exec_lo, s1
	s_cbranch_execnz .LBB76_13
.LBB76_14:
	s_nop 0
	s_sendmsg sendmsg(MSG_DEALLOC_VGPRS)
	s_endpgm
	.section	.rodata,"a",@progbits
	.p2align	6, 0x0
	.amdhsa_kernel _ZN9rocsolver6v33100L20latrd_dot_scale_axpyILi1024EdiPdEEvT1_T2_llPT0_llS6_l
		.amdhsa_group_segment_fixed_size 16640
		.amdhsa_private_segment_fixed_size 0
		.amdhsa_kernarg_size 72
		.amdhsa_user_sgpr_count 14
		.amdhsa_user_sgpr_dispatch_ptr 0
		.amdhsa_user_sgpr_queue_ptr 0
		.amdhsa_user_sgpr_kernarg_segment_ptr 1
		.amdhsa_user_sgpr_dispatch_id 0
		.amdhsa_user_sgpr_private_segment_size 0
		.amdhsa_wavefront_size32 1
		.amdhsa_uses_dynamic_stack 0
		.amdhsa_enable_private_segment 0
		.amdhsa_system_sgpr_workgroup_id_x 1
		.amdhsa_system_sgpr_workgroup_id_y 0
		.amdhsa_system_sgpr_workgroup_id_z 1
		.amdhsa_system_sgpr_workgroup_info 0
		.amdhsa_system_vgpr_workitem_id 0
		.amdhsa_next_free_vgpr 14
		.amdhsa_next_free_sgpr 34
		.amdhsa_reserve_vcc 1
		.amdhsa_float_round_mode_32 0
		.amdhsa_float_round_mode_16_64 0
		.amdhsa_float_denorm_mode_32 3
		.amdhsa_float_denorm_mode_16_64 3
		.amdhsa_dx10_clamp 1
		.amdhsa_ieee_mode 1
		.amdhsa_fp16_overflow 0
		.amdhsa_workgroup_processor_mode 1
		.amdhsa_memory_ordered 1
		.amdhsa_forward_progress 0
		.amdhsa_shared_vgpr_count 0
		.amdhsa_exception_fp_ieee_invalid_op 0
		.amdhsa_exception_fp_denorm_src 0
		.amdhsa_exception_fp_ieee_div_zero 0
		.amdhsa_exception_fp_ieee_overflow 0
		.amdhsa_exception_fp_ieee_underflow 0
		.amdhsa_exception_fp_ieee_inexact 0
		.amdhsa_exception_int_div_zero 0
	.end_amdhsa_kernel
	.section	.text._ZN9rocsolver6v33100L20latrd_dot_scale_axpyILi1024EdiPdEEvT1_T2_llPT0_llS6_l,"axG",@progbits,_ZN9rocsolver6v33100L20latrd_dot_scale_axpyILi1024EdiPdEEvT1_T2_llPT0_llS6_l,comdat
.Lfunc_end76:
	.size	_ZN9rocsolver6v33100L20latrd_dot_scale_axpyILi1024EdiPdEEvT1_T2_llPT0_llS6_l, .Lfunc_end76-_ZN9rocsolver6v33100L20latrd_dot_scale_axpyILi1024EdiPdEEvT1_T2_llPT0_llS6_l
                                        ; -- End function
	.section	.AMDGPU.csdata,"",@progbits
; Kernel info:
; codeLenInByte = 1832
; NumSgprs: 36
; NumVgprs: 14
; ScratchSize: 0
; MemoryBound: 0
; FloatMode: 240
; IeeeMode: 1
; LDSByteSize: 16640 bytes/workgroup (compile time only)
; SGPRBlocks: 4
; VGPRBlocks: 1
; NumSGPRsForWavesPerEU: 36
; NumVGPRsForWavesPerEU: 14
; Occupancy: 16
; WaveLimiterHint : 0
; COMPUTE_PGM_RSRC2:SCRATCH_EN: 0
; COMPUTE_PGM_RSRC2:USER_SGPR: 14
; COMPUTE_PGM_RSRC2:TRAP_HANDLER: 0
; COMPUTE_PGM_RSRC2:TGID_X_EN: 1
; COMPUTE_PGM_RSRC2:TGID_Y_EN: 0
; COMPUTE_PGM_RSRC2:TGID_Z_EN: 1
; COMPUTE_PGM_RSRC2:TIDIG_COMP_CNT: 0
	.section	.text._ZN9rocsolver6v33100L26latrd_upper_updateA_kernelIdPdEEviiiT0_iilPT_iil,"axG",@progbits,_ZN9rocsolver6v33100L26latrd_upper_updateA_kernelIdPdEEviiiT0_iilPT_iil,comdat
	.globl	_ZN9rocsolver6v33100L26latrd_upper_updateA_kernelIdPdEEviiiT0_iilPT_iil ; -- Begin function _ZN9rocsolver6v33100L26latrd_upper_updateA_kernelIdPdEEviiiT0_iilPT_iil
	.p2align	8
	.type	_ZN9rocsolver6v33100L26latrd_upper_updateA_kernelIdPdEEviiiT0_iilPT_iil,@function
_ZN9rocsolver6v33100L26latrd_upper_updateA_kernelIdPdEEviiiT0_iilPT_iil: ; @_ZN9rocsolver6v33100L26latrd_upper_updateA_kernelIdPdEEviiiT0_iilPT_iil
; %bb.0:
	s_clause 0x2
	s_load_b32 s2, s[0:1], 0x4c
	s_load_b128 s[16:19], s[0:1], 0x0
	s_load_b64 s[24:25], s[0:1], 0x40
	s_mov_b32 s27, 0
	s_waitcnt lgkmcnt(0)
	s_and_b32 s12, s2, 0xffff
	s_abs_i32 s5, s18
	v_cvt_f32_u32_e32 v1, s12
	s_sub_i32 s4, 0, s12
	s_ashr_i32 s19, s18, 31
	s_delay_alu instid0(VALU_DEP_1) | instskip(SKIP_2) | instid1(VALU_DEP_1)
	v_rcp_iflag_f32_e32 v1, v1
	s_waitcnt_depctr 0xfff
	v_mul_f32_e32 v1, 0x4f7ffffe, v1
	v_cvt_u32_f32_e32 v1, v1
	s_delay_alu instid0(VALU_DEP_1) | instskip(NEXT) | instid1(VALU_DEP_1)
	v_readfirstlane_b32 s3, v1
	s_mul_i32 s4, s4, s3
	s_delay_alu instid0(SALU_CYCLE_1) | instskip(NEXT) | instid1(SALU_CYCLE_1)
	s_mul_hi_u32 s4, s3, s4
	s_add_i32 s3, s3, s4
	s_delay_alu instid0(SALU_CYCLE_1) | instskip(NEXT) | instid1(SALU_CYCLE_1)
	s_mul_hi_u32 s3, s5, s3
	s_mul_i32 s4, s3, s12
	s_delay_alu instid0(SALU_CYCLE_1)
	s_sub_i32 s4, s5, s4
	s_add_i32 s5, s3, 1
	s_sub_i32 s6, s4, s12
	s_cmp_ge_u32 s4, s12
	s_cselect_b32 s3, s5, s3
	s_cselect_b32 s4, s6, s4
	s_add_i32 s5, s3, 1
	s_cmp_ge_u32 s4, s12
	s_cselect_b32 s3, s5, s3
	s_abs_i32 s4, s24
	s_xor_b32 s3, s3, s19
	v_cvt_f32_u32_e32 v1, s4
	s_sub_i32 s6, 0, s4
	s_sub_i32 s3, s3, s19
	s_delay_alu instid0(SALU_CYCLE_1) | instskip(NEXT) | instid1(VALU_DEP_1)
	s_abs_i32 s7, s3
	v_rcp_iflag_f32_e32 v1, v1
	s_xor_b32 s3, s3, s24
	s_delay_alu instid0(SALU_CYCLE_1) | instskip(SKIP_2) | instid1(VALU_DEP_1)
	s_ashr_i32 s3, s3, 31
	s_waitcnt_depctr 0xfff
	v_mul_f32_e32 v1, 0x4f7ffffe, v1
	v_cvt_u32_f32_e32 v1, v1
	s_delay_alu instid0(VALU_DEP_1) | instskip(NEXT) | instid1(VALU_DEP_1)
	v_readfirstlane_b32 s5, v1
	s_mul_i32 s6, s6, s5
	s_delay_alu instid0(SALU_CYCLE_1) | instskip(NEXT) | instid1(SALU_CYCLE_1)
	s_mul_hi_u32 s6, s5, s6
	s_add_i32 s5, s5, s6
	s_delay_alu instid0(SALU_CYCLE_1) | instskip(NEXT) | instid1(SALU_CYCLE_1)
	s_mul_hi_u32 s5, s7, s5
	s_mul_i32 s6, s5, s4
	s_delay_alu instid0(SALU_CYCLE_1)
	s_sub_i32 s6, s7, s6
	s_add_i32 s7, s5, 1
	s_sub_i32 s8, s6, s4
	s_cmp_ge_u32 s6, s4
	s_cselect_b32 s5, s7, s5
	s_cselect_b32 s6, s8, s6
	s_add_i32 s7, s5, 1
	s_cmp_ge_u32 s6, s4
	s_cselect_b32 s4, s7, s5
	s_delay_alu instid0(SALU_CYCLE_1) | instskip(NEXT) | instid1(SALU_CYCLE_1)
	s_xor_b32 s4, s4, s3
	s_sub_i32 s26, s4, s3
	s_delay_alu instid0(SALU_CYCLE_1)
	s_cmp_lt_i32 s26, 0
	s_cbranch_scc1 .LBB77_20
; %bb.1:
	s_clause 0x1
	s_load_b256 s[4:11], s[0:1], 0x10
	s_load_b128 s[20:23], s[0:1], 0x30
	s_ashr_i32 s29, s15, 31
	s_lshr_b32 s28, s2, 16
	s_delay_alu instid0(SALU_CYCLE_1) | instskip(NEXT) | instid1(VALU_DEP_1)
	v_cvt_f32_u32_e32 v1, s28
	v_rcp_iflag_f32_e32 v1, v1
	s_waitcnt_depctr 0xfff
	v_mul_f32_e32 v1, 0x4f7ffffe, v1
	s_waitcnt lgkmcnt(0)
	s_ashr_i32 s1, s6, 31
	s_mov_b32 s0, s6
	s_mul_i32 s3, s15, s9
	s_mul_hi_u32 s6, s15, s8
	s_mul_i32 s9, s29, s8
	s_add_i32 s3, s6, s3
	s_mul_i32 s2, s15, s8
	s_add_i32 s3, s3, s9
	s_mul_i32 s6, s15, s23
	s_lshl_b64 s[2:3], s[2:3], 3
	s_mul_hi_u32 s9, s15, s22
	s_add_u32 s2, s4, s2
	s_addc_u32 s3, s5, s3
	s_lshl_b64 s[0:1], s[0:1], 3
	s_mul_i32 s29, s29, s22
	s_add_u32 s4, s2, s0
	s_addc_u32 s23, s3, s1
	s_add_i32 s1, s9, s6
	s_mul_i32 s0, s15, s22
	s_add_i32 s1, s1, s29
	s_mov_b32 s8, s20
	s_lshl_b64 s[0:1], s[0:1], 3
	s_ashr_i32 s9, s20, 31
	s_add_u32 s5, s10, s0
	s_addc_u32 s6, s11, s1
	s_lshl_b64 s[0:1], s[8:9], 3
	s_mul_hi_i32 s3, s7, s18
	s_mul_i32 s2, s7, s18
	s_add_u32 s11, s5, s0
	s_addc_u32 s15, s6, s1
	s_not_b32 s5, s18
	s_add_i32 s20, s18, 1
	s_lshl_b64 s[0:1], s[2:3], 3
	s_add_i32 s5, s5, s16
	s_mul_hi_i32 s3, s7, s20
	s_mul_i32 s2, s7, s20
	s_add_u32 s6, s4, s0
	s_addc_u32 s8, s23, s1
	s_lshl_b64 s[0:1], s[2:3], 3
	v_cvt_u32_f32_e32 v1, v1
	s_add_u32 s9, s4, s0
	s_addc_u32 s10, s23, s1
	s_sub_i32 s0, s17, s16
	s_mul_i32 s22, s25, s28
	s_add_i32 s20, s20, s0
	v_readfirstlane_b32 s2, v1
	s_mul_hi_i32 s1, s21, s20
	s_mul_i32 s0, s21, s20
	s_mul_i32 s29, s24, s12
	s_lshl_b64 s[0:1], s[0:1], 3
	s_delay_alu instid0(SALU_CYCLE_1) | instskip(SKIP_2) | instid1(SALU_CYCLE_1)
	s_add_u32 s11, s11, s0
	s_addc_u32 s15, s15, s1
	s_lshl_b64 s[0:1], s[18:19], 3
	s_add_u32 s16, s11, s0
	s_addc_u32 s17, s15, s1
	s_add_u32 s19, s9, s0
	s_addc_u32 s20, s10, s1
	s_sub_i32 s0, 0, s28
	s_add_i32 s1, s5, -1
	s_mul_i32 s0, s0, s2
	s_abs_i32 s3, s1
	s_mul_hi_u32 s0, s2, s0
	s_ashr_i32 s1, s1, 31
	s_add_i32 s2, s2, s0
	s_delay_alu instid0(SALU_CYCLE_1) | instskip(NEXT) | instid1(SALU_CYCLE_1)
	s_mul_hi_u32 s0, s3, s2
	s_mul_i32 s2, s0, s28
	s_delay_alu instid0(SALU_CYCLE_1)
	s_sub_i32 s2, s3, s2
	s_add_i32 s3, s0, 1
	s_sub_i32 s4, s2, s28
	s_cmp_ge_u32 s2, s28
	s_cselect_b32 s0, s3, s0
	s_cselect_b32 s2, s4, s2
	s_add_i32 s3, s0, 1
	s_cmp_ge_u32 s2, s28
	s_cselect_b32 s0, s3, s0
	s_abs_i32 s2, s25
	s_xor_b32 s0, s0, s1
	v_cvt_f32_u32_e32 v1, s2
	s_sub_i32 s4, 0, s2
	s_sub_i32 s0, s0, s1
	s_delay_alu instid0(VALU_DEP_1) | instskip(SKIP_2) | instid1(VALU_DEP_1)
	v_rcp_iflag_f32_e32 v1, v1
	s_waitcnt_depctr 0xfff
	v_mul_f32_e32 v1, 0x4f7ffffe, v1
	v_cvt_u32_f32_e32 v2, v1
	v_bfe_u32 v1, v0, 10, 10
	v_and_b32_e32 v0, 0x3ff, v0
	s_delay_alu instid0(VALU_DEP_3) | instskip(NEXT) | instid1(VALU_DEP_3)
	v_readfirstlane_b32 s3, v2
	v_mad_u64_u32 v[2:3], null, s14, s28, v[1:2]
	v_mul_u32_u24_e32 v5, s12, v1
	s_delay_alu instid0(VALU_DEP_4) | instskip(NEXT) | instid1(VALU_DEP_4)
	v_lshl_add_u32 v15, v0, 3, 0
	s_mul_i32 s4, s4, s3
	v_mad_u64_u32 v[3:4], null, s13, s12, v[0:1]
	s_mul_hi_u32 s1, s3, s4
	s_abs_i32 s4, s0
	s_add_i32 s3, s3, s1
	s_xor_b32 s0, s0, s25
	s_mul_hi_u32 s1, s4, s3
	s_ashr_i32 s14, s0, 31
	s_mul_i32 s3, s1, s2
	v_mul_lo_u32 v17, s7, v2
	s_sub_i32 s3, s4, s3
	s_add_i32 s4, s1, 1
	s_sub_i32 s23, s3, s2
	s_cmp_ge_u32 s3, s2
	v_mul_lo_u32 v18, s21, v2
	s_cselect_b32 s1, s4, s1
	s_cselect_b32 s3, s23, s3
	s_add_i32 s4, s1, 1
	s_cmp_ge_u32 s3, s2
	v_cmp_ne_u32_e64 s0, 0, v1
	s_cselect_b32 s1, s4, s1
	v_lshl_add_u32 v16, v5, 3, v15
	s_xor_b32 s2, s1, s14
	v_cmp_ne_u32_e64 s1, 0, v2
	s_sub_i32 s23, s2, s14
	v_cmp_gt_u16_e64 s25, s28, 1
	s_cmp_gt_i32 s23, -1
	s_mul_i32 s7, s22, s7
	s_cselect_b32 s14, -1, 0
	s_add_i32 s23, s23, 1
	s_mul_i32 s21, s22, s21
	s_branch .LBB77_3
.LBB77_2:                               ;   in Loop: Header=BB77_3 Depth=1
	s_or_b32 exec_lo, exec_lo, s2
	v_add_nc_u32_e32 v3, s29, v3
	s_add_i32 s2, s27, 1
	s_cmp_eq_u32 s27, s26
	s_mov_b32 s27, s2
	s_cbranch_scc1 .LBB77_20
.LBB77_3:                               ; =>This Loop Header: Depth=1
                                        ;     Child Loop BB77_12 Depth 2
                                        ;     Child Loop BB77_9 Depth 2
	s_mul_i32 s2, s27, s24
	v_mov_b32_e32 v6, 0
	s_add_i32 s2, s2, s13
	v_mov_b32_e32 v7, 0
	v_mad_u64_u32 v[4:5], null, s2, s12, v[0:1]
	s_delay_alu instid0(VALU_DEP_1) | instskip(SKIP_1) | instid1(VALU_DEP_2)
	v_cmp_lt_i32_e64 s2, s18, v4
	v_ashrrev_i32_e32 v5, 31, v4
	s_or_b32 s3, s1, s2
	s_delay_alu instid0(SALU_CYCLE_1) | instskip(NEXT) | instid1(SALU_CYCLE_1)
	s_xor_b32 s4, s3, -1
	s_and_saveexec_b32 s3, s4
	s_cbranch_execz .LBB77_5
; %bb.4:                                ;   in Loop: Header=BB77_3 Depth=1
	v_lshlrev_b64 v[6:7], 3, v[4:5]
	s_delay_alu instid0(VALU_DEP_1) | instskip(NEXT) | instid1(VALU_DEP_2)
	v_add_co_u32 v6, vcc_lo, s6, v6
	v_add_co_ci_u32_e32 v7, vcc_lo, s8, v7, vcc_lo
	global_load_b64 v[6:7], v[6:7], off
.LBB77_5:                               ;   in Loop: Header=BB77_3 Depth=1
	s_or_b32 exec_lo, exec_lo, s3
	v_dual_mov_b32 v19, v2 :: v_dual_mov_b32 v10, v17
	v_mov_b32_e32 v8, v18
	s_and_not1_b32 vcc_lo, exec_lo, s14
	s_mov_b32 s30, s23
	s_cbranch_vccz .LBB77_12
.LBB77_6:                               ;   in Loop: Header=BB77_3 Depth=1
	s_and_not1_b32 vcc_lo, exec_lo, s25
	s_mov_b32 s3, s28
	s_waitcnt vmcnt(0)
	ds_store_b64 v16, v[6:7]
	s_waitcnt lgkmcnt(0)
	s_waitcnt_vscnt null, 0x0
	s_barrier
	buffer_gl0_inv
	s_cbranch_vccnz .LBB77_18
	.p2align	6
; %bb.7:                                ;   in Loop: Header=BB77_3 Depth=1
	s_lshr_b32 s4, s3, 1
	s_mov_b32 s30, exec_lo
	v_cmpx_gt_u32_e64 s4, v1
	s_cbranch_execz .LBB77_9
.LBB77_8:                               ;   in Loop: Header=BB77_3 Depth=1
	v_add_nc_u32_e32 v8, s4, v1
	s_delay_alu instid0(VALU_DEP_1) | instskip(NEXT) | instid1(VALU_DEP_1)
	v_mul_u32_u24_e32 v8, s12, v8
	v_lshl_add_u32 v8, v8, 3, v15
	ds_load_b64 v[8:9], v8
	s_waitcnt lgkmcnt(0)
	v_add_f64 v[6:7], v[6:7], v[8:9]
	ds_store_b64 v16, v[6:7]
.LBB77_9:                               ;   Parent Loop BB77_3 Depth=1
                                        ; =>  This Inner Loop Header: Depth=2
	s_or_b32 exec_lo, exec_lo, s30
	s_cmp_lt_u32 s3, 4
	s_waitcnt lgkmcnt(0)
	s_barrier
	buffer_gl0_inv
	s_cbranch_scc1 .LBB77_18
; %bb.10:                               ;   in Loop: Header=BB77_9 Depth=2
	s_mov_b32 s3, s4
	s_delay_alu instid0(SALU_CYCLE_1)
	s_lshr_b32 s4, s3, 1
	s_mov_b32 s30, exec_lo
	v_cmpx_gt_u32_e64 s4, v1
	s_cbranch_execnz .LBB77_8
	s_branch .LBB77_9
.LBB77_11:                              ;   in Loop: Header=BB77_12 Depth=2
	s_or_b32 exec_lo, exec_lo, s3
	v_add_nc_u32_e32 v10, s7, v10
	v_add_nc_u32_e32 v8, s21, v8
	;; [unrolled: 1-line block ×3, first 2 shown]
	s_add_i32 s30, s30, -1
	s_delay_alu instid0(SALU_CYCLE_1)
	s_cmp_eq_u32 s30, 0
	s_cbranch_scc1 .LBB77_6
.LBB77_12:                              ;   Parent Loop BB77_3 Depth=1
                                        ; =>  This Inner Loop Header: Depth=2
	s_waitcnt vmcnt(0)
	v_mov_b32_e32 v11, 0
	v_mov_b32_e32 v12, 0
	v_cmp_le_i32_e32 vcc_lo, s5, v19
	v_cmp_gt_i32_e64 s3, s5, v19
	s_delay_alu instid0(VALU_DEP_3) | instskip(NEXT) | instid1(VALU_DEP_2)
	v_dual_mov_b32 v14, v12 :: v_dual_mov_b32 v13, v11
	s_and_saveexec_b32 s31, s3
	s_cbranch_execz .LBB77_14
; %bb.13:                               ;   in Loop: Header=BB77_12 Depth=2
	v_ashrrev_i32_e32 v9, 31, v8
	s_delay_alu instid0(VALU_DEP_1) | instskip(NEXT) | instid1(VALU_DEP_1)
	v_lshlrev_b64 v[13:14], 3, v[8:9]
	v_add_co_u32 v13, s4, s16, v13
	s_delay_alu instid0(VALU_DEP_1)
	v_add_co_ci_u32_e64 v14, s4, s17, v14, s4
	global_load_b64 v[13:14], v[13:14], off
.LBB77_14:                              ;   in Loop: Header=BB77_12 Depth=2
	s_or_b32 exec_lo, exec_lo, s31
	s_and_saveexec_b32 s4, s3
	s_cbranch_execz .LBB77_16
; %bb.15:                               ;   in Loop: Header=BB77_12 Depth=2
	v_ashrrev_i32_e32 v11, 31, v10
	s_delay_alu instid0(VALU_DEP_1) | instskip(NEXT) | instid1(VALU_DEP_1)
	v_lshlrev_b64 v[11:12], 3, v[10:11]
	v_add_co_u32 v11, s3, s19, v11
	s_delay_alu instid0(VALU_DEP_1)
	v_add_co_ci_u32_e64 v12, s3, s20, v12, s3
	global_load_b64 v[11:12], v[11:12], off
.LBB77_16:                              ;   in Loop: Header=BB77_12 Depth=2
	s_or_b32 exec_lo, exec_lo, s4
	s_or_b32 s3, s2, vcc_lo
	s_delay_alu instid0(SALU_CYCLE_1) | instskip(NEXT) | instid1(SALU_CYCLE_1)
	s_xor_b32 s4, s3, -1
	s_and_saveexec_b32 s3, s4
	s_cbranch_execz .LBB77_11
; %bb.17:                               ;   in Loop: Header=BB77_12 Depth=2
	v_add_nc_u32_e32 v20, v3, v8
	v_add_nc_u32_e32 v22, v3, v10
	s_delay_alu instid0(VALU_DEP_2) | instskip(NEXT) | instid1(VALU_DEP_2)
	v_ashrrev_i32_e32 v21, 31, v20
	v_ashrrev_i32_e32 v23, 31, v22
	s_delay_alu instid0(VALU_DEP_2) | instskip(NEXT) | instid1(VALU_DEP_2)
	v_lshlrev_b64 v[20:21], 3, v[20:21]
	v_lshlrev_b64 v[22:23], 3, v[22:23]
	s_delay_alu instid0(VALU_DEP_2) | instskip(NEXT) | instid1(VALU_DEP_3)
	v_add_co_u32 v20, vcc_lo, s11, v20
	v_add_co_ci_u32_e32 v21, vcc_lo, s15, v21, vcc_lo
	s_delay_alu instid0(VALU_DEP_3) | instskip(NEXT) | instid1(VALU_DEP_4)
	v_add_co_u32 v22, vcc_lo, s9, v22
	v_add_co_ci_u32_e32 v23, vcc_lo, s10, v23, vcc_lo
	global_load_b64 v[20:21], v[20:21], off
	global_load_b64 v[22:23], v[22:23], off
	s_waitcnt vmcnt(1)
	v_mul_f64 v[11:12], v[11:12], v[20:21]
	s_waitcnt vmcnt(0)
	s_delay_alu instid0(VALU_DEP_1) | instskip(NEXT) | instid1(VALU_DEP_1)
	v_fma_f64 v[11:12], v[13:14], v[22:23], v[11:12]
	v_add_f64 v[6:7], v[6:7], -v[11:12]
	s_branch .LBB77_11
.LBB77_18:                              ;   in Loop: Header=BB77_3 Depth=1
	s_or_b32 s2, s0, s2
	s_delay_alu instid0(SALU_CYCLE_1) | instskip(NEXT) | instid1(SALU_CYCLE_1)
	s_xor_b32 s3, s2, -1
	s_and_saveexec_b32 s2, s3
	s_cbranch_execz .LBB77_2
; %bb.19:                               ;   in Loop: Header=BB77_3 Depth=1
	v_lshlrev_b64 v[4:5], 3, v[4:5]
	s_delay_alu instid0(VALU_DEP_1) | instskip(NEXT) | instid1(VALU_DEP_2)
	v_add_co_u32 v4, vcc_lo, s6, v4
	v_add_co_ci_u32_e32 v5, vcc_lo, s8, v5, vcc_lo
	global_store_b64 v[4:5], v[6:7], off
	s_branch .LBB77_2
.LBB77_20:
	s_nop 0
	s_sendmsg sendmsg(MSG_DEALLOC_VGPRS)
	s_endpgm
	.section	.rodata,"a",@progbits
	.p2align	6, 0x0
	.amdhsa_kernel _ZN9rocsolver6v33100L26latrd_upper_updateA_kernelIdPdEEviiiT0_iilPT_iil
		.amdhsa_group_segment_fixed_size 0
		.amdhsa_private_segment_fixed_size 0
		.amdhsa_kernarg_size 320
		.amdhsa_user_sgpr_count 13
		.amdhsa_user_sgpr_dispatch_ptr 0
		.amdhsa_user_sgpr_queue_ptr 0
		.amdhsa_user_sgpr_kernarg_segment_ptr 1
		.amdhsa_user_sgpr_dispatch_id 0
		.amdhsa_user_sgpr_private_segment_size 0
		.amdhsa_wavefront_size32 1
		.amdhsa_uses_dynamic_stack 0
		.amdhsa_enable_private_segment 0
		.amdhsa_system_sgpr_workgroup_id_x 1
		.amdhsa_system_sgpr_workgroup_id_y 1
		.amdhsa_system_sgpr_workgroup_id_z 1
		.amdhsa_system_sgpr_workgroup_info 0
		.amdhsa_system_vgpr_workitem_id 1
		.amdhsa_next_free_vgpr 24
		.amdhsa_next_free_sgpr 32
		.amdhsa_reserve_vcc 1
		.amdhsa_float_round_mode_32 0
		.amdhsa_float_round_mode_16_64 0
		.amdhsa_float_denorm_mode_32 3
		.amdhsa_float_denorm_mode_16_64 3
		.amdhsa_dx10_clamp 1
		.amdhsa_ieee_mode 1
		.amdhsa_fp16_overflow 0
		.amdhsa_workgroup_processor_mode 1
		.amdhsa_memory_ordered 1
		.amdhsa_forward_progress 0
		.amdhsa_shared_vgpr_count 0
		.amdhsa_exception_fp_ieee_invalid_op 0
		.amdhsa_exception_fp_denorm_src 0
		.amdhsa_exception_fp_ieee_div_zero 0
		.amdhsa_exception_fp_ieee_overflow 0
		.amdhsa_exception_fp_ieee_underflow 0
		.amdhsa_exception_fp_ieee_inexact 0
		.amdhsa_exception_int_div_zero 0
	.end_amdhsa_kernel
	.section	.text._ZN9rocsolver6v33100L26latrd_upper_updateA_kernelIdPdEEviiiT0_iilPT_iil,"axG",@progbits,_ZN9rocsolver6v33100L26latrd_upper_updateA_kernelIdPdEEviiiT0_iilPT_iil,comdat
.Lfunc_end77:
	.size	_ZN9rocsolver6v33100L26latrd_upper_updateA_kernelIdPdEEviiiT0_iilPT_iil, .Lfunc_end77-_ZN9rocsolver6v33100L26latrd_upper_updateA_kernelIdPdEEviiiT0_iilPT_iil
                                        ; -- End function
	.section	.AMDGPU.csdata,"",@progbits
; Kernel info:
; codeLenInByte = 1648
; NumSgprs: 34
; NumVgprs: 24
; ScratchSize: 0
; MemoryBound: 0
; FloatMode: 240
; IeeeMode: 1
; LDSByteSize: 0 bytes/workgroup (compile time only)
; SGPRBlocks: 4
; VGPRBlocks: 2
; NumSGPRsForWavesPerEU: 34
; NumVGPRsForWavesPerEU: 24
; Occupancy: 16
; WaveLimiterHint : 0
; COMPUTE_PGM_RSRC2:SCRATCH_EN: 0
; COMPUTE_PGM_RSRC2:USER_SGPR: 13
; COMPUTE_PGM_RSRC2:TRAP_HANDLER: 0
; COMPUTE_PGM_RSRC2:TGID_X_EN: 1
; COMPUTE_PGM_RSRC2:TGID_Y_EN: 1
; COMPUTE_PGM_RSRC2:TGID_Z_EN: 1
; COMPUTE_PGM_RSRC2:TIDIG_COMP_CNT: 1
	.section	.text._ZN9rocsolver6v33100L33latrd_upper_computeW_gemvt_kernelILi256EdPdEEviiiT1_iilPT0_iilS5_iilS5_l,"axG",@progbits,_ZN9rocsolver6v33100L33latrd_upper_computeW_gemvt_kernelILi256EdPdEEviiiT1_iilPT0_iilS5_iilS5_l,comdat
	.globl	_ZN9rocsolver6v33100L33latrd_upper_computeW_gemvt_kernelILi256EdPdEEviiiT1_iilPT0_iilS5_iilS5_l ; -- Begin function _ZN9rocsolver6v33100L33latrd_upper_computeW_gemvt_kernelILi256EdPdEEviiiT1_iilPT0_iilS5_iilS5_l
	.p2align	8
	.type	_ZN9rocsolver6v33100L33latrd_upper_computeW_gemvt_kernelILi256EdPdEEviiiT1_iilPT0_iilS5_iilS5_l,@function
_ZN9rocsolver6v33100L33latrd_upper_computeW_gemvt_kernelILi256EdPdEEviiiT1_iilPT0_iilS5_iilS5_l: ; @_ZN9rocsolver6v33100L33latrd_upper_computeW_gemvt_kernelILi256EdPdEEviiiT1_iilPT0_iilS5_iilS5_l
; %bb.0:
	s_clause 0x1
	s_load_b128 s[20:23], s[0:1], 0x0
	s_load_b128 s[16:19], s[0:1], 0x38
	s_ashr_i32 s24, s15, 31
	s_waitcnt lgkmcnt(0)
	s_cmp_lt_i32 s14, s20
	s_cselect_b32 s23, -1, 0
	s_delay_alu instid0(SALU_CYCLE_1) | instskip(SKIP_1) | instid1(SALU_CYCLE_1)
	s_and_b32 s2, s23, exec_lo
	s_cselect_b32 s2, 0, s20
	s_sub_i32 s2, s14, s2
	s_delay_alu instid0(SALU_CYCLE_1)
	s_ashr_i32 s3, s2, 31
	s_cmp_eq_u32 s2, s22
	s_cbranch_scc1 .LBB78_12
; %bb.1:
	s_clause 0x1
	s_load_b256 s[4:11], s[0:1], 0x10
	s_load_b64 s[26:27], s[0:1], 0x30
	s_mul_i32 s25, s15, s17
	s_mul_hi_u32 s28, s15, s16
	s_mul_i32 s29, s24, s16
	v_cmp_gt_i32_e32 vcc_lo, s22, v0
	v_mov_b32_e32 v1, 0
	v_dual_mov_b32 v2, 0 :: v_dual_cndmask_b32 v3, 0, v0
	s_delay_alu instid0(VALU_DEP_1)
	v_lshlrev_b32_e32 v3, 3, v3
	s_waitcnt lgkmcnt(0)
	s_mul_i32 s9, s15, s9
	s_mul_hi_u32 s12, s15, s8
	s_mul_i32 s13, s24, s8
	s_add_i32 s9, s12, s9
	s_mul_i32 s8, s15, s8
	s_add_i32 s9, s9, s13
	s_ashr_i32 s13, s6, 31
	s_lshl_b64 s[8:9], s[8:9], 3
	s_mov_b32 s12, s6
	s_add_u32 s6, s4, s8
	s_addc_u32 s17, s5, s9
	s_lshl_b64 s[12:13], s[12:13], 3
	s_mov_b32 s30, s26
	s_add_u32 s14, s6, s12
	s_addc_u32 s17, s17, s13
	s_add_i32 s6, s28, s25
	s_mul_i32 s28, s15, s16
	s_add_i32 s29, s6, s29
	s_ashr_i32 s31, s26, 31
	s_lshl_b64 s[28:29], s[28:29], 3
	s_delay_alu instid0(SALU_CYCLE_1) | instskip(SKIP_2) | instid1(SALU_CYCLE_1)
	s_add_u32 s6, s10, s28
	s_addc_u32 s16, s11, s29
	s_lshl_b64 s[10:11], s[30:31], 3
	s_add_u32 s6, s6, s10
	s_addc_u32 s16, s16, s11
	s_sub_i32 s10, s21, s20
	s_delay_alu instid0(SALU_CYCLE_1) | instskip(NEXT) | instid1(SALU_CYCLE_1)
	s_add_i32 s10, s10, s22
	s_add_i32 s10, s10, 1
	s_delay_alu instid0(SALU_CYCLE_1) | instskip(SKIP_1) | instid1(SALU_CYCLE_1)
	s_mul_hi_i32 s11, s27, s10
	s_mul_i32 s10, s27, s10
	s_lshl_b64 s[10:11], s[10:11], 3
	s_delay_alu instid0(SALU_CYCLE_1)
	s_add_u32 s6, s6, s10
	s_addc_u32 s10, s16, s11
	s_and_b32 s11, s23, exec_lo
	s_cselect_b32 s16, s7, s27
	s_cselect_b32 s20, s17, s10
	s_mul_hi_i32 s11, s16, s2
	s_mul_i32 s10, s16, s2
	s_cselect_b32 s6, s14, s6
	s_lshl_b64 s[10:11], s[10:11], 3
	s_delay_alu instid0(SALU_CYCLE_1)
	s_add_u32 s6, s10, s6
	s_addc_u32 s10, s11, s20
	s_ashr_i32 s11, s22, 31
	v_add_co_u32 v3, s6, s6, v3
	s_lshr_b32 s16, s11, 24
	v_add_co_ci_u32_e64 v4, null, s10, 0, s6
	s_add_i32 s16, s22, s16
	s_mul_hi_i32 s11, s7, s22
	s_and_b32 s6, s16, 0xffffff00
	s_cmpk_lt_i32 s22, 0x100
	s_mul_i32 s10, s7, s22
	s_cbranch_scc1 .LBB78_4
; %bb.2:
	s_lshl_b64 s[20:21], s[10:11], 3
	v_dual_mov_b32 v8, v4 :: v_dual_lshlrev_b32 v1, 3, v0
	s_add_u32 s7, s8, s20
	s_addc_u32 s8, s9, s21
	s_add_u32 s7, s7, s12
	s_addc_u32 s8, s8, s13
	;; [unrolled: 2-line block ×3, first 2 shown]
	v_add_co_u32 v5, s4, s4, v1
	v_mov_b32_e32 v1, 0
	v_add_co_ci_u32_e64 v6, null, s5, 0, s4
	v_dual_mov_b32 v2, 0 :: v_dual_mov_b32 v7, v3
	s_mov_b32 s4, 0
	.p2align	6
.LBB78_3:                               ; =>This Inner Loop Header: Depth=1
	global_load_b64 v[9:10], v[7:8], off
	global_load_b64 v[11:12], v[5:6], off
	v_add_co_u32 v5, vcc_lo, 0x800, v5
	v_add_co_ci_u32_e32 v6, vcc_lo, 0, v6, vcc_lo
	v_add_co_u32 v7, vcc_lo, 0x800, v7
	v_add_co_ci_u32_e32 v8, vcc_lo, 0, v8, vcc_lo
	s_addk_i32 s4, 0x100
	s_delay_alu instid0(SALU_CYCLE_1)
	s_cmp_ge_i32 s4, s6
	s_waitcnt vmcnt(0)
	v_fma_f64 v[1:2], v[9:10], v[11:12], v[1:2]
	s_cbranch_scc0 .LBB78_3
.LBB78_4:
	v_add_nc_u32_e32 v5, s6, v0
	s_mov_b32 s4, exec_lo
	s_delay_alu instid0(VALU_DEP_1)
	v_cmpx_gt_i32_e64 s22, v5
	s_cbranch_execz .LBB78_6
; %bb.5:
	v_ashrrev_i32_e32 v6, 31, v5
	s_lshl_b64 s[8:9], s[10:11], 3
	s_delay_alu instid0(SALU_CYCLE_1) | instskip(SKIP_4) | instid1(SALU_CYCLE_1)
	s_add_u32 s5, s14, s8
	s_addc_u32 s8, s17, s9
	s_ashr_i32 s7, s6, 31
	v_lshlrev_b64 v[5:6], 3, v[5:6]
	s_lshl_b64 s[6:7], s[6:7], 3
	v_add_co_u32 v3, vcc_lo, v3, s6
	v_add_co_ci_u32_e32 v4, vcc_lo, s7, v4, vcc_lo
	s_delay_alu instid0(VALU_DEP_3) | instskip(NEXT) | instid1(VALU_DEP_4)
	v_add_co_u32 v5, vcc_lo, s5, v5
	v_add_co_ci_u32_e32 v6, vcc_lo, s8, v6, vcc_lo
	global_load_b64 v[3:4], v[3:4], off
	global_load_b64 v[5:6], v[5:6], off
	s_waitcnt vmcnt(0)
	v_fma_f64 v[1:2], v[3:4], v[5:6], v[1:2]
.LBB78_6:
	s_or_b32 exec_lo, exec_lo, s4
	v_mbcnt_lo_u32_b32 v5, -1, 0
	s_mov_b32 s4, 0
	s_mov_b32 s5, exec_lo
	s_delay_alu instid0(VALU_DEP_1) | instskip(SKIP_2) | instid1(VALU_DEP_2)
	v_cmp_ne_u32_e32 vcc_lo, 31, v5
	v_add_co_ci_u32_e32 v3, vcc_lo, 0, v5, vcc_lo
	v_cmp_gt_u32_e32 vcc_lo, 30, v5
	v_lshlrev_b32_e32 v4, 2, v3
	ds_bpermute_b32 v3, v4, v1
	ds_bpermute_b32 v4, v4, v2
	s_waitcnt lgkmcnt(0)
	v_add_f64 v[1:2], v[1:2], v[3:4]
	v_cndmask_b32_e64 v3, 0, 1, vcc_lo
	v_cmp_gt_u32_e32 vcc_lo, 28, v5
	s_delay_alu instid0(VALU_DEP_2) | instskip(NEXT) | instid1(VALU_DEP_1)
	v_lshlrev_b32_e32 v3, 1, v3
	v_add_lshl_u32 v4, v3, v5, 2
	ds_bpermute_b32 v3, v4, v1
	ds_bpermute_b32 v4, v4, v2
	s_waitcnt lgkmcnt(0)
	v_add_f64 v[1:2], v[1:2], v[3:4]
	v_cndmask_b32_e64 v3, 0, 1, vcc_lo
	v_cmp_gt_u32_e32 vcc_lo, 24, v5
	s_delay_alu instid0(VALU_DEP_2) | instskip(NEXT) | instid1(VALU_DEP_1)
	v_lshlrev_b32_e32 v3, 2, v3
	v_add_lshl_u32 v4, v3, v5, 2
	ds_bpermute_b32 v3, v4, v1
	ds_bpermute_b32 v4, v4, v2
	s_waitcnt lgkmcnt(0)
	v_add_f64 v[1:2], v[1:2], v[3:4]
	v_cndmask_b32_e64 v3, 0, 1, vcc_lo
	v_cmp_gt_u32_e32 vcc_lo, 16, v5
	s_delay_alu instid0(VALU_DEP_2) | instskip(NEXT) | instid1(VALU_DEP_1)
	v_lshlrev_b32_e32 v3, 3, v3
	v_add_lshl_u32 v4, v3, v5, 2
	ds_bpermute_b32 v3, v4, v1
	ds_bpermute_b32 v4, v4, v2
	s_waitcnt lgkmcnt(0)
	v_add_f64 v[1:2], v[1:2], v[3:4]
	v_cndmask_b32_e64 v3, 0, 1, vcc_lo
	s_delay_alu instid0(VALU_DEP_1) | instskip(NEXT) | instid1(VALU_DEP_1)
	v_lshlrev_b32_e32 v3, 4, v3
	v_add_lshl_u32 v4, v3, v5, 2
	ds_bpermute_b32 v3, v4, v1
	ds_bpermute_b32 v4, v4, v2
	s_waitcnt lgkmcnt(0)
	v_add_f64 v[3:4], v[1:2], v[3:4]
	v_and_b32_e32 v1, 31, v0
	s_delay_alu instid0(VALU_DEP_1)
	v_cmpx_eq_u32_e32 0, v1
	s_cbranch_execz .LBB78_8
; %bb.7:
	v_lshrrev_b32_e32 v1, 2, v0
	ds_store_b64 v1, v[3:4]
.LBB78_8:
	s_or_b32 exec_lo, exec_lo, s5
	v_mov_b32_e32 v1, 0
	v_mov_b32_e32 v2, 0
	s_mov_b32 s5, exec_lo
	s_waitcnt lgkmcnt(0)
	s_barrier
	buffer_gl0_inv
	v_cmpx_eq_u32_e32 0, v0
	s_cbranch_execz .LBB78_10
; %bb.9:
	v_mov_b32_e32 v13, 0
	s_mov_b32 s4, exec_lo
	ds_load_2addr_b64 v[5:8], v13 offset0:1 offset1:2
	ds_load_2addr_b64 v[9:12], v13 offset0:3 offset1:4
	s_waitcnt lgkmcnt(1)
	v_add_f64 v[1:2], v[3:4], v[5:6]
	s_delay_alu instid0(VALU_DEP_1) | instskip(SKIP_1) | instid1(VALU_DEP_1)
	v_add_f64 v[1:2], v[1:2], v[7:8]
	s_waitcnt lgkmcnt(0)
	v_add_f64 v[1:2], v[1:2], v[9:10]
	s_delay_alu instid0(VALU_DEP_1) | instskip(SKIP_4) | instid1(VALU_DEP_1)
	v_add_f64 v[5:6], v[1:2], v[11:12]
	ds_load_2addr_b64 v[1:4], v13 offset0:5 offset1:6
	ds_load_b64 v[7:8], v13 offset:56
	s_waitcnt lgkmcnt(1)
	v_add_f64 v[1:2], v[5:6], v[1:2]
	v_add_f64 v[1:2], v[1:2], v[3:4]
	s_waitcnt lgkmcnt(0)
	s_delay_alu instid0(VALU_DEP_1)
	v_add_f64 v[1:2], v[1:2], v[7:8]
.LBB78_10:
	s_or_b32 exec_lo, exec_lo, s5
	s_and_saveexec_b32 s5, s4
	s_cbranch_execnz .LBB78_13
.LBB78_11:
	s_endpgm
.LBB78_12:
	v_mov_b32_e32 v1, 0
	v_mov_b32_e32 v2, 0
	s_mov_b32 s4, -1
	s_delay_alu instid0(SALU_CYCLE_1)
	s_and_saveexec_b32 s5, s4
	s_cbranch_execz .LBB78_11
.LBB78_13:
	v_cmp_eq_u32_e32 vcc_lo, 0, v0
	s_and_b32 exec_lo, exec_lo, vcc_lo
	s_cbranch_execz .LBB78_11
; %bb.14:
	s_clause 0x2
	s_load_b32 s8, s[0:1], 0x48
	s_load_b128 s[4:7], s[0:1], 0x50
	s_load_b64 s[0:1], s[0:1], 0x60
	v_mov_b32_e32 v0, 0
	s_waitcnt lgkmcnt(0)
	s_ashr_i32 s9, s8, 31
	s_mul_i32 s5, s15, s5
	s_mul_hi_u32 s10, s15, s4
	s_mul_i32 s11, s24, s4
	s_add_i32 s5, s10, s5
	s_mul_i32 s4, s15, s4
	s_add_i32 s5, s5, s11
	s_mul_i32 s1, s15, s1
	s_lshl_b64 s[4:5], s[4:5], 3
	s_mul_hi_u32 s10, s15, s0
	s_add_u32 s11, s18, s4
	s_addc_u32 s12, s19, s5
	s_lshl_b64 s[4:5], s[8:9], 3
	s_mul_i32 s8, s24, s0
	s_add_u32 s4, s11, s4
	s_addc_u32 s5, s12, s5
	s_add_i32 s1, s10, s1
	s_mul_i32 s0, s15, s0
	s_add_i32 s1, s1, s8
	s_delay_alu instid0(SALU_CYCLE_1) | instskip(NEXT) | instid1(SALU_CYCLE_1)
	s_lshl_b64 s[0:1], s[0:1], 3
	s_add_u32 s0, s6, s0
	s_addc_u32 s1, s7, s1
	s_and_b32 s6, s23, exec_lo
	s_cselect_b32 s5, s5, s1
	s_cselect_b32 s4, s4, s0
	s_lshl_b64 s[0:1], s[2:3], 3
	s_delay_alu instid0(SALU_CYCLE_1)
	s_add_u32 s0, s4, s0
	s_addc_u32 s1, s5, s1
	global_store_b64 v0, v[1:2], s[0:1]
	s_nop 0
	s_sendmsg sendmsg(MSG_DEALLOC_VGPRS)
	s_endpgm
	.section	.rodata,"a",@progbits
	.p2align	6, 0x0
	.amdhsa_kernel _ZN9rocsolver6v33100L33latrd_upper_computeW_gemvt_kernelILi256EdPdEEviiiT1_iilPT0_iilS5_iilS5_l
		.amdhsa_group_segment_fixed_size 2048
		.amdhsa_private_segment_fixed_size 0
		.amdhsa_kernarg_size 104
		.amdhsa_user_sgpr_count 14
		.amdhsa_user_sgpr_dispatch_ptr 0
		.amdhsa_user_sgpr_queue_ptr 0
		.amdhsa_user_sgpr_kernarg_segment_ptr 1
		.amdhsa_user_sgpr_dispatch_id 0
		.amdhsa_user_sgpr_private_segment_size 0
		.amdhsa_wavefront_size32 1
		.amdhsa_uses_dynamic_stack 0
		.amdhsa_enable_private_segment 0
		.amdhsa_system_sgpr_workgroup_id_x 1
		.amdhsa_system_sgpr_workgroup_id_y 0
		.amdhsa_system_sgpr_workgroup_id_z 1
		.amdhsa_system_sgpr_workgroup_info 0
		.amdhsa_system_vgpr_workitem_id 0
		.amdhsa_next_free_vgpr 14
		.amdhsa_next_free_sgpr 32
		.amdhsa_reserve_vcc 1
		.amdhsa_float_round_mode_32 0
		.amdhsa_float_round_mode_16_64 0
		.amdhsa_float_denorm_mode_32 3
		.amdhsa_float_denorm_mode_16_64 3
		.amdhsa_dx10_clamp 1
		.amdhsa_ieee_mode 1
		.amdhsa_fp16_overflow 0
		.amdhsa_workgroup_processor_mode 1
		.amdhsa_memory_ordered 1
		.amdhsa_forward_progress 0
		.amdhsa_shared_vgpr_count 0
		.amdhsa_exception_fp_ieee_invalid_op 0
		.amdhsa_exception_fp_denorm_src 0
		.amdhsa_exception_fp_ieee_div_zero 0
		.amdhsa_exception_fp_ieee_overflow 0
		.amdhsa_exception_fp_ieee_underflow 0
		.amdhsa_exception_fp_ieee_inexact 0
		.amdhsa_exception_int_div_zero 0
	.end_amdhsa_kernel
	.section	.text._ZN9rocsolver6v33100L33latrd_upper_computeW_gemvt_kernelILi256EdPdEEviiiT1_iilPT0_iilS5_iilS5_l,"axG",@progbits,_ZN9rocsolver6v33100L33latrd_upper_computeW_gemvt_kernelILi256EdPdEEviiiT1_iilPT0_iilS5_iilS5_l,comdat
.Lfunc_end78:
	.size	_ZN9rocsolver6v33100L33latrd_upper_computeW_gemvt_kernelILi256EdPdEEviiiT1_iilPT0_iilS5_iilS5_l, .Lfunc_end78-_ZN9rocsolver6v33100L33latrd_upper_computeW_gemvt_kernelILi256EdPdEEviiiT1_iilPT0_iilS5_iilS5_l
                                        ; -- End function
	.section	.AMDGPU.csdata,"",@progbits
; Kernel info:
; codeLenInByte = 1336
; NumSgprs: 34
; NumVgprs: 14
; ScratchSize: 0
; MemoryBound: 0
; FloatMode: 240
; IeeeMode: 1
; LDSByteSize: 2048 bytes/workgroup (compile time only)
; SGPRBlocks: 4
; VGPRBlocks: 1
; NumSGPRsForWavesPerEU: 34
; NumVGPRsForWavesPerEU: 14
; Occupancy: 16
; WaveLimiterHint : 0
; COMPUTE_PGM_RSRC2:SCRATCH_EN: 0
; COMPUTE_PGM_RSRC2:USER_SGPR: 14
; COMPUTE_PGM_RSRC2:TRAP_HANDLER: 0
; COMPUTE_PGM_RSRC2:TGID_X_EN: 1
; COMPUTE_PGM_RSRC2:TGID_Y_EN: 0
; COMPUTE_PGM_RSRC2:TGID_Z_EN: 1
; COMPUTE_PGM_RSRC2:TIDIG_COMP_CNT: 0
	.section	.text._ZN9rocsolver6v33100L26latrd_upper_updateW_kernelIdPdEEviiiT0_iilPT_iilS5_lS5_l,"axG",@progbits,_ZN9rocsolver6v33100L26latrd_upper_updateW_kernelIdPdEEviiiT0_iilPT_iilS5_lS5_l,comdat
	.globl	_ZN9rocsolver6v33100L26latrd_upper_updateW_kernelIdPdEEviiiT0_iilPT_iilS5_lS5_l ; -- Begin function _ZN9rocsolver6v33100L26latrd_upper_updateW_kernelIdPdEEviiiT0_iilPT_iilS5_lS5_l
	.p2align	8
	.type	_ZN9rocsolver6v33100L26latrd_upper_updateW_kernelIdPdEEviiiT0_iilPT_iilS5_lS5_l,@function
_ZN9rocsolver6v33100L26latrd_upper_updateW_kernelIdPdEEviiiT0_iilPT_iilS5_lS5_l: ; @_ZN9rocsolver6v33100L26latrd_upper_updateW_kernelIdPdEEviiiT0_iilPT_iilS5_lS5_l
; %bb.0:
	s_clause 0x2
	s_load_b32 s33, s[0:1], 0x6c
	s_load_b128 s[24:27], s[0:1], 0x0
	s_load_b64 s[28:29], s[0:1], 0x60
	s_mov_b32 s31, 0
	s_waitcnt lgkmcnt(0)
	s_and_b32 s12, s33, 0xffff
	s_add_i32 s4, s26, -1
	v_cvt_f32_u32_e32 v1, s12
	s_sub_i32 s3, 0, s12
	s_abs_i32 s5, s4
	s_ashr_i32 s4, s4, 31
	s_delay_alu instid0(VALU_DEP_1) | instskip(SKIP_2) | instid1(VALU_DEP_1)
	v_rcp_iflag_f32_e32 v1, v1
	s_waitcnt_depctr 0xfff
	v_mul_f32_e32 v1, 0x4f7ffffe, v1
	v_cvt_u32_f32_e32 v1, v1
	s_delay_alu instid0(VALU_DEP_1) | instskip(NEXT) | instid1(VALU_DEP_1)
	v_readfirstlane_b32 s2, v1
	s_mul_i32 s3, s3, s2
	s_delay_alu instid0(SALU_CYCLE_1) | instskip(NEXT) | instid1(SALU_CYCLE_1)
	s_mul_hi_u32 s3, s2, s3
	s_add_i32 s2, s2, s3
	s_delay_alu instid0(SALU_CYCLE_1) | instskip(NEXT) | instid1(SALU_CYCLE_1)
	s_mul_hi_u32 s2, s5, s2
	s_mul_i32 s3, s2, s12
	s_delay_alu instid0(SALU_CYCLE_1)
	s_sub_i32 s3, s5, s3
	s_add_i32 s5, s2, 1
	s_sub_i32 s6, s3, s12
	s_cmp_ge_u32 s3, s12
	s_cselect_b32 s2, s5, s2
	s_cselect_b32 s3, s6, s3
	s_add_i32 s5, s2, 1
	s_cmp_ge_u32 s3, s12
	s_cselect_b32 s2, s5, s2
	s_abs_i32 s3, s28
	s_xor_b32 s2, s2, s4
	v_cvt_f32_u32_e32 v1, s3
	s_sub_i32 s6, 0, s3
	s_sub_i32 s2, s2, s4
	s_delay_alu instid0(VALU_DEP_1) | instskip(SKIP_2) | instid1(VALU_DEP_1)
	v_rcp_iflag_f32_e32 v1, v1
	s_waitcnt_depctr 0xfff
	v_mul_f32_e32 v1, 0x4f7ffffe, v1
	v_cvt_u32_f32_e32 v1, v1
	s_delay_alu instid0(VALU_DEP_1) | instskip(NEXT) | instid1(VALU_DEP_1)
	v_readfirstlane_b32 s5, v1
	s_mul_i32 s6, s6, s5
	s_delay_alu instid0(SALU_CYCLE_1)
	s_mul_hi_u32 s4, s5, s6
	s_abs_i32 s6, s2
	s_add_i32 s5, s5, s4
	s_xor_b32 s2, s2, s28
	s_mul_hi_u32 s4, s6, s5
	s_ashr_i32 s2, s2, 31
	s_mul_i32 s5, s4, s3
	s_delay_alu instid0(SALU_CYCLE_1)
	s_sub_i32 s5, s6, s5
	s_add_i32 s6, s4, 1
	s_sub_i32 s7, s5, s3
	s_cmp_ge_u32 s5, s3
	s_cselect_b32 s4, s6, s4
	s_cselect_b32 s5, s7, s5
	s_add_i32 s6, s4, 1
	s_cmp_ge_u32 s5, s3
	s_cselect_b32 s3, s6, s4
	s_delay_alu instid0(SALU_CYCLE_1) | instskip(NEXT) | instid1(SALU_CYCLE_1)
	s_xor_b32 s3, s3, s2
	s_sub_i32 s30, s3, s2
	s_delay_alu instid0(SALU_CYCLE_1)
	s_cmp_lt_i32 s30, 0
	s_cbranch_scc1 .LBB79_20
; %bb.1:
	s_clause 0x3
	s_load_b256 s[4:11], s[0:1], 0x10
	s_load_b64 s[2:3], s[0:1], 0x30
	s_load_b256 s[16:23], s[0:1], 0x38
	s_load_b64 s[0:1], s[0:1], 0x58
	s_ashr_i32 s27, s15, 31
	s_lshr_b32 s33, s33, 16
	v_mov_b32_e32 v17, 0
	v_cvt_f32_u32_e32 v1, s33
	s_delay_alu instid0(VALU_DEP_1)
	v_rcp_iflag_f32_e32 v1, v1
	s_waitcnt lgkmcnt(0)
	s_ashr_i32 s35, s6, 31
	s_mov_b32 s34, s6
	s_mul_i32 s6, s15, s9
	s_mul_hi_u32 s9, s15, s8
	s_mul_i32 s37, s27, s8
	s_add_i32 s6, s9, s6
	s_mul_i32 s8, s15, s8
	s_add_i32 s9, s6, s37
	s_mul_i32 s17, s15, s17
	s_lshl_b64 s[8:9], s[8:9], 3
	s_mul_hi_u32 s38, s15, s16
	s_add_u32 s8, s4, s8
	s_addc_u32 s9, s5, s9
	s_lshl_b64 s[4:5], s[34:35], 3
	s_mul_i32 s6, s27, s16
	s_add_u32 s34, s8, s4
	s_addc_u32 s35, s9, s5
	s_add_i32 s4, s38, s17
	s_mul_i32 s16, s15, s16
	s_add_i32 s17, s4, s6
	s_mov_b32 s36, s2
	s_lshl_b64 s[4:5], s[16:17], 3
	s_ashr_i32 s37, s2, 31
	s_add_u32 s2, s10, s4
	s_addc_u32 s10, s11, s5
	s_lshl_b64 s[4:5], s[36:37], 3
	s_mul_i32 s21, s15, s21
	s_mul_hi_u32 s9, s15, s20
	s_add_u32 s2, s2, s4
	s_mul_i32 s6, s27, s20
	s_mul_i32 s8, s15, s20
	s_addc_u32 s20, s10, s5
	s_add_i32 s4, s9, s21
	s_mul_i32 s1, s15, s1
	s_add_i32 s9, s4, s6
	s_mul_hi_u32 s10, s15, s0
	s_lshl_b64 s[4:5], s[8:9], 3
	s_mul_i32 s27, s27, s0
	s_add_u32 s6, s18, s4
	s_addc_u32 s8, s19, s5
	s_add_i32 s1, s10, s1
	s_mul_i32 s0, s15, s0
	s_add_i32 s1, s1, s27
	s_waitcnt_depctr 0xfff
	v_mul_f32_e32 v1, 0x4f7ffffe, v1
	s_lshl_b64 s[0:1], s[0:1], 3
	s_delay_alu instid0(SALU_CYCLE_1)
	s_add_u32 s4, s22, s0
	s_addc_u32 s5, s23, s1
	s_sub_i32 s0, s26, s24
	s_not_b32 s9, s26
	s_add_i32 s17, s0, s25
	s_add_i32 s9, s9, s24
	s_mul_hi_i32 s1, s3, s17
	s_mul_i32 s0, s3, s17
	v_cvt_u32_f32_e32 v1, v1
	s_lshl_b64 s[0:1], s[0:1], 3
	s_mul_i32 s23, s13, s12
	s_add_u32 s10, s2, s0
	s_addc_u32 s11, s20, s1
	s_add_i32 s0, s26, 1
	s_delay_alu instid0(SALU_CYCLE_1) | instskip(SKIP_1) | instid1(SALU_CYCLE_1)
	s_mul_hi_i32 s1, s7, s0
	s_mul_i32 s0, s7, s0
	s_lshl_b64 s[0:1], s[0:1], 3
	s_delay_alu instid0(SALU_CYCLE_1) | instskip(SKIP_2) | instid1(SALU_CYCLE_1)
	s_add_u32 s15, s34, s0
	s_addc_u32 s16, s35, s1
	s_add_i32 s17, s17, 1
	s_mul_hi_i32 s1, s3, s17
	s_mul_i32 s0, s3, s17
	s_delay_alu instid0(SALU_CYCLE_1) | instskip(NEXT) | instid1(SALU_CYCLE_1)
	s_lshl_b64 s[0:1], s[0:1], 3
	s_add_u32 s17, s2, s0
	s_addc_u32 s18, s20, s1
	s_ashr_i32 s27, s26, 31
	v_readfirstlane_b32 s2, v1
	s_lshl_b64 s[0:1], s[26:27], 3
	s_delay_alu instid0(SALU_CYCLE_1)
	s_add_u32 s21, s10, s0
	s_addc_u32 s22, s11, s1
	s_add_u32 s4, s4, s0
	s_addc_u32 s5, s5, s1
	s_sub_i32 s0, 0, s33
	s_add_i32 s1, s9, -1
	s_mul_i32 s0, s0, s2
	s_abs_i32 s19, s1
	s_mul_hi_u32 s0, s2, s0
	s_ashr_i32 s1, s1, 31
	s_add_i32 s2, s2, s0
	s_delay_alu instid0(SALU_CYCLE_1) | instskip(NEXT) | instid1(SALU_CYCLE_1)
	s_mul_hi_u32 s0, s19, s2
	s_mul_i32 s2, s0, s33
	s_delay_alu instid0(SALU_CYCLE_1)
	s_sub_i32 s2, s19, s2
	s_add_i32 s19, s0, 1
	s_sub_i32 s20, s2, s33
	s_cmp_ge_u32 s2, s33
	s_cselect_b32 s0, s19, s0
	s_cselect_b32 s2, s20, s2
	s_add_i32 s19, s0, 1
	s_cmp_ge_u32 s2, s33
	v_cmp_gt_u16_e64 s20, s33, 1
	s_cselect_b32 s0, s19, s0
	s_abs_i32 s2, s29
	s_xor_b32 s0, s0, s1
	v_cvt_f32_u32_e32 v1, s2
	s_sub_i32 s24, 0, s2
	s_sub_i32 s1, s0, s1
	s_mul_i32 s19, s29, s33
	s_delay_alu instid0(VALU_DEP_1) | instskip(SKIP_2) | instid1(VALU_DEP_2)
	v_rcp_iflag_f32_e32 v2, v1
	v_and_b32_e32 v1, 0x3ff, v0
	v_bfe_u32 v0, v0, 10, 10
	v_lshl_add_u32 v18, v1, 3, 0
	s_waitcnt_depctr 0xfff
	v_mul_f32_e32 v2, 0x4f7ffffe, v2
	s_delay_alu instid0(VALU_DEP_1) | instskip(SKIP_2) | instid1(VALU_DEP_3)
	v_cvt_u32_f32_e32 v4, v2
	v_mad_u64_u32 v[2:3], null, s14, s33, v[0:1]
	v_mul_u32_u24_e32 v3, s12, v0
	v_readfirstlane_b32 s14, v4
	s_delay_alu instid0(VALU_DEP_2) | instskip(NEXT) | instid1(VALU_DEP_4)
	v_lshl_add_u32 v19, v3, 3, v18
	v_mul_lo_u32 v4, s7, v2
	s_delay_alu instid0(VALU_DEP_3)
	s_mul_i32 s24, s24, s14
	v_mul_lo_u32 v5, s3, v2
	s_mul_hi_u32 s0, s14, s24
	s_abs_i32 s24, s1
	s_add_i32 s14, s14, s0
	s_xor_b32 s1, s1, s29
	s_mul_hi_u32 s14, s24, s14
	s_ashr_i32 s27, s1, 31
	s_mul_i32 s25, s14, s2
	v_cmp_eq_u32_e64 s0, 0, v0
	s_sub_i32 s1, s24, s25
	s_add_i32 s24, s14, 1
	s_sub_i32 s25, s1, s2
	s_cmp_ge_u32 s1, s2
	v_add3_u32 v20, v1, v4, s23
	s_cselect_b32 s14, s24, s14
	s_cselect_b32 s1, s25, s1
	s_add_i32 s24, s14, 1
	s_cmp_ge_u32 s1, s2
	v_add3_u32 v21, v1, v5, s23
	s_cselect_b32 s1, s24, s14
	s_mul_i32 s24, s28, s12
	s_xor_b32 s2, s1, s27
	v_cmp_eq_u32_e64 s1, 0, v2
	s_sub_i32 s2, s2, s27
	s_mul_i32 s7, s19, s7
	s_cmp_gt_i32 s2, -1
	s_mul_i32 s25, s19, s3
	s_cselect_b32 s14, -1, 0
	s_add_u32 s21, s21, 8
	s_addc_u32 s22, s22, 0
	s_add_i32 s23, s2, 1
	s_branch .LBB79_3
.LBB79_2:                               ;   in Loop: Header=BB79_3 Depth=1
	s_or_b32 exec_lo, exec_lo, s2
	v_add_nc_u32_e32 v20, s24, v20
	v_add_nc_u32_e32 v21, s24, v21
	s_add_i32 s2, s31, 1
	s_cmp_eq_u32 s31, s30
	s_mov_b32 s31, s2
	s_cbranch_scc1 .LBB79_20
.LBB79_3:                               ; =>This Loop Header: Depth=1
                                        ;     Child Loop BB79_12 Depth 2
                                        ;     Child Loop BB79_9 Depth 2
	s_mul_i32 s2, s31, s28
	v_mov_b32_e32 v5, 0
	s_add_i32 s2, s2, s13
	v_mov_b32_e32 v6, 0
	v_mad_u64_u32 v[3:4], null, s2, s12, v[1:2]
	s_delay_alu instid0(VALU_DEP_1) | instskip(SKIP_1) | instid1(VALU_DEP_2)
	v_cmp_gt_i32_e64 s2, s26, v3
	v_ashrrev_i32_e32 v4, 31, v3
	s_and_b32 s27, s1, s2
	s_delay_alu instid0(SALU_CYCLE_1)
	s_and_saveexec_b32 s3, s27
	s_cbranch_execz .LBB79_5
; %bb.4:                                ;   in Loop: Header=BB79_3 Depth=1
	s_delay_alu instid0(VALU_DEP_1) | instskip(NEXT) | instid1(VALU_DEP_1)
	v_lshlrev_b64 v[5:6], 3, v[3:4]
	v_add_co_u32 v5, vcc_lo, s10, v5
	s_delay_alu instid0(VALU_DEP_2)
	v_add_co_ci_u32_e32 v6, vcc_lo, s11, v6, vcc_lo
	global_load_b64 v[5:6], v[5:6], off
.LBB79_5:                               ;   in Loop: Header=BB79_3 Depth=1
	s_or_b32 exec_lo, exec_lo, s3
	v_mov_b32_e32 v7, v2
	v_mov_b32_e32 v9, v21
	;; [unrolled: 1-line block ×3, first 2 shown]
	s_and_not1_b32 vcc_lo, exec_lo, s14
	s_mov_b32 s27, s23
	s_cbranch_vccz .LBB79_12
.LBB79_6:                               ;   in Loop: Header=BB79_3 Depth=1
	s_and_not1_b32 vcc_lo, exec_lo, s20
	s_mov_b32 s3, s33
	s_waitcnt vmcnt(0)
	ds_store_b64 v19, v[5:6]
	s_waitcnt lgkmcnt(0)
	s_waitcnt_vscnt null, 0x0
	s_barrier
	buffer_gl0_inv
	s_cbranch_vccnz .LBB79_18
	.p2align	6
; %bb.7:                                ;   in Loop: Header=BB79_3 Depth=1
	s_lshr_b32 s27, s3, 1
	s_mov_b32 s29, exec_lo
	v_cmpx_gt_u32_e64 s27, v0
	s_cbranch_execz .LBB79_9
.LBB79_8:                               ;   in Loop: Header=BB79_3 Depth=1
	v_add_nc_u32_e32 v7, s27, v0
	s_delay_alu instid0(VALU_DEP_1) | instskip(NEXT) | instid1(VALU_DEP_1)
	v_mul_u32_u24_e32 v7, s12, v7
	v_lshl_add_u32 v7, v7, 3, v18
	ds_load_b64 v[7:8], v7
	s_waitcnt lgkmcnt(0)
	v_add_f64 v[5:6], v[5:6], v[7:8]
	ds_store_b64 v19, v[5:6]
.LBB79_9:                               ;   Parent Loop BB79_3 Depth=1
                                        ; =>  This Inner Loop Header: Depth=2
	s_or_b32 exec_lo, exec_lo, s29
	s_cmp_lt_u32 s3, 4
	s_waitcnt lgkmcnt(0)
	s_barrier
	buffer_gl0_inv
	s_cbranch_scc1 .LBB79_18
; %bb.10:                               ;   in Loop: Header=BB79_9 Depth=2
	s_mov_b32 s3, s27
	s_delay_alu instid0(SALU_CYCLE_1)
	s_lshr_b32 s27, s3, 1
	s_mov_b32 s29, exec_lo
	v_cmpx_gt_u32_e64 s27, v0
	s_cbranch_execnz .LBB79_8
	s_branch .LBB79_9
.LBB79_11:                              ;   in Loop: Header=BB79_12 Depth=2
	s_or_b32 exec_lo, exec_lo, s3
	v_add_nc_u32_e32 v11, s7, v11
	v_add_nc_u32_e32 v9, s25, v9
	;; [unrolled: 1-line block ×3, first 2 shown]
	s_add_i32 s27, s27, -1
	s_delay_alu instid0(SALU_CYCLE_1)
	s_cmp_eq_u32 s27, 0
	s_cbranch_scc1 .LBB79_6
.LBB79_12:                              ;   Parent Loop BB79_3 Depth=1
                                        ; =>  This Inner Loop Header: Depth=2
	s_waitcnt vmcnt(0)
	v_mov_b32_e32 v13, 0
	v_mov_b32_e32 v14, 0
	v_cmp_gt_i32_e32 vcc_lo, s9, v7
	v_ashrrev_i32_e32 v8, 31, v7
	s_delay_alu instid0(VALU_DEP_3)
	v_dual_mov_b32 v16, v14 :: v_dual_mov_b32 v15, v13
	s_and_saveexec_b32 s29, vcc_lo
	s_cbranch_execnz .LBB79_15
; %bb.13:                               ;   in Loop: Header=BB79_12 Depth=2
	s_or_b32 exec_lo, exec_lo, s29
	s_and_saveexec_b32 s29, vcc_lo
	s_cbranch_execnz .LBB79_16
.LBB79_14:                              ;   in Loop: Header=BB79_12 Depth=2
	s_or_b32 exec_lo, exec_lo, s29
	s_and_b32 s29, s2, vcc_lo
	s_delay_alu instid0(SALU_CYCLE_1)
	s_and_saveexec_b32 s3, s29
	s_cbranch_execz .LBB79_11
	s_branch .LBB79_17
.LBB79_15:                              ;   in Loop: Header=BB79_12 Depth=2
	s_delay_alu instid0(VALU_DEP_2) | instskip(NEXT) | instid1(VALU_DEP_1)
	v_lshlrev_b64 v[15:16], 3, v[7:8]
	v_add_co_u32 v15, s3, s6, v15
	s_delay_alu instid0(VALU_DEP_1)
	v_add_co_ci_u32_e64 v16, s3, s8, v16, s3
	global_load_b64 v[15:16], v[15:16], off
	s_or_b32 exec_lo, exec_lo, s29
	s_and_saveexec_b32 s29, vcc_lo
	s_cbranch_execz .LBB79_14
.LBB79_16:                              ;   in Loop: Header=BB79_12 Depth=2
	v_lshlrev_b64 v[12:13], 3, v[7:8]
	s_delay_alu instid0(VALU_DEP_1) | instskip(NEXT) | instid1(VALU_DEP_1)
	v_add_co_u32 v12, s3, s21, v12
	v_add_co_ci_u32_e64 v13, s3, s22, v13, s3
	global_load_b64 v[13:14], v[12:13], off
	s_or_b32 exec_lo, exec_lo, s29
	s_and_b32 s29, s2, vcc_lo
	s_delay_alu instid0(SALU_CYCLE_1)
	s_and_saveexec_b32 s3, s29
	s_cbranch_execz .LBB79_11
.LBB79_17:                              ;   in Loop: Header=BB79_12 Depth=2
	v_ashrrev_i32_e32 v10, 31, v9
	v_ashrrev_i32_e32 v12, 31, v11
	s_delay_alu instid0(VALU_DEP_2) | instskip(NEXT) | instid1(VALU_DEP_2)
	v_lshlrev_b64 v[22:23], 3, v[9:10]
	v_lshlrev_b64 v[24:25], 3, v[11:12]
	s_delay_alu instid0(VALU_DEP_2) | instskip(NEXT) | instid1(VALU_DEP_3)
	v_add_co_u32 v22, vcc_lo, s17, v22
	v_add_co_ci_u32_e32 v23, vcc_lo, s18, v23, vcc_lo
	s_delay_alu instid0(VALU_DEP_3) | instskip(NEXT) | instid1(VALU_DEP_4)
	v_add_co_u32 v24, vcc_lo, s15, v24
	v_add_co_ci_u32_e32 v25, vcc_lo, s16, v25, vcc_lo
	global_load_b64 v[22:23], v[22:23], off
	global_load_b64 v[24:25], v[24:25], off
	s_waitcnt vmcnt(1)
	v_mul_f64 v[12:13], v[13:14], v[22:23]
	s_waitcnt vmcnt(0)
	s_delay_alu instid0(VALU_DEP_1) | instskip(NEXT) | instid1(VALU_DEP_1)
	v_fma_f64 v[12:13], v[15:16], v[24:25], v[12:13]
	v_add_f64 v[5:6], v[5:6], -v[12:13]
	s_branch .LBB79_11
.LBB79_18:                              ;   in Loop: Header=BB79_3 Depth=1
	s_and_b32 s3, s0, s2
	s_delay_alu instid0(SALU_CYCLE_1)
	s_and_saveexec_b32 s2, s3
	s_cbranch_execz .LBB79_2
; %bb.19:                               ;   in Loop: Header=BB79_3 Depth=1
	global_load_b64 v[7:8], v17, s[4:5] offset:-8
	v_lshlrev_b64 v[3:4], 3, v[3:4]
	s_delay_alu instid0(VALU_DEP_1) | instskip(NEXT) | instid1(VALU_DEP_2)
	v_add_co_u32 v3, vcc_lo, s10, v3
	v_add_co_ci_u32_e32 v4, vcc_lo, s11, v4, vcc_lo
	s_waitcnt vmcnt(0)
	v_mul_f64 v[5:6], v[5:6], v[7:8]
	global_store_b64 v[3:4], v[5:6], off
	s_branch .LBB79_2
.LBB79_20:
	s_nop 0
	s_sendmsg sendmsg(MSG_DEALLOC_VGPRS)
	s_endpgm
	.section	.rodata,"a",@progbits
	.p2align	6, 0x0
	.amdhsa_kernel _ZN9rocsolver6v33100L26latrd_upper_updateW_kernelIdPdEEviiiT0_iilPT_iilS5_lS5_l
		.amdhsa_group_segment_fixed_size 0
		.amdhsa_private_segment_fixed_size 0
		.amdhsa_kernarg_size 352
		.amdhsa_user_sgpr_count 13
		.amdhsa_user_sgpr_dispatch_ptr 0
		.amdhsa_user_sgpr_queue_ptr 0
		.amdhsa_user_sgpr_kernarg_segment_ptr 1
		.amdhsa_user_sgpr_dispatch_id 0
		.amdhsa_user_sgpr_private_segment_size 0
		.amdhsa_wavefront_size32 1
		.amdhsa_uses_dynamic_stack 0
		.amdhsa_enable_private_segment 0
		.amdhsa_system_sgpr_workgroup_id_x 1
		.amdhsa_system_sgpr_workgroup_id_y 1
		.amdhsa_system_sgpr_workgroup_id_z 1
		.amdhsa_system_sgpr_workgroup_info 0
		.amdhsa_system_vgpr_workitem_id 1
		.amdhsa_next_free_vgpr 26
		.amdhsa_next_free_sgpr 39
		.amdhsa_reserve_vcc 1
		.amdhsa_float_round_mode_32 0
		.amdhsa_float_round_mode_16_64 0
		.amdhsa_float_denorm_mode_32 3
		.amdhsa_float_denorm_mode_16_64 3
		.amdhsa_dx10_clamp 1
		.amdhsa_ieee_mode 1
		.amdhsa_fp16_overflow 0
		.amdhsa_workgroup_processor_mode 1
		.amdhsa_memory_ordered 1
		.amdhsa_forward_progress 0
		.amdhsa_shared_vgpr_count 0
		.amdhsa_exception_fp_ieee_invalid_op 0
		.amdhsa_exception_fp_denorm_src 0
		.amdhsa_exception_fp_ieee_div_zero 0
		.amdhsa_exception_fp_ieee_overflow 0
		.amdhsa_exception_fp_ieee_underflow 0
		.amdhsa_exception_fp_ieee_inexact 0
		.amdhsa_exception_int_div_zero 0
	.end_amdhsa_kernel
	.section	.text._ZN9rocsolver6v33100L26latrd_upper_updateW_kernelIdPdEEviiiT0_iilPT_iilS5_lS5_l,"axG",@progbits,_ZN9rocsolver6v33100L26latrd_upper_updateW_kernelIdPdEEviiiT0_iilPT_iilS5_lS5_l,comdat
.Lfunc_end79:
	.size	_ZN9rocsolver6v33100L26latrd_upper_updateW_kernelIdPdEEviiiT0_iilPT_iilS5_lS5_l, .Lfunc_end79-_ZN9rocsolver6v33100L26latrd_upper_updateW_kernelIdPdEEviiiT0_iilPT_iilS5_lS5_l
                                        ; -- End function
	.section	.AMDGPU.csdata,"",@progbits
; Kernel info:
; codeLenInByte = 1808
; NumSgprs: 41
; NumVgprs: 26
; ScratchSize: 0
; MemoryBound: 0
; FloatMode: 240
; IeeeMode: 1
; LDSByteSize: 0 bytes/workgroup (compile time only)
; SGPRBlocks: 5
; VGPRBlocks: 3
; NumSGPRsForWavesPerEU: 41
; NumVGPRsForWavesPerEU: 26
; Occupancy: 16
; WaveLimiterHint : 0
; COMPUTE_PGM_RSRC2:SCRATCH_EN: 0
; COMPUTE_PGM_RSRC2:USER_SGPR: 13
; COMPUTE_PGM_RSRC2:TRAP_HANDLER: 0
; COMPUTE_PGM_RSRC2:TGID_X_EN: 1
; COMPUTE_PGM_RSRC2:TGID_Y_EN: 1
; COMPUTE_PGM_RSRC2:TGID_Z_EN: 1
; COMPUTE_PGM_RSRC2:TIDIG_COMP_CNT: 1
	.section	.text._ZN9rocsolver6v33100L11set_tridiagIddPdTnNSt9enable_ifIXnt18rocblas_is_complexIT_EEiE4typeELi0EEEv13rocblas_fill_iT1_iilPT0_lSA_l,"axG",@progbits,_ZN9rocsolver6v33100L11set_tridiagIddPdTnNSt9enable_ifIXnt18rocblas_is_complexIT_EEiE4typeELi0EEEv13rocblas_fill_iT1_iilPT0_lSA_l,comdat
	.globl	_ZN9rocsolver6v33100L11set_tridiagIddPdTnNSt9enable_ifIXnt18rocblas_is_complexIT_EEiE4typeELi0EEEv13rocblas_fill_iT1_iilPT0_lSA_l ; -- Begin function _ZN9rocsolver6v33100L11set_tridiagIddPdTnNSt9enable_ifIXnt18rocblas_is_complexIT_EEiE4typeELi0EEEv13rocblas_fill_iT1_iilPT0_lSA_l
	.p2align	8
	.type	_ZN9rocsolver6v33100L11set_tridiagIddPdTnNSt9enable_ifIXnt18rocblas_is_complexIT_EEiE4typeELi0EEEv13rocblas_fill_iT1_iilPT0_lSA_l,@function
_ZN9rocsolver6v33100L11set_tridiagIddPdTnNSt9enable_ifIXnt18rocblas_is_complexIT_EEiE4typeELi0EEEv13rocblas_fill_iT1_iilPT0_lSA_l: ; @_ZN9rocsolver6v33100L11set_tridiagIddPdTnNSt9enable_ifIXnt18rocblas_is_complexIT_EEiE4typeELi0EEEv13rocblas_fill_iT1_iilPT0_lSA_l
; %bb.0:
	s_clause 0x1
	s_load_b32 s4, s[0:1], 0x4c
	s_load_b64 s[2:3], s[0:1], 0x0
	s_waitcnt lgkmcnt(0)
	s_and_b32 s4, s4, 0xffff
	s_delay_alu instid0(SALU_CYCLE_1) | instskip(SKIP_1) | instid1(VALU_DEP_1)
	v_mad_u64_u32 v[2:3], null, s14, s4, v[0:1]
	s_mov_b32 s4, exec_lo
	v_cmpx_gt_i32_e64 s3, v2
	s_cbranch_execz .LBB80_7
; %bb.1:
	s_clause 0x1
	s_load_b128 s[16:19], s[0:1], 0x8
	s_load_b256 s[4:11], s[0:1], 0x18
	s_ashr_i32 s12, s15, 31
	s_waitcnt lgkmcnt(0)
	v_mad_u64_u32 v[0:1], null, v2, s19, v[2:3]
	s_mul_i32 s5, s15, s5
	s_mul_hi_u32 s13, s15, s4
	s_mul_i32 s14, s12, s4
	s_add_i32 s5, s13, s5
	s_mul_i32 s4, s15, s4
	s_add_i32 s5, s5, s14
	s_delay_alu instid0(VALU_DEP_1)
	v_ashrrev_i32_e32 v1, 31, v0
	s_lshl_b64 s[4:5], s[4:5], 3
	s_ashr_i32 s21, s18, 31
	s_mov_b32 s20, s18
	s_add_u32 s13, s16, s4
	v_lshlrev_b64 v[3:4], 3, v[0:1]
	s_addc_u32 s14, s17, s5
	s_lshl_b64 s[4:5], s[20:21], 3
	s_mul_i32 s9, s15, s9
	s_add_u32 s4, s13, s4
	s_addc_u32 s5, s14, s5
	v_add_co_u32 v3, vcc_lo, s4, v3
	v_add_co_ci_u32_e32 v4, vcc_lo, s5, v4, vcc_lo
	s_mul_hi_u32 s13, s15, s8
	s_delay_alu instid0(SALU_CYCLE_1)
	s_add_i32 s9, s13, s9
	global_load_b64 v[5:6], v[3:4], off
	v_ashrrev_i32_e32 v3, 31, v2
	s_mul_i32 s13, s12, s8
	s_mul_i32 s8, s15, s8
	s_add_i32 s9, s9, s13
	s_delay_alu instid0(VALU_DEP_1) | instskip(SKIP_1) | instid1(SALU_CYCLE_1)
	v_lshlrev_b64 v[3:4], 3, v[2:3]
	s_lshl_b64 s[8:9], s[8:9], 3
	s_add_u32 s6, s6, s8
	s_addc_u32 s7, s7, s9
	s_add_i32 s3, s3, -1
	s_delay_alu instid0(VALU_DEP_1)
	v_add_co_u32 v7, vcc_lo, s6, v3
	v_add_co_ci_u32_e32 v8, vcc_lo, s7, v4, vcc_lo
	v_cmp_gt_i32_e32 vcc_lo, s3, v2
	s_mov_b32 s3, -1
	s_waitcnt vmcnt(0)
	global_store_b64 v[7:8], v[5:6], off
	s_and_b32 exec_lo, exec_lo, vcc_lo
	s_cbranch_execz .LBB80_7
; %bb.2:
	s_load_b64 s[0:1], s[0:1], 0x38
	s_waitcnt lgkmcnt(0)
	s_mul_i32 s1, s15, s1
	s_mul_hi_u32 s6, s15, s0
	s_mul_i32 s7, s12, s0
	s_add_i32 s1, s6, s1
	s_mul_i32 s0, s15, s0
	s_add_i32 s1, s1, s7
	s_delay_alu instid0(SALU_CYCLE_1) | instskip(NEXT) | instid1(SALU_CYCLE_1)
	s_lshl_b64 s[0:1], s[0:1], 3
	s_add_u32 s0, s10, s0
	s_addc_u32 s1, s11, s1
	v_add_co_u32 v1, vcc_lo, s0, v3
	v_add_co_ci_u32_e32 v2, vcc_lo, s1, v4, vcc_lo
	s_cmpk_lg_i32 s2, 0x7a
	global_load_b64 v[1:2], v[1:2], off
	s_cbranch_scc0 .LBB80_4
; %bb.3:
	v_add_nc_u32_e32 v3, s19, v0
	s_cbranch_execz .LBB80_5
	s_branch .LBB80_6
.LBB80_4:
                                        ; implicit-def: $vgpr3
	s_and_not1_b32 vcc_lo, exec_lo, s3
	s_cbranch_vccnz .LBB80_6
.LBB80_5:
	v_add_nc_u32_e32 v3, 1, v0
.LBB80_6:
	s_delay_alu instid0(VALU_DEP_1) | instskip(NEXT) | instid1(VALU_DEP_1)
	v_ashrrev_i32_e32 v4, 31, v3
	v_lshlrev_b64 v[3:4], 3, v[3:4]
	s_delay_alu instid0(VALU_DEP_1) | instskip(NEXT) | instid1(VALU_DEP_2)
	v_add_co_u32 v3, vcc_lo, s4, v3
	v_add_co_ci_u32_e32 v4, vcc_lo, s5, v4, vcc_lo
	s_waitcnt vmcnt(0)
	global_store_b64 v[3:4], v[1:2], off
.LBB80_7:
	s_nop 0
	s_sendmsg sendmsg(MSG_DEALLOC_VGPRS)
	s_endpgm
	.section	.rodata,"a",@progbits
	.p2align	6, 0x0
	.amdhsa_kernel _ZN9rocsolver6v33100L11set_tridiagIddPdTnNSt9enable_ifIXnt18rocblas_is_complexIT_EEiE4typeELi0EEEv13rocblas_fill_iT1_iilPT0_lSA_l
		.amdhsa_group_segment_fixed_size 0
		.amdhsa_private_segment_fixed_size 0
		.amdhsa_kernarg_size 320
		.amdhsa_user_sgpr_count 14
		.amdhsa_user_sgpr_dispatch_ptr 0
		.amdhsa_user_sgpr_queue_ptr 0
		.amdhsa_user_sgpr_kernarg_segment_ptr 1
		.amdhsa_user_sgpr_dispatch_id 0
		.amdhsa_user_sgpr_private_segment_size 0
		.amdhsa_wavefront_size32 1
		.amdhsa_uses_dynamic_stack 0
		.amdhsa_enable_private_segment 0
		.amdhsa_system_sgpr_workgroup_id_x 1
		.amdhsa_system_sgpr_workgroup_id_y 1
		.amdhsa_system_sgpr_workgroup_id_z 0
		.amdhsa_system_sgpr_workgroup_info 0
		.amdhsa_system_vgpr_workitem_id 0
		.amdhsa_next_free_vgpr 9
		.amdhsa_next_free_sgpr 22
		.amdhsa_reserve_vcc 1
		.amdhsa_float_round_mode_32 0
		.amdhsa_float_round_mode_16_64 0
		.amdhsa_float_denorm_mode_32 3
		.amdhsa_float_denorm_mode_16_64 3
		.amdhsa_dx10_clamp 1
		.amdhsa_ieee_mode 1
		.amdhsa_fp16_overflow 0
		.amdhsa_workgroup_processor_mode 1
		.amdhsa_memory_ordered 1
		.amdhsa_forward_progress 0
		.amdhsa_shared_vgpr_count 0
		.amdhsa_exception_fp_ieee_invalid_op 0
		.amdhsa_exception_fp_denorm_src 0
		.amdhsa_exception_fp_ieee_div_zero 0
		.amdhsa_exception_fp_ieee_overflow 0
		.amdhsa_exception_fp_ieee_underflow 0
		.amdhsa_exception_fp_ieee_inexact 0
		.amdhsa_exception_int_div_zero 0
	.end_amdhsa_kernel
	.section	.text._ZN9rocsolver6v33100L11set_tridiagIddPdTnNSt9enable_ifIXnt18rocblas_is_complexIT_EEiE4typeELi0EEEv13rocblas_fill_iT1_iilPT0_lSA_l,"axG",@progbits,_ZN9rocsolver6v33100L11set_tridiagIddPdTnNSt9enable_ifIXnt18rocblas_is_complexIT_EEiE4typeELi0EEEv13rocblas_fill_iT1_iilPT0_lSA_l,comdat
.Lfunc_end80:
	.size	_ZN9rocsolver6v33100L11set_tridiagIddPdTnNSt9enable_ifIXnt18rocblas_is_complexIT_EEiE4typeELi0EEEv13rocblas_fill_iT1_iilPT0_lSA_l, .Lfunc_end80-_ZN9rocsolver6v33100L11set_tridiagIddPdTnNSt9enable_ifIXnt18rocblas_is_complexIT_EEiE4typeELi0EEEv13rocblas_fill_iT1_iilPT0_lSA_l
                                        ; -- End function
	.section	.AMDGPU.csdata,"",@progbits
; Kernel info:
; codeLenInByte = 452
; NumSgprs: 24
; NumVgprs: 9
; ScratchSize: 0
; MemoryBound: 0
; FloatMode: 240
; IeeeMode: 1
; LDSByteSize: 0 bytes/workgroup (compile time only)
; SGPRBlocks: 2
; VGPRBlocks: 1
; NumSGPRsForWavesPerEU: 24
; NumVGPRsForWavesPerEU: 9
; Occupancy: 16
; WaveLimiterHint : 0
; COMPUTE_PGM_RSRC2:SCRATCH_EN: 0
; COMPUTE_PGM_RSRC2:USER_SGPR: 14
; COMPUTE_PGM_RSRC2:TRAP_HANDLER: 0
; COMPUTE_PGM_RSRC2:TGID_X_EN: 1
; COMPUTE_PGM_RSRC2:TGID_Y_EN: 1
; COMPUTE_PGM_RSRC2:TGID_Z_EN: 0
; COMPUTE_PGM_RSRC2:TIDIG_COMP_CNT: 0
	.section	.text._ZN9rocsolver6v33100L12sterf_kernelIdEEviPT_lS3_lPiS4_iS2_S2_S2_,"axG",@progbits,_ZN9rocsolver6v33100L12sterf_kernelIdEEviPT_lS3_lPiS4_iS2_S2_S2_,comdat
	.globl	_ZN9rocsolver6v33100L12sterf_kernelIdEEviPT_lS3_lPiS4_iS2_S2_S2_ ; -- Begin function _ZN9rocsolver6v33100L12sterf_kernelIdEEviPT_lS3_lPiS4_iS2_S2_S2_
	.p2align	8
	.type	_ZN9rocsolver6v33100L12sterf_kernelIdEEviPT_lS3_lPiS4_iS2_S2_S2_,@function
_ZN9rocsolver6v33100L12sterf_kernelIdEEviPT_lS3_lPiS4_iS2_S2_S2_: ; @_ZN9rocsolver6v33100L12sterf_kernelIdEEviPT_lS3_lPiS4_iS2_S2_S2_
; %bb.0:
	s_mov_b32 s20, s15
	s_clause 0x2
	s_load_b256 s[8:15], s[0:1], 0x8
	s_load_b32 s33, s[0:1], 0x0
	s_load_b32 s50, s[0:1], 0x38
	s_ashr_i32 s21, s20, 31
	s_waitcnt lgkmcnt(0)
	s_mul_i32 s3, s20, s11
	s_mul_hi_u32 s4, s20, s10
	s_mul_i32 s5, s21, s10
	s_add_i32 s3, s4, s3
	s_mul_i32 s2, s20, s10
	s_add_i32 s3, s3, s5
	s_mul_i32 s4, s20, s15
	s_lshl_b64 s[6:7], s[2:3], 3
	s_mul_hi_u32 s5, s20, s14
	s_add_u32 s48, s8, s6
	s_mul_i32 s3, s21, s14
	s_addc_u32 s49, s9, s7
	s_add_i32 s4, s5, s4
	s_mul_i32 s2, s20, s14
	s_add_i32 s3, s4, s3
	s_delay_alu instid0(SALU_CYCLE_1) | instskip(NEXT) | instid1(SALU_CYCLE_1)
	s_lshl_b64 s[2:3], s[2:3], 3
	s_add_u32 s10, s12, s2
	s_addc_u32 s11, s13, s3
	s_min_i32 s4, s33, s50
	s_delay_alu instid0(SALU_CYCLE_1)
	s_cmp_lt_i32 s4, 1
	s_cbranch_scc1 .LBB81_152
; %bb.1:
	s_clause 0x1
	s_load_b128 s[16:19], s[0:1], 0x40
	s_load_b64 s[14:15], s[0:1], 0x50
	s_add_i32 s51, s33, -1
	s_add_u32 s52, s10, -8
	s_addc_u32 s53, s11, -1
	s_add_u32 s54, s48, -8
	s_addc_u32 s55, s49, -1
	s_add_u32 s56, s12, s2
	s_addc_u32 s57, s13, s3
	s_add_u32 s58, s56, -8
	s_addc_u32 s59, s57, -1
	s_add_u32 s60, s8, s6
	s_addc_u32 s61, s9, s7
	s_add_u32 s62, s60, 8
	v_mov_b32_e32 v2, 0
	s_addc_u32 s63, s61, 0
	s_add_u32 s64, s56, 8
	s_mov_b32 s12, 0x667f3bcd
	s_addc_u32 s65, s57, 0
	s_mov_b32 s13, 0x3ff6a09e
	s_waitcnt lgkmcnt(0)
	v_mul_f64 v[0:1], s[16:17], s[16:17]
	s_mov_b32 s23, 0
	s_mov_b32 s66, 0
	;; [unrolled: 1-line block ×3, first 2 shown]
	s_branch .LBB81_4
.LBB81_2:                               ;   in Loop: Header=BB81_4 Depth=1
	s_cmp_ge_i32 s37, s50
	s_cselect_b32 s2, -1, 0
	s_cmp_ge_i32 s66, s33
	s_cselect_b32 s3, -1, 0
	s_delay_alu instid0(SALU_CYCLE_1)
	s_or_b32 s2, s3, s2
.LBB81_3:                               ;   in Loop: Header=BB81_4 Depth=1
	s_delay_alu instid0(SALU_CYCLE_1)
	s_and_b32 vcc_lo, exec_lo, s2
	s_mov_b32 s67, s37
	s_cbranch_vccnz .LBB81_152
.LBB81_4:                               ; =>This Loop Header: Depth=1
                                        ;     Child Loop BB81_6 Depth 2
                                        ;       Child Loop BB81_12 Depth 3
                                        ;       Child Loop BB81_19 Depth 3
                                        ;     Child Loop BB81_36 Depth 2
                                        ;     Child Loop BB81_30 Depth 2
                                        ;     Child Loop BB81_41 Depth 2
                                        ;     Child Loop BB81_49 Depth 2
                                        ;       Child Loop BB81_51 Depth 3
                                        ;       Child Loop BB81_63 Depth 3
                                        ;     Child Loop BB81_97 Depth 2
                                        ;       Child Loop BB81_99 Depth 3
                                        ;       Child Loop BB81_112 Depth 3
                                        ;     Child Loop BB81_147 Depth 2
                                        ;     Child Loop BB81_151 Depth 2
	s_mov_b32 s28, s66
	s_branch .LBB81_6
.LBB81_5:                               ;   in Loop: Header=BB81_6 Depth=2
	s_and_not1_b32 vcc_lo, exec_lo, s29
	s_mov_b32 s28, s66
	s_cbranch_vccz .LBB81_25
.LBB81_6:                               ;   Parent Loop BB81_4 Depth=1
                                        ; =>  This Loop Header: Depth=2
                                        ;       Child Loop BB81_12 Depth 3
                                        ;       Child Loop BB81_19 Depth 3
	s_cmp_gt_i32 s28, 0
	s_mov_b32 s29, -1
                                        ; implicit-def: $sgpr4_sgpr5
	s_cbranch_scc1 .LBB81_8
; %bb.7:                                ;   in Loop: Header=BB81_6 Depth=2
	s_mov_b32 s29, 0
	s_delay_alu instid0(SALU_CYCLE_1)
	s_mov_b64 s[4:5], s[28:29]
.LBB81_8:                               ;   in Loop: Header=BB81_6 Depth=2
	s_and_not1_b32 vcc_lo, exec_lo, s29
	s_cbranch_vccnz .LBB81_10
; %bb.9:                                ;   in Loop: Header=BB81_6 Depth=2
	s_mov_b32 s29, s23
	v_mov_b32_e32 v3, v2
	s_lshl_b64 s[2:3], s[28:29], 3
	s_mov_b64 s[4:5], s[28:29]
	s_add_u32 s2, s52, s2
	s_addc_u32 s3, s53, s3
	global_store_b64 v2, v[2:3], s[2:3]
.LBB81_10:                              ;   in Loop: Header=BB81_6 Depth=2
	s_lshl_b64 s[24:25], s[4:5], 3
	s_mov_b32 s66, s28
	s_add_u32 s2, s58, s24
	s_addc_u32 s3, s59, s25
	s_add_u32 s26, s62, s24
	s_addc_u32 s27, s63, s25
	s_branch .LBB81_12
.LBB81_11:                              ;   in Loop: Header=BB81_12 Depth=3
	s_delay_alu instid0(VALU_DEP_1)
	s_and_not1_b32 vcc_lo, exec_lo, s34
	s_cbranch_vccz .LBB81_14
.LBB81_12:                              ;   Parent Loop BB81_4 Depth=1
                                        ;     Parent Loop BB81_6 Depth=2
                                        ; =>    This Inner Loop Header: Depth=3
	s_mov_b32 s22, s66
	s_mov_b32 s29, -1
	s_cmp_ge_i32 s66, s51
	s_mov_b32 s34, -1
                                        ; implicit-def: $sgpr66
                                        ; implicit-def: $sgpr30_sgpr31
	s_cbranch_scc1 .LBB81_11
; %bb.13:                               ;   in Loop: Header=BB81_12 Depth=3
	s_clause 0x1
	global_load_b128 v[3:6], v2, s[26:27] offset:-8
	global_load_b64 v[19:20], v2, s[2:3] offset:8
	s_add_u32 s30, s2, 8
	s_addc_u32 s31, s3, 0
	s_waitcnt vmcnt(1)
	v_cmp_gt_f64_e64 s29, 0x10000000, |v[3:4]|
	v_cmp_gt_f64_e64 s34, 0x10000000, |v[5:6]|
	s_delay_alu instid0(VALU_DEP_2) | instskip(NEXT) | instid1(VALU_DEP_2)
	v_cndmask_b32_e64 v7, 0, 1, s29
	v_cndmask_b32_e64 v8, 0, 1, s34
	s_and_b32 s2, s29, exec_lo
	s_cselect_b32 s2, 0xffffff80, 0
	s_add_i32 s66, s22, 1
	v_lshlrev_b32_e32 v7, 8, v7
	s_and_b32 s3, s34, exec_lo
	s_cselect_b32 s3, 0xffffff80, 0
	s_add_u32 s26, s26, 8
	s_addc_u32 s27, s27, 0
	v_ldexp_f64 v[3:4], |v[3:4]|, v7
	s_mov_b32 s29, 0
	s_delay_alu instid0(VALU_DEP_1) | instskip(SKIP_1) | instid1(VALU_DEP_1)
	v_cmp_class_f64_e64 vcc_lo, v[3:4], 0x260
	v_lshlrev_b32_e32 v8, 8, v8
	v_ldexp_f64 v[5:6], |v[5:6]|, v8
	v_rsq_f64_e32 v[7:8], v[3:4]
	s_delay_alu instid0(VALU_DEP_1)
	v_rsq_f64_e32 v[9:10], v[5:6]
	s_waitcnt_depctr 0xfff
	v_mul_f64 v[11:12], v[3:4], v[7:8]
	v_mul_f64 v[7:8], v[7:8], 0.5
	v_mul_f64 v[13:14], v[5:6], v[9:10]
	v_mul_f64 v[9:10], v[9:10], 0.5
	s_delay_alu instid0(VALU_DEP_3) | instskip(NEXT) | instid1(VALU_DEP_2)
	v_fma_f64 v[15:16], -v[7:8], v[11:12], 0.5
	v_fma_f64 v[17:18], -v[9:10], v[13:14], 0.5
	s_delay_alu instid0(VALU_DEP_2) | instskip(SKIP_1) | instid1(VALU_DEP_3)
	v_fma_f64 v[11:12], v[11:12], v[15:16], v[11:12]
	v_fma_f64 v[7:8], v[7:8], v[15:16], v[7:8]
	;; [unrolled: 1-line block ×3, first 2 shown]
	s_delay_alu instid0(VALU_DEP_3) | instskip(SKIP_1) | instid1(VALU_DEP_3)
	v_fma_f64 v[15:16], -v[11:12], v[11:12], v[3:4]
	v_fma_f64 v[9:10], v[9:10], v[17:18], v[9:10]
	v_fma_f64 v[17:18], -v[13:14], v[13:14], v[5:6]
	s_delay_alu instid0(VALU_DEP_3) | instskip(NEXT) | instid1(VALU_DEP_2)
	v_fma_f64 v[11:12], v[15:16], v[7:8], v[11:12]
	v_fma_f64 v[13:14], v[17:18], v[9:10], v[13:14]
	s_delay_alu instid0(VALU_DEP_2) | instskip(NEXT) | instid1(VALU_DEP_2)
	v_fma_f64 v[15:16], -v[11:12], v[11:12], v[3:4]
	v_fma_f64 v[17:18], -v[13:14], v[13:14], v[5:6]
	s_delay_alu instid0(VALU_DEP_2) | instskip(NEXT) | instid1(VALU_DEP_2)
	v_fma_f64 v[7:8], v[15:16], v[7:8], v[11:12]
	v_fma_f64 v[9:10], v[17:18], v[9:10], v[13:14]
	s_delay_alu instid0(VALU_DEP_2) | instskip(SKIP_1) | instid1(VALU_DEP_3)
	v_ldexp_f64 v[7:8], v[7:8], s2
	v_cmp_class_f64_e64 s2, v[5:6], 0x260
	v_ldexp_f64 v[9:10], v[9:10], s3
	s_delay_alu instid0(VALU_DEP_3) | instskip(NEXT) | instid1(VALU_DEP_2)
	v_dual_cndmask_b32 v3, v7, v3 :: v_dual_cndmask_b32 v4, v8, v4
	v_cndmask_b32_e64 v6, v10, v6, s2
	s_delay_alu instid0(VALU_DEP_3) | instskip(SKIP_1) | instid1(VALU_DEP_1)
	v_cndmask_b32_e64 v5, v9, v5, s2
	s_mov_b64 s[2:3], s[30:31]
	v_mul_f64 v[3:4], v[3:4], v[5:6]
	s_delay_alu instid0(VALU_DEP_1) | instskip(SKIP_1) | instid1(VALU_DEP_1)
	v_mul_f64 v[3:4], v[3:4], s[16:17]
	s_waitcnt vmcnt(0)
	v_cmp_le_f64_e64 s34, |v[19:20]|, v[3:4]
	s_branch .LBB81_11
.LBB81_14:                              ;   in Loop: Header=BB81_6 Depth=2
	s_and_not1_b32 vcc_lo, exec_lo, s29
	s_mov_b32 s2, -1
	s_cbranch_vccnz .LBB81_21
; %bb.15:                               ;   in Loop: Header=BB81_6 Depth=2
	s_and_not1_b32 vcc_lo, exec_lo, s2
	s_cbranch_vccz .LBB81_22
.LBB81_16:                              ;   in Loop: Header=BB81_6 Depth=2
	s_cmp_lg_u32 s22, s28
	s_mov_b32 s29, -1
	s_cbranch_scc0 .LBB81_23
.LBB81_17:                              ;   in Loop: Header=BB81_6 Depth=2
	s_lshl_b64 s[2:3], s[22:23], 3
	s_delay_alu instid0(SALU_CYCLE_1)
	s_add_u32 s26, s48, s2
	s_addc_u32 s27, s49, s3
	s_cmp_lt_i32 s28, s22
	global_load_b64 v[6:7], v2, s[26:27]
	s_cselect_b32 s34, -1, 0
	s_cmp_ge_i32 s28, s22
	s_waitcnt vmcnt(0)
	v_dual_mov_b32 v4, v6 :: v_dual_and_b32 v5, 0x7fffffff, v7
	s_cbranch_scc1 .LBB81_20
; %bb.18:                               ;   in Loop: Header=BB81_6 Depth=2
	s_add_u32 s2, s60, s24
	s_addc_u32 s3, s61, s25
	s_add_u32 s30, s56, s24
	s_addc_u32 s31, s57, s25
	s_mov_b32 s35, s28
	.p2align	6
.LBB81_19:                              ;   Parent Loop BB81_4 Depth=1
                                        ;     Parent Loop BB81_6 Depth=2
                                        ; =>    This Inner Loop Header: Depth=3
	s_clause 0x1
	global_load_b64 v[8:9], v2, s[30:31]
	global_load_b64 v[10:11], v2, s[2:3]
	v_max_f64 v[3:4], v[4:5], v[4:5]
	s_add_i32 s35, s35, 1
	s_add_u32 s2, s2, 8
	s_addc_u32 s3, s3, 0
	s_add_u32 s30, s30, 8
	s_addc_u32 s31, s31, 0
	s_cmp_lt_i32 s35, s22
	s_waitcnt vmcnt(1)
	v_max_f64 v[8:9], |v[8:9]|, |v[8:9]|
	s_waitcnt vmcnt(0)
	v_max_f64 v[10:11], |v[10:11]|, |v[10:11]|
	s_delay_alu instid0(VALU_DEP_1) | instskip(NEXT) | instid1(VALU_DEP_1)
	v_max_f64 v[8:9], v[10:11], v[8:9]
	v_max_f64 v[4:5], v[3:4], v[8:9]
	s_cbranch_scc1 .LBB81_19
.LBB81_20:                              ;   in Loop: Header=BB81_6 Depth=2
	s_delay_alu instid0(VALU_DEP_1) | instskip(SKIP_1) | instid1(VALU_DEP_1)
	v_cmp_eq_f64_e64 s3, 0, v[4:5]
	s_mov_b32 s2, -1
	s_and_b32 vcc_lo, exec_lo, s3
	s_mov_b32 s68, s28
	s_cbranch_vccz .LBB81_5
	s_branch .LBB81_24
.LBB81_21:                              ;   in Loop: Header=BB81_6 Depth=2
	v_mov_b32_e32 v3, v2
	global_store_b64 v2, v[2:3], s[30:31]
	s_cbranch_execnz .LBB81_16
.LBB81_22:                              ;   in Loop: Header=BB81_6 Depth=2
	s_max_i32 s22, s28, s51
	s_delay_alu instid0(SALU_CYCLE_1)
	s_add_i32 s66, s22, 1
	s_cmp_lg_u32 s22, s28
	s_mov_b32 s29, -1
	s_cbranch_scc1 .LBB81_17
.LBB81_23:                              ;   in Loop: Header=BB81_6 Depth=2
                                        ; implicit-def: $sgpr2
                                        ; implicit-def: $sgpr26_sgpr27
                                        ; implicit-def: $vgpr6_vgpr7
                                        ; implicit-def: $sgpr34
                                        ; implicit-def: $vgpr4_vgpr5
	s_mov_b32 s68, s28
	s_cbranch_execz .LBB81_5
.LBB81_24:                              ;   in Loop: Header=BB81_6 Depth=2
	s_cmp_ge_i32 s66, s33
	s_mov_b32 s2, 0
	s_cselect_b32 s29, -1, 0
	s_mov_b32 s68, s28
	s_branch .LBB81_5
.LBB81_25:                              ;   in Loop: Header=BB81_4 Depth=1
	s_and_b32 vcc_lo, exec_lo, s2
	s_mov_b32 s2, -1
                                        ; implicit-def: $sgpr37
	s_cbranch_vccz .LBB81_3
; %bb.26:                               ;   in Loop: Header=BB81_4 Depth=1
	v_cmp_nlt_f64_e32 vcc_lo, s[14:15], v[4:5]
	s_cbranch_vccz .LBB81_32
; %bb.27:                               ;   in Loop: Header=BB81_4 Depth=1
	v_cmp_gt_f64_e32 vcc_lo, s[18:19], v[4:5]
	s_cbranch_vccz .LBB81_33
; %bb.28:                               ;   in Loop: Header=BB81_4 Depth=1
	v_div_scale_f64 v[8:9], null, s[18:19], s[18:19], v[4:5]
	v_div_scale_f64 v[14:15], vcc_lo, v[4:5], s[18:19], v[4:5]
	s_mov_b32 s2, 0
	s_delay_alu instid0(VALU_DEP_2) | instskip(SKIP_2) | instid1(VALU_DEP_1)
	v_rcp_f64_e32 v[10:11], v[8:9]
	s_waitcnt_depctr 0xfff
	v_fma_f64 v[12:13], -v[8:9], v[10:11], 1.0
	v_fma_f64 v[10:11], v[10:11], v[12:13], v[10:11]
	s_delay_alu instid0(VALU_DEP_1) | instskip(NEXT) | instid1(VALU_DEP_1)
	v_fma_f64 v[12:13], -v[8:9], v[10:11], 1.0
	v_fma_f64 v[10:11], v[10:11], v[12:13], v[10:11]
	s_delay_alu instid0(VALU_DEP_1) | instskip(NEXT) | instid1(VALU_DEP_1)
	v_mul_f64 v[12:13], v[14:15], v[10:11]
	v_fma_f64 v[8:9], -v[8:9], v[12:13], v[14:15]
	s_delay_alu instid0(VALU_DEP_1) | instskip(SKIP_1) | instid1(VALU_DEP_1)
	v_div_fmas_f64 v[8:9], v[8:9], v[10:11], v[12:13]
	s_and_b32 vcc_lo, exec_lo, s34
	v_div_fixup_f64 v[8:9], v[8:9], s[18:19], v[4:5]
	s_waitcnt vmcnt(0)
	s_delay_alu instid0(VALU_DEP_1)
	v_mul_f64 v[10:11], v[6:7], v[8:9]
	global_store_b64 v2, v[10:11], s[26:27]
	s_cbranch_vccz .LBB81_33
; %bb.29:                               ;   in Loop: Header=BB81_4 Depth=1
	s_add_u32 s2, s60, s24
	s_addc_u32 s3, s61, s25
	s_add_u32 s28, s56, s24
	s_addc_u32 s29, s57, s25
	s_mov_b32 s30, s68
	.p2align	6
.LBB81_30:                              ;   Parent Loop BB81_4 Depth=1
                                        ; =>  This Inner Loop Header: Depth=2
	global_load_b64 v[10:11], v2, s[2:3]
	s_add_i32 s30, s30, 1
	s_waitcnt vmcnt(0)
	v_mul_f64 v[10:11], v[8:9], v[10:11]
	global_store_b64 v2, v[10:11], s[2:3]
	global_load_b64 v[10:11], v2, s[28:29]
	s_add_u32 s2, s2, 8
	s_addc_u32 s3, s3, 0
	s_waitcnt vmcnt(0)
	v_mul_f64 v[10:11], v[8:9], v[10:11]
	global_store_b64 v2, v[10:11], s[28:29]
	s_add_u32 s28, s28, 8
	s_addc_u32 s29, s29, 0
	s_cmp_lt_i32 s30, s22
	s_cbranch_scc1 .LBB81_30
; %bb.31:                               ;   in Loop: Header=BB81_4 Depth=1
	s_mov_b32 s2, -1
	s_branch .LBB81_38
.LBB81_32:                              ;   in Loop: Header=BB81_4 Depth=1
	s_mov_b32 s2, 0
	s_cbranch_execnz .LBB81_34
	s_branch .LBB81_38
.LBB81_33:                              ;   in Loop: Header=BB81_4 Depth=1
	s_branch .LBB81_38
.LBB81_34:                              ;   in Loop: Header=BB81_4 Depth=1
	v_div_scale_f64 v[8:9], null, s[14:15], s[14:15], v[4:5]
	v_div_scale_f64 v[14:15], vcc_lo, v[4:5], s[14:15], v[4:5]
	s_delay_alu instid0(VALU_DEP_2) | instskip(SKIP_2) | instid1(VALU_DEP_1)
	v_rcp_f64_e32 v[10:11], v[8:9]
	s_waitcnt_depctr 0xfff
	v_fma_f64 v[12:13], -v[8:9], v[10:11], 1.0
	v_fma_f64 v[10:11], v[10:11], v[12:13], v[10:11]
	s_delay_alu instid0(VALU_DEP_1) | instskip(NEXT) | instid1(VALU_DEP_1)
	v_fma_f64 v[12:13], -v[8:9], v[10:11], 1.0
	v_fma_f64 v[10:11], v[10:11], v[12:13], v[10:11]
	s_delay_alu instid0(VALU_DEP_1) | instskip(NEXT) | instid1(VALU_DEP_1)
	v_mul_f64 v[12:13], v[14:15], v[10:11]
	v_fma_f64 v[8:9], -v[8:9], v[12:13], v[14:15]
	s_delay_alu instid0(VALU_DEP_1) | instskip(SKIP_1) | instid1(VALU_DEP_1)
	v_div_fmas_f64 v[8:9], v[8:9], v[10:11], v[12:13]
	s_and_b32 vcc_lo, exec_lo, s34
	v_div_fixup_f64 v[8:9], v[8:9], s[14:15], v[4:5]
	s_waitcnt vmcnt(0)
	s_delay_alu instid0(VALU_DEP_1)
	v_mul_f64 v[6:7], v[6:7], v[8:9]
	global_store_b64 v2, v[6:7], s[26:27]
	s_cbranch_vccz .LBB81_38
; %bb.35:                               ;   in Loop: Header=BB81_4 Depth=1
	s_add_u32 s2, s60, s24
	s_addc_u32 s3, s61, s25
	s_add_u32 s28, s56, s24
	s_addc_u32 s29, s57, s25
	s_mov_b32 s30, s68
	.p2align	6
.LBB81_36:                              ;   Parent Loop BB81_4 Depth=1
                                        ; =>  This Inner Loop Header: Depth=2
	global_load_b64 v[6:7], v2, s[2:3]
	s_add_i32 s30, s30, 1
	s_waitcnt vmcnt(0)
	v_mul_f64 v[6:7], v[8:9], v[6:7]
	global_store_b64 v2, v[6:7], s[2:3]
	global_load_b64 v[6:7], v2, s[28:29]
	s_add_u32 s2, s2, 8
	s_addc_u32 s3, s3, 0
	s_waitcnt vmcnt(0)
	v_mul_f64 v[6:7], v[8:9], v[6:7]
	global_store_b64 v2, v[6:7], s[28:29]
	s_add_u32 s28, s28, 8
	s_addc_u32 s29, s29, 0
	s_cmp_ge_i32 s30, s22
	s_cbranch_scc0 .LBB81_36
; %bb.37:                               ;   in Loop: Header=BB81_4 Depth=1
	s_mov_b32 s2, -1
.LBB81_38:                              ;   in Loop: Header=BB81_4 Depth=1
	v_cndmask_b32_e64 v3, 0, 1, s34
	s_and_b32 vcc_lo, exec_lo, s2
	s_delay_alu instid0(VALU_DEP_1)
	v_cmp_ne_u32_e64 s2, 1, v3
	s_cbranch_vccz .LBB81_42
; %bb.39:                               ;   in Loop: Header=BB81_4 Depth=1
	s_delay_alu instid0(VALU_DEP_1)
	s_and_b32 vcc_lo, exec_lo, s2
	s_cbranch_vccnz .LBB81_42
; %bb.40:                               ;   in Loop: Header=BB81_4 Depth=1
	s_add_u32 s28, s56, s24
	s_addc_u32 s29, s57, s25
	s_mov_b32 s3, s68
.LBB81_41:                              ;   Parent Loop BB81_4 Depth=1
                                        ; =>  This Inner Loop Header: Depth=2
	global_load_b64 v[6:7], v2, s[28:29]
	s_add_i32 s3, s3, 1
	s_waitcnt vmcnt(0)
	v_mul_f64 v[6:7], v[6:7], v[6:7]
	global_store_b64 v2, v[6:7], s[28:29]
	s_add_u32 s28, s28, 8
	s_addc_u32 s29, s29, 0
	s_cmp_lt_i32 s3, s22
	s_cbranch_scc1 .LBB81_41
.LBB81_42:                              ;   in Loop: Header=BB81_4 Depth=1
	s_lshl_b64 s[4:5], s[4:5], 3
                                        ; implicit-def: $sgpr37
	s_delay_alu instid0(SALU_CYCLE_1)
	s_add_u32 s4, s48, s4
	s_addc_u32 s5, s49, s5
	s_clause 0x1
	global_load_b64 v[6:7], v2, s[26:27]
	global_load_b64 v[8:9], v2, s[4:5]
	s_mov_b32 s4, -1
	s_waitcnt vmcnt(0)
	v_cmp_lt_f64_e64 s3, |v[6:7]|, |v[8:9]|
	s_delay_alu instid0(VALU_DEP_1)
	s_and_b32 s3, s3, exec_lo
	s_cselect_b32 s69, s68, s22
	s_cselect_b32 s28, s22, s68
	s_cmp_lt_i32 s67, s50
	s_cselect_b32 s3, -1, 0
	s_cmp_lt_i32 s69, s28
	v_cndmask_b32_e64 v3, 0, 1, s3
	s_delay_alu instid0(VALU_DEP_1)
	v_cmp_ne_u32_e64 s3, 1, v3
	s_cbranch_scc0 .LBB81_45
; %bb.43:                               ;   in Loop: Header=BB81_4 Depth=1
	s_and_not1_b32 vcc_lo, exec_lo, s4
	s_cbranch_vccz .LBB81_47
.LBB81_44:                              ;   in Loop: Header=BB81_4 Depth=1
	v_cmp_lt_f64_e32 vcc_lo, s[14:15], v[4:5]
	s_and_not1_b32 vcc_lo, exec_lo, vcc_lo
	s_cbranch_vccz .LBB81_145
	s_branch .LBB81_148
.LBB81_45:                              ;   in Loop: Header=BB81_4 Depth=1
	s_delay_alu instid0(VALU_DEP_1)
	s_and_b32 vcc_lo, exec_lo, s3
	s_mov_b32 s37, s67
	s_mov_b32 s30, s28
	;; [unrolled: 1-line block ×3, first 2 shown]
	s_cbranch_vccz .LBB81_49
.LBB81_46:                              ;   in Loop: Header=BB81_4 Depth=1
	s_cbranch_execnz .LBB81_44
.LBB81_47:                              ;   in Loop: Header=BB81_4 Depth=1
	s_delay_alu instid0(VALU_DEP_1)
	s_and_b32 vcc_lo, exec_lo, s3
	s_cbranch_vccz .LBB81_97
	s_branch .LBB81_144
.LBB81_48:                              ;   in Loop: Header=BB81_49 Depth=2
	s_and_not1_b32 vcc_lo, exec_lo, s31
	s_mov_b32 s30, s4
	s_cbranch_vccz .LBB81_46
.LBB81_49:                              ;   Parent Loop BB81_4 Depth=1
                                        ; =>  This Loop Header: Depth=2
                                        ;       Child Loop BB81_51 Depth 3
                                        ;       Child Loop BB81_63 Depth 3
	s_mov_b32 s31, s23
	s_max_i32 s36, s69, s30
	s_lshl_b64 s[38:39], s[30:31], 3
	s_mov_b32 s42, s30
	s_add_u32 s34, s58, s38
	s_addc_u32 s35, s59, s39
	s_add_u32 s4, s62, s38
	s_addc_u32 s5, s63, s39
	s_set_inst_prefetch_distance 0x1
	s_branch .LBB81_51
	.p2align	6
.LBB81_50:                              ;   in Loop: Header=BB81_51 Depth=3
	s_delay_alu instid0(VALU_DEP_1)
	s_and_not1_b32 vcc_lo, exec_lo, s43
	s_cbranch_vccz .LBB81_53
.LBB81_51:                              ;   Parent Loop BB81_4 Depth=1
                                        ;     Parent Loop BB81_49 Depth=2
                                        ; =>    This Inner Loop Header: Depth=3
	s_mov_b32 s31, s42
	s_mov_b32 s37, -1
	s_cmp_ge_i32 s42, s69
	s_mov_b32 s43, -1
                                        ; implicit-def: $sgpr42
                                        ; implicit-def: $sgpr40_sgpr41
	s_cbranch_scc1 .LBB81_50
; %bb.52:                               ;   in Loop: Header=BB81_51 Depth=3
	s_clause 0x1
	global_load_b128 v[6:9], v2, s[4:5] offset:-8
	global_load_b64 v[10:11], v2, s[34:35] offset:8
	s_add_u32 s40, s34, 8
	s_addc_u32 s41, s35, 0
	s_add_i32 s42, s31, 1
	s_add_u32 s4, s4, 8
	s_addc_u32 s5, s5, 0
	s_mov_b32 s37, 0
	s_mov_b64 s[34:35], s[40:41]
	s_waitcnt vmcnt(1)
	v_mul_f64 v[6:7], v[6:7], v[8:9]
	s_delay_alu instid0(VALU_DEP_1) | instskip(SKIP_1) | instid1(VALU_DEP_1)
	v_mul_f64 v[6:7], v[0:1], |v[6:7]|
	s_waitcnt vmcnt(0)
	v_cmp_le_f64_e64 s43, |v[10:11]|, v[6:7]
	s_branch .LBB81_50
.LBB81_53:                              ;   in Loop: Header=BB81_49 Depth=2
	s_set_inst_prefetch_distance 0x2
	s_and_not1_b32 vcc_lo, exec_lo, s37
	s_cbranch_vccz .LBB81_55
; %bb.54:                               ;   in Loop: Header=BB81_49 Depth=2
	v_mov_b32_e32 v3, v2
	s_mov_b32 s36, s31
	global_store_b64 v2, v[2:3], s[40:41]
.LBB81_55:                              ;   in Loop: Header=BB81_49 Depth=2
	s_add_i32 s4, s30, 1
	s_cmp_eq_u32 s36, s30
	s_mov_b32 s31, -1
	s_cbranch_scc1 .LBB81_71
; %bb.56:                               ;   in Loop: Header=BB81_49 Depth=2
	s_add_u32 s34, s48, s38
	s_addc_u32 s35, s49, s39
	s_cmp_lg_u32 s36, s4
	global_load_b64 v[6:7], v2, s[34:35]
	s_cbranch_scc0 .LBB81_72
; %bb.57:                               ;   in Loop: Header=BB81_49 Depth=2
	s_mov_b32 s70, 0
	s_cmp_lg_u32 s29, s50
	s_mov_b32 s5, 0
                                        ; implicit-def: $sgpr42
	s_cbranch_scc0 .LBB81_76
; %bb.58:                               ;   in Loop: Header=BB81_49 Depth=2
	s_add_u32 s40, s10, s38
	s_addc_u32 s41, s11, s39
	s_mov_b32 s37, s23
	s_clause 0x1
	global_load_b64 v[8:9], v2, s[40:41]
	global_load_b64 v[10:11], v2, s[34:35] offset:8
	s_waitcnt vmcnt(1)
	v_cmp_gt_f64_e32 vcc_lo, 0x10000000, v[8:9]
	s_waitcnt vmcnt(0)
	v_add_f64 v[10:11], v[10:11], -v[6:7]
	v_cndmask_b32_e64 v3, 0, 1, vcc_lo
	s_and_b32 s4, vcc_lo, exec_lo
	s_cselect_b32 s4, 0xffffff80, 0
	s_delay_alu instid0(VALU_DEP_1) | instskip(NEXT) | instid1(VALU_DEP_1)
	v_lshlrev_b32_e32 v3, 8, v3
	v_ldexp_f64 v[8:9], v[8:9], v3
	s_delay_alu instid0(VALU_DEP_1) | instskip(SKIP_4) | instid1(VALU_DEP_1)
	v_rsq_f64_e32 v[12:13], v[8:9]
	v_cmp_class_f64_e64 vcc_lo, v[8:9], 0x260
	s_waitcnt_depctr 0xfff
	v_mul_f64 v[14:15], v[8:9], v[12:13]
	v_mul_f64 v[12:13], v[12:13], 0.5
	v_fma_f64 v[16:17], -v[12:13], v[14:15], 0.5
	s_delay_alu instid0(VALU_DEP_1) | instskip(SKIP_1) | instid1(VALU_DEP_2)
	v_fma_f64 v[14:15], v[14:15], v[16:17], v[14:15]
	v_fma_f64 v[12:13], v[12:13], v[16:17], v[12:13]
	v_fma_f64 v[16:17], -v[14:15], v[14:15], v[8:9]
	s_delay_alu instid0(VALU_DEP_1) | instskip(NEXT) | instid1(VALU_DEP_1)
	v_fma_f64 v[14:15], v[16:17], v[12:13], v[14:15]
	v_fma_f64 v[16:17], -v[14:15], v[14:15], v[8:9]
	s_delay_alu instid0(VALU_DEP_1) | instskip(NEXT) | instid1(VALU_DEP_1)
	v_fma_f64 v[12:13], v[16:17], v[12:13], v[14:15]
	v_ldexp_f64 v[12:13], v[12:13], s4
	s_delay_alu instid0(VALU_DEP_1) | instskip(NEXT) | instid1(VALU_DEP_1)
	v_dual_cndmask_b32 v8, v12, v8 :: v_dual_cndmask_b32 v9, v13, v9
	v_add_f64 v[12:13], v[8:9], v[8:9]
	s_delay_alu instid0(VALU_DEP_1) | instskip(SKIP_1) | instid1(VALU_DEP_2)
	v_div_scale_f64 v[14:15], null, v[12:13], v[12:13], v[10:11]
	v_div_scale_f64 v[20:21], vcc_lo, v[10:11], v[12:13], v[10:11]
	v_rcp_f64_e32 v[16:17], v[14:15]
	s_waitcnt_depctr 0xfff
	v_fma_f64 v[18:19], -v[14:15], v[16:17], 1.0
	s_delay_alu instid0(VALU_DEP_1) | instskip(NEXT) | instid1(VALU_DEP_1)
	v_fma_f64 v[16:17], v[16:17], v[18:19], v[16:17]
	v_fma_f64 v[18:19], -v[14:15], v[16:17], 1.0
	s_delay_alu instid0(VALU_DEP_1) | instskip(NEXT) | instid1(VALU_DEP_1)
	v_fma_f64 v[16:17], v[16:17], v[18:19], v[16:17]
	v_mul_f64 v[18:19], v[20:21], v[16:17]
	s_delay_alu instid0(VALU_DEP_1) | instskip(NEXT) | instid1(VALU_DEP_1)
	v_fma_f64 v[14:15], -v[14:15], v[18:19], v[20:21]
	v_div_fmas_f64 v[14:15], v[14:15], v[16:17], v[18:19]
	s_delay_alu instid0(VALU_DEP_1) | instskip(NEXT) | instid1(VALU_DEP_1)
	v_div_fixup_f64 v[10:11], v[14:15], v[12:13], v[10:11]
	v_fma_f64 v[12:13], v[10:11], v[10:11], 1.0
	s_delay_alu instid0(VALU_DEP_1) | instskip(SKIP_3) | instid1(VALU_DEP_1)
	v_cmp_gt_f64_e32 vcc_lo, 0x10000000, v[12:13]
	v_cndmask_b32_e64 v3, 0, 1, vcc_lo
	s_and_b32 s4, vcc_lo, exec_lo
	s_cselect_b32 s4, 0xffffff80, 0
	v_lshlrev_b32_e32 v3, 8, v3
	s_delay_alu instid0(VALU_DEP_1) | instskip(NEXT) | instid1(VALU_DEP_1)
	v_ldexp_f64 v[12:13], v[12:13], v3
	v_rsq_f64_e32 v[14:15], v[12:13]
	v_cmp_class_f64_e64 vcc_lo, v[12:13], 0x260
	s_waitcnt_depctr 0xfff
	v_mul_f64 v[16:17], v[12:13], v[14:15]
	v_mul_f64 v[14:15], v[14:15], 0.5
	s_delay_alu instid0(VALU_DEP_1) | instskip(NEXT) | instid1(VALU_DEP_1)
	v_fma_f64 v[18:19], -v[14:15], v[16:17], 0.5
	v_fma_f64 v[16:17], v[16:17], v[18:19], v[16:17]
	v_fma_f64 v[14:15], v[14:15], v[18:19], v[14:15]
	s_delay_alu instid0(VALU_DEP_2) | instskip(NEXT) | instid1(VALU_DEP_1)
	v_fma_f64 v[18:19], -v[16:17], v[16:17], v[12:13]
	v_fma_f64 v[16:17], v[18:19], v[14:15], v[16:17]
	s_delay_alu instid0(VALU_DEP_1) | instskip(NEXT) | instid1(VALU_DEP_1)
	v_fma_f64 v[18:19], -v[16:17], v[16:17], v[12:13]
	v_fma_f64 v[14:15], v[18:19], v[14:15], v[16:17]
	s_delay_alu instid0(VALU_DEP_1) | instskip(SKIP_1) | instid1(SALU_CYCLE_1)
	v_ldexp_f64 v[14:15], v[14:15], s4
	s_lshl_b64 s[4:5], s[36:37], 3
	s_add_u32 s4, s48, s4
	s_addc_u32 s5, s49, s5
	s_cmp_le_i32 s36, s30
	global_load_b64 v[18:19], v2, s[4:5]
	v_dual_cndmask_b32 v3, v15, v13 :: v_dual_cndmask_b32 v12, v14, v12
	v_cmp_nle_f64_e32 vcc_lo, 0, v[10:11]
	s_delay_alu instid0(VALU_DEP_2) | instskip(SKIP_1) | instid1(VALU_DEP_1)
	v_and_b32_e32 v13, 0x7fffffff, v3
	v_or_b32_e32 v3, 0x80000000, v3
	v_cndmask_b32_e32 v13, v13, v3, vcc_lo
	s_delay_alu instid0(VALU_DEP_1) | instskip(NEXT) | instid1(VALU_DEP_1)
	v_add_f64 v[10:11], v[10:11], v[12:13]
	v_div_scale_f64 v[12:13], null, v[10:11], v[10:11], v[8:9]
	s_delay_alu instid0(VALU_DEP_1) | instskip(SKIP_2) | instid1(VALU_DEP_1)
	v_rcp_f64_e32 v[14:15], v[12:13]
	s_waitcnt_depctr 0xfff
	v_fma_f64 v[16:17], -v[12:13], v[14:15], 1.0
	v_fma_f64 v[14:15], v[14:15], v[16:17], v[14:15]
	s_delay_alu instid0(VALU_DEP_1) | instskip(NEXT) | instid1(VALU_DEP_1)
	v_fma_f64 v[16:17], -v[12:13], v[14:15], 1.0
	v_fma_f64 v[14:15], v[14:15], v[16:17], v[14:15]
	v_div_scale_f64 v[16:17], vcc_lo, v[8:9], v[10:11], v[8:9]
	s_delay_alu instid0(VALU_DEP_1) | instskip(NEXT) | instid1(VALU_DEP_1)
	v_mul_f64 v[20:21], v[16:17], v[14:15]
	v_fma_f64 v[12:13], -v[12:13], v[20:21], v[16:17]
	s_delay_alu instid0(VALU_DEP_1) | instskip(NEXT) | instid1(VALU_DEP_1)
	v_div_fmas_f64 v[12:13], v[12:13], v[14:15], v[20:21]
	v_div_fixup_f64 v[8:9], v[12:13], v[10:11], v[8:9]
	v_mov_b32_e32 v12, 0
	v_mov_b32_e32 v13, 0
	s_delay_alu instid0(VALU_DEP_3) | instskip(SKIP_1) | instid1(VALU_DEP_1)
	v_add_f64 v[8:9], v[6:7], -v[8:9]
	s_waitcnt vmcnt(0)
	v_add_f64 v[14:15], v[18:19], -v[8:9]
	s_delay_alu instid0(VALU_DEP_1)
	v_mul_f64 v[16:17], v[14:15], v[14:15]
	s_cbranch_scc1 .LBB81_75
; %bb.59:                               ;   in Loop: Header=BB81_49 Depth=2
	s_ashr_i32 s37, s36, 31
	s_delay_alu instid0(SALU_CYCLE_1) | instskip(NEXT) | instid1(SALU_CYCLE_1)
	s_lshl_b64 s[42:43], s[36:37], 3
	s_add_u32 s4, s52, s42
	s_addc_u32 s5, s53, s43
	global_load_b64 v[10:11], v2, s[4:5]
	s_add_u32 s4, s54, s42
	s_addc_u32 s5, s55, s43
	global_load_b64 v[20:21], v2, s[4:5]
	s_waitcnt vmcnt(1)
	v_add_f64 v[18:19], v[16:17], v[10:11]
	s_delay_alu instid0(VALU_DEP_1) | instskip(SKIP_2) | instid1(VALU_DEP_3)
	v_div_scale_f64 v[12:13], null, v[18:19], v[18:19], v[16:17]
	v_div_scale_f64 v[22:23], null, v[18:19], v[18:19], v[10:11]
	v_div_scale_f64 v[32:33], vcc_lo, v[16:17], v[18:19], v[16:17]
	v_rcp_f64_e32 v[24:25], v[12:13]
	s_delay_alu instid0(VALU_DEP_2) | instskip(SKIP_3) | instid1(VALU_DEP_2)
	v_rcp_f64_e32 v[26:27], v[22:23]
	s_waitcnt_depctr 0xfff
	v_fma_f64 v[28:29], -v[12:13], v[24:25], 1.0
	v_fma_f64 v[30:31], -v[22:23], v[26:27], 1.0
	v_fma_f64 v[24:25], v[24:25], v[28:29], v[24:25]
	s_delay_alu instid0(VALU_DEP_2) | instskip(NEXT) | instid1(VALU_DEP_2)
	v_fma_f64 v[26:27], v[26:27], v[30:31], v[26:27]
	v_fma_f64 v[28:29], -v[12:13], v[24:25], 1.0
	s_delay_alu instid0(VALU_DEP_2) | instskip(NEXT) | instid1(VALU_DEP_2)
	v_fma_f64 v[30:31], -v[22:23], v[26:27], 1.0
	v_fma_f64 v[24:25], v[24:25], v[28:29], v[24:25]
	v_div_scale_f64 v[28:29], s4, v[10:11], v[18:19], v[10:11]
	s_delay_alu instid0(VALU_DEP_3) | instskip(NEXT) | instid1(VALU_DEP_3)
	v_fma_f64 v[26:27], v[26:27], v[30:31], v[26:27]
	v_mul_f64 v[30:31], v[32:33], v[24:25]
	s_delay_alu instid0(VALU_DEP_2) | instskip(NEXT) | instid1(VALU_DEP_2)
	v_mul_f64 v[34:35], v[28:29], v[26:27]
	v_fma_f64 v[12:13], -v[12:13], v[30:31], v[32:33]
	s_delay_alu instid0(VALU_DEP_2) | instskip(NEXT) | instid1(VALU_DEP_2)
	v_fma_f64 v[22:23], -v[22:23], v[34:35], v[28:29]
	v_div_fmas_f64 v[24:25], v[12:13], v[24:25], v[30:31]
	s_mov_b32 vcc_lo, s4
	s_add_u32 s4, s48, s42
	s_delay_alu instid0(VALU_DEP_2) | instskip(SKIP_3) | instid1(VALU_DEP_3)
	v_div_fmas_f64 v[12:13], v[22:23], v[26:27], v[34:35]
	s_waitcnt vmcnt(0)
	v_add_f64 v[22:23], v[20:21], -v[8:9]
	s_addc_u32 s5, s49, s43
	v_div_fixup_f64 v[16:17], v[24:25], v[18:19], v[16:17]
	s_delay_alu instid0(VALU_DEP_3) | instskip(NEXT) | instid1(VALU_DEP_2)
	v_div_fixup_f64 v[12:13], v[12:13], v[18:19], v[10:11]
	v_cmp_eq_f64_e32 vcc_lo, 0, v[16:17]
	s_delay_alu instid0(VALU_DEP_2) | instskip(SKIP_1) | instid1(VALU_DEP_1)
	v_mul_f64 v[18:19], v[14:15], v[12:13]
	s_and_b32 vcc_lo, exec_lo, vcc_lo
	v_fma_f64 v[18:19], v[16:17], v[22:23], -v[18:19]
	s_delay_alu instid0(VALU_DEP_1) | instskip(NEXT) | instid1(VALU_DEP_1)
	v_add_f64 v[20:21], v[20:21], -v[18:19]
	v_add_f64 v[14:15], v[14:15], v[20:21]
	global_store_b64 v2, v[14:15], s[4:5]
	s_cbranch_vccnz .LBB81_61
; %bb.60:                               ;   in Loop: Header=BB81_49 Depth=2
	v_mul_f64 v[10:11], v[18:19], v[18:19]
	s_delay_alu instid0(VALU_DEP_1) | instskip(NEXT) | instid1(VALU_DEP_1)
	v_div_scale_f64 v[14:15], null, v[16:17], v[16:17], v[10:11]
	v_rcp_f64_e32 v[20:21], v[14:15]
	s_waitcnt_depctr 0xfff
	v_fma_f64 v[22:23], -v[14:15], v[20:21], 1.0
	s_delay_alu instid0(VALU_DEP_1) | instskip(NEXT) | instid1(VALU_DEP_1)
	v_fma_f64 v[20:21], v[20:21], v[22:23], v[20:21]
	v_fma_f64 v[22:23], -v[14:15], v[20:21], 1.0
	s_delay_alu instid0(VALU_DEP_1) | instskip(SKIP_1) | instid1(VALU_DEP_1)
	v_fma_f64 v[20:21], v[20:21], v[22:23], v[20:21]
	v_div_scale_f64 v[22:23], vcc_lo, v[10:11], v[16:17], v[10:11]
	v_mul_f64 v[24:25], v[22:23], v[20:21]
	s_delay_alu instid0(VALU_DEP_1) | instskip(NEXT) | instid1(VALU_DEP_1)
	v_fma_f64 v[14:15], -v[14:15], v[24:25], v[22:23]
	v_div_fmas_f64 v[14:15], v[14:15], v[20:21], v[24:25]
	s_delay_alu instid0(VALU_DEP_1)
	v_div_fixup_f64 v[10:11], v[14:15], v[16:17], v[10:11]
.LBB81_61:                              ;   in Loop: Header=BB81_49 Depth=2
	s_add_i32 s4, s36, -1
	s_delay_alu instid0(SALU_CYCLE_1)
	s_cmp_le_i32 s4, s30
	s_cbranch_scc1 .LBB81_73
; %bb.62:                               ;   in Loop: Header=BB81_49 Depth=2
	s_add_i32 s4, s36, -2
	s_mov_b32 s37, -1
	s_ashr_i32 s5, s4, 31
	s_delay_alu instid0(SALU_CYCLE_1) | instskip(NEXT) | instid1(SALU_CYCLE_1)
	s_lshl_b64 s[4:5], s[4:5], 3
	s_add_u32 s44, s62, s4
	s_addc_u32 s45, s63, s5
	s_add_u32 s46, s64, s4
	s_addc_u32 s47, s65, s5
.LBB81_63:                              ;   Parent Loop BB81_4 Depth=1
                                        ;     Parent Loop BB81_49 Depth=2
                                        ; =>    This Inner Loop Header: Depth=3
	global_load_b64 v[20:21], v2, s[46:47] offset:-8
	s_add_u32 s42, s46, -8
	s_addc_u32 s43, s47, -1
	s_cmp_eq_u32 s37, 0
	s_waitcnt vmcnt(0)
	v_add_f64 v[14:15], v[10:11], v[20:21]
	s_cbranch_scc1 .LBB81_65
; %bb.64:                               ;   in Loop: Header=BB81_63 Depth=3
	s_delay_alu instid0(VALU_DEP_1)
	v_mul_f64 v[12:13], v[12:13], v[14:15]
	global_store_b64 v2, v[12:13], s[46:47]
.LBB81_65:                              ;   in Loop: Header=BB81_63 Depth=3
	s_delay_alu instid0(VALU_DEP_1)
	v_div_scale_f64 v[12:13], null, v[14:15], v[14:15], v[10:11]
	v_div_scale_f64 v[22:23], null, v[14:15], v[14:15], v[20:21]
	global_load_b64 v[28:29], v2, s[44:45] offset:-8
	v_div_scale_f64 v[34:35], vcc_lo, v[10:11], v[14:15], v[10:11]
	v_rcp_f64_e32 v[24:25], v[12:13]
	v_rcp_f64_e32 v[26:27], v[22:23]
	s_waitcnt_depctr 0xfff
	v_fma_f64 v[30:31], -v[12:13], v[24:25], 1.0
	v_fma_f64 v[32:33], -v[22:23], v[26:27], 1.0
	s_delay_alu instid0(VALU_DEP_2) | instskip(NEXT) | instid1(VALU_DEP_2)
	v_fma_f64 v[24:25], v[24:25], v[30:31], v[24:25]
	v_fma_f64 v[26:27], v[26:27], v[32:33], v[26:27]
	s_delay_alu instid0(VALU_DEP_2) | instskip(NEXT) | instid1(VALU_DEP_2)
	v_fma_f64 v[30:31], -v[12:13], v[24:25], 1.0
	v_fma_f64 v[32:33], -v[22:23], v[26:27], 1.0
	s_delay_alu instid0(VALU_DEP_2) | instskip(SKIP_1) | instid1(VALU_DEP_3)
	v_fma_f64 v[24:25], v[24:25], v[30:31], v[24:25]
	v_div_scale_f64 v[30:31], s4, v[20:21], v[14:15], v[20:21]
	v_fma_f64 v[26:27], v[26:27], v[32:33], v[26:27]
	s_delay_alu instid0(VALU_DEP_3) | instskip(NEXT) | instid1(VALU_DEP_2)
	v_mul_f64 v[32:33], v[34:35], v[24:25]
	v_mul_f64 v[36:37], v[30:31], v[26:27]
	s_delay_alu instid0(VALU_DEP_2) | instskip(NEXT) | instid1(VALU_DEP_2)
	v_fma_f64 v[12:13], -v[12:13], v[32:33], v[34:35]
	v_fma_f64 v[22:23], -v[22:23], v[36:37], v[30:31]
	s_delay_alu instid0(VALU_DEP_2) | instskip(SKIP_2) | instid1(VALU_DEP_2)
	v_div_fmas_f64 v[24:25], v[12:13], v[24:25], v[32:33]
	s_mov_b32 vcc_lo, s4
	s_add_u32 s4, s44, -8
	v_div_fmas_f64 v[12:13], v[22:23], v[26:27], v[36:37]
	s_addc_u32 s5, s45, -1
	s_waitcnt vmcnt(0)
	v_add_f64 v[26:27], v[28:29], -v[8:9]
	s_delay_alu instid0(VALU_DEP_3) | instskip(NEXT) | instid1(VALU_DEP_3)
	v_div_fixup_f64 v[22:23], v[24:25], v[14:15], v[10:11]
	v_div_fixup_f64 v[12:13], v[12:13], v[14:15], v[20:21]
	s_delay_alu instid0(VALU_DEP_2) | instskip(NEXT) | instid1(VALU_DEP_2)
	v_cmp_eq_f64_e32 vcc_lo, 0, v[22:23]
	v_mul_f64 v[10:11], v[18:19], v[12:13]
	s_and_b32 vcc_lo, exec_lo, vcc_lo
	s_delay_alu instid0(VALU_DEP_1) | instskip(NEXT) | instid1(VALU_DEP_1)
	v_fma_f64 v[14:15], v[22:23], v[26:27], -v[10:11]
	v_add_f64 v[10:11], v[28:29], -v[14:15]
	s_delay_alu instid0(VALU_DEP_1)
	v_add_f64 v[10:11], v[18:19], v[10:11]
	global_store_b64 v2, v[10:11], s[44:45]
	s_cbranch_vccz .LBB81_70
; %bb.66:                               ;   in Loop: Header=BB81_63 Depth=3
	v_mul_f64 v[10:11], v[16:17], v[20:21]
	s_cbranch_execnz .LBB81_68
.LBB81_67:                              ;   in Loop: Header=BB81_63 Depth=3
	v_mul_f64 v[10:11], v[14:15], v[14:15]
	s_delay_alu instid0(VALU_DEP_1) | instskip(NEXT) | instid1(VALU_DEP_1)
	v_div_scale_f64 v[16:17], null, v[22:23], v[22:23], v[10:11]
	v_rcp_f64_e32 v[18:19], v[16:17]
	s_waitcnt_depctr 0xfff
	v_fma_f64 v[20:21], -v[16:17], v[18:19], 1.0
	s_delay_alu instid0(VALU_DEP_1) | instskip(NEXT) | instid1(VALU_DEP_1)
	v_fma_f64 v[18:19], v[18:19], v[20:21], v[18:19]
	v_fma_f64 v[20:21], -v[16:17], v[18:19], 1.0
	s_delay_alu instid0(VALU_DEP_1) | instskip(SKIP_1) | instid1(VALU_DEP_1)
	v_fma_f64 v[18:19], v[18:19], v[20:21], v[18:19]
	v_div_scale_f64 v[20:21], vcc_lo, v[10:11], v[22:23], v[10:11]
	v_mul_f64 v[24:25], v[20:21], v[18:19]
	s_delay_alu instid0(VALU_DEP_1) | instskip(NEXT) | instid1(VALU_DEP_1)
	v_fma_f64 v[16:17], -v[16:17], v[24:25], v[20:21]
	v_div_fmas_f64 v[16:17], v[16:17], v[18:19], v[24:25]
	s_delay_alu instid0(VALU_DEP_1)
	v_div_fixup_f64 v[10:11], v[16:17], v[22:23], v[10:11]
.LBB81_68:                              ;   in Loop: Header=BB81_63 Depth=3
	s_add_i32 s37, s37, -1
	s_delay_alu instid0(SALU_CYCLE_1) | instskip(NEXT) | instid1(SALU_CYCLE_1)
	s_add_i32 s44, s36, s37
	s_cmp_le_i32 s44, s30
	s_cbranch_scc1 .LBB81_74
; %bb.69:                               ;   in Loop: Header=BB81_63 Depth=3
	v_dual_mov_b32 v16, v22 :: v_dual_mov_b32 v17, v23
	v_dual_mov_b32 v19, v15 :: v_dual_mov_b32 v18, v14
	s_mov_b64 s[46:47], s[42:43]
	s_mov_b64 s[44:45], s[4:5]
	s_branch .LBB81_63
.LBB81_70:                              ;   in Loop: Header=BB81_63 Depth=3
                                        ; implicit-def: $vgpr10_vgpr11
	s_branch .LBB81_67
.LBB81_71:                              ;   in Loop: Header=BB81_49 Depth=2
                                        ; implicit-def: $sgpr37
	s_cbranch_execz .LBB81_48
	s_branch .LBB81_95
.LBB81_72:                              ;   in Loop: Header=BB81_49 Depth=2
	s_mov_b32 s5, 0
                                        ; implicit-def: $sgpr37
                                        ; implicit-def: $sgpr4
                                        ; implicit-def: $sgpr42
	s_cbranch_execnz .LBB81_77
	s_branch .LBB81_94
.LBB81_73:                              ;   in Loop: Header=BB81_49 Depth=2
	v_dual_mov_b32 v14, v18 :: v_dual_mov_b32 v15, v19
.LBB81_74:                              ;   in Loop: Header=BB81_49 Depth=2
	s_delay_alu instid0(VALU_DEP_1)
	v_dual_mov_b32 v17, v11 :: v_dual_mov_b32 v16, v10
.LBB81_75:                              ;   in Loop: Header=BB81_49 Depth=2
	s_delay_alu instid0(VALU_DEP_1) | instskip(NEXT) | instid1(VALU_DEP_3)
	v_mul_f64 v[10:11], v[12:13], v[16:17]
	v_add_f64 v[8:9], v[8:9], v[14:15]
	s_add_i32 s42, s29, 1
	s_mov_b32 s5, -1
	s_clause 0x1
	global_store_b64 v2, v[10:11], s[40:41]
	global_store_b64 v2, v[8:9], s[34:35]
.LBB81_76:                              ;   in Loop: Header=BB81_49 Depth=2
	s_mov_b32 s37, s50
	s_mov_b32 s4, s30
	s_and_b32 vcc_lo, exec_lo, s70
	s_cbranch_vccz .LBB81_94
.LBB81_77:                              ;   in Loop: Header=BB81_49 Depth=2
	s_add_u32 s38, s10, s38
	s_addc_u32 s39, s11, s39
	s_mov_b32 s37, s23
	global_load_b64 v[8:9], v2, s[38:39]
	s_waitcnt vmcnt(0)
	v_cmp_gt_f64_e32 vcc_lo, 0x10000000, v[8:9]
	v_cndmask_b32_e64 v3, 0, 1, vcc_lo
	s_and_b32 s4, vcc_lo, exec_lo
	s_cselect_b32 s40, 0xffffff80, 0
	s_lshl_b64 s[4:5], s[36:37], 3
	s_delay_alu instid0(SALU_CYCLE_1) | instskip(SKIP_4) | instid1(VALU_DEP_1)
	s_add_u32 s36, s48, s4
	v_lshlrev_b32_e32 v3, 8, v3
	s_addc_u32 s37, s49, s5
	global_load_b64 v[10:11], v2, s[36:37]
	v_ldexp_f64 v[8:9], v[8:9], v3
	v_rsq_f64_e32 v[12:13], v[8:9]
	v_cmp_class_f64_e64 vcc_lo, v[8:9], 0x260
	s_waitcnt_depctr 0xfff
	v_mul_f64 v[14:15], v[8:9], v[12:13]
	v_mul_f64 v[12:13], v[12:13], 0.5
	s_delay_alu instid0(VALU_DEP_1) | instskip(NEXT) | instid1(VALU_DEP_1)
	v_fma_f64 v[16:17], -v[12:13], v[14:15], 0.5
	v_fma_f64 v[14:15], v[14:15], v[16:17], v[14:15]
	v_fma_f64 v[12:13], v[12:13], v[16:17], v[12:13]
	s_delay_alu instid0(VALU_DEP_2) | instskip(NEXT) | instid1(VALU_DEP_1)
	v_fma_f64 v[16:17], -v[14:15], v[14:15], v[8:9]
	v_fma_f64 v[14:15], v[16:17], v[12:13], v[14:15]
	s_delay_alu instid0(VALU_DEP_1) | instskip(NEXT) | instid1(VALU_DEP_1)
	v_fma_f64 v[16:17], -v[14:15], v[14:15], v[8:9]
	v_fma_f64 v[12:13], v[16:17], v[12:13], v[14:15]
	s_waitcnt vmcnt(0)
	v_add_f64 v[14:15], v[6:7], -v[10:11]
	s_delay_alu instid0(VALU_DEP_2) | instskip(NEXT) | instid1(VALU_DEP_1)
	v_ldexp_f64 v[12:13], v[12:13], s40
	v_dual_cndmask_b32 v8, v12, v8 :: v_dual_cndmask_b32 v9, v13, v9
	s_delay_alu instid0(VALU_DEP_1) | instskip(NEXT) | instid1(VALU_DEP_1)
	v_add_f64 v[16:17], v[8:9], v[8:9]
	v_cmp_ngt_f64_e64 s4, |v[14:15]|, |v[16:17]|
	s_delay_alu instid0(VALU_DEP_1)
	s_and_b32 vcc_lo, exec_lo, s4
	s_cbranch_vccz .LBB81_80
; %bb.78:                               ;   in Loop: Header=BB81_49 Depth=2
	v_cmp_nlt_f64_e64 s4, |v[14:15]|, |v[16:17]|
	s_delay_alu instid0(VALU_DEP_1)
	s_and_b32 vcc_lo, exec_lo, s4
	s_cbranch_vccz .LBB81_81
; %bb.79:                               ;   in Loop: Header=BB81_49 Depth=2
	v_mul_f64 v[12:13], |v[16:17]|, s[12:13]
	s_cbranch_execz .LBB81_82
	s_branch .LBB81_83
.LBB81_80:                              ;   in Loop: Header=BB81_49 Depth=2
                                        ; implicit-def: $vgpr12_vgpr13
	s_branch .LBB81_84
.LBB81_81:                              ;   in Loop: Header=BB81_49 Depth=2
                                        ; implicit-def: $vgpr12_vgpr13
.LBB81_82:                              ;   in Loop: Header=BB81_49 Depth=2
	v_dual_mov_b32 v12, v14 :: v_dual_and_b32 v13, 0x7fffffff, v15
	v_dual_mov_b32 v18, v16 :: v_dual_and_b32 v19, 0x7fffffff, v17
	s_delay_alu instid0(VALU_DEP_1) | instskip(SKIP_1) | instid1(VALU_DEP_2)
	v_div_scale_f64 v[20:21], null, v[18:19], v[18:19], v[12:13]
	v_div_scale_f64 v[12:13], vcc_lo, v[12:13], v[18:19], v[12:13]
	v_rcp_f64_e32 v[22:23], v[20:21]
	s_waitcnt_depctr 0xfff
	v_fma_f64 v[24:25], -v[20:21], v[22:23], 1.0
	s_delay_alu instid0(VALU_DEP_1) | instskip(NEXT) | instid1(VALU_DEP_1)
	v_fma_f64 v[22:23], v[22:23], v[24:25], v[22:23]
	v_fma_f64 v[24:25], -v[20:21], v[22:23], 1.0
	s_delay_alu instid0(VALU_DEP_1) | instskip(NEXT) | instid1(VALU_DEP_1)
	v_fma_f64 v[18:19], v[22:23], v[24:25], v[22:23]
	v_mul_f64 v[22:23], v[12:13], v[18:19]
	s_delay_alu instid0(VALU_DEP_1) | instskip(NEXT) | instid1(VALU_DEP_1)
	v_fma_f64 v[12:13], -v[20:21], v[22:23], v[12:13]
	v_div_fmas_f64 v[12:13], v[12:13], v[18:19], v[22:23]
	s_delay_alu instid0(VALU_DEP_1) | instskip(NEXT) | instid1(VALU_DEP_1)
	v_div_fixup_f64 v[12:13], v[12:13], |v[16:17]|, |v[14:15]|
	v_fma_f64 v[12:13], v[12:13], v[12:13], 1.0
	s_delay_alu instid0(VALU_DEP_1) | instskip(SKIP_3) | instid1(VALU_DEP_1)
	v_cmp_gt_f64_e32 vcc_lo, 0x10000000, v[12:13]
	v_cndmask_b32_e64 v3, 0, 1, vcc_lo
	s_and_b32 s4, vcc_lo, exec_lo
	s_cselect_b32 s4, 0xffffff80, 0
	v_lshlrev_b32_e32 v3, 8, v3
	s_delay_alu instid0(VALU_DEP_1) | instskip(NEXT) | instid1(VALU_DEP_1)
	v_ldexp_f64 v[12:13], v[12:13], v3
	v_rsq_f64_e32 v[18:19], v[12:13]
	v_cmp_class_f64_e64 vcc_lo, v[12:13], 0x260
	s_waitcnt_depctr 0xfff
	v_mul_f64 v[20:21], v[12:13], v[18:19]
	v_mul_f64 v[18:19], v[18:19], 0.5
	s_delay_alu instid0(VALU_DEP_1) | instskip(NEXT) | instid1(VALU_DEP_1)
	v_fma_f64 v[22:23], -v[18:19], v[20:21], 0.5
	v_fma_f64 v[20:21], v[20:21], v[22:23], v[20:21]
	v_fma_f64 v[18:19], v[18:19], v[22:23], v[18:19]
	s_delay_alu instid0(VALU_DEP_2) | instskip(NEXT) | instid1(VALU_DEP_1)
	v_fma_f64 v[22:23], -v[20:21], v[20:21], v[12:13]
	v_fma_f64 v[20:21], v[22:23], v[18:19], v[20:21]
	s_delay_alu instid0(VALU_DEP_1) | instskip(NEXT) | instid1(VALU_DEP_1)
	v_fma_f64 v[22:23], -v[20:21], v[20:21], v[12:13]
	v_fma_f64 v[18:19], v[22:23], v[18:19], v[20:21]
	s_delay_alu instid0(VALU_DEP_1) | instskip(NEXT) | instid1(VALU_DEP_1)
	v_ldexp_f64 v[18:19], v[18:19], s4
	v_dual_cndmask_b32 v12, v18, v12 :: v_dual_cndmask_b32 v13, v19, v13
	s_delay_alu instid0(VALU_DEP_1)
	v_mul_f64 v[12:13], |v[16:17]|, v[12:13]
.LBB81_83:                              ;   in Loop: Header=BB81_49 Depth=2
	s_cbranch_execnz .LBB81_85
.LBB81_84:                              ;   in Loop: Header=BB81_49 Depth=2
	v_dual_mov_b32 v12, v16 :: v_dual_and_b32 v13, 0x7fffffff, v17
	v_dual_mov_b32 v18, v14 :: v_dual_and_b32 v19, 0x7fffffff, v15
	s_delay_alu instid0(VALU_DEP_1) | instskip(SKIP_1) | instid1(VALU_DEP_2)
	v_div_scale_f64 v[20:21], null, v[18:19], v[18:19], v[12:13]
	v_div_scale_f64 v[12:13], vcc_lo, v[12:13], v[18:19], v[12:13]
	v_rcp_f64_e32 v[22:23], v[20:21]
	s_waitcnt_depctr 0xfff
	v_fma_f64 v[24:25], -v[20:21], v[22:23], 1.0
	s_delay_alu instid0(VALU_DEP_1) | instskip(NEXT) | instid1(VALU_DEP_1)
	v_fma_f64 v[22:23], v[22:23], v[24:25], v[22:23]
	v_fma_f64 v[24:25], -v[20:21], v[22:23], 1.0
	s_delay_alu instid0(VALU_DEP_1) | instskip(NEXT) | instid1(VALU_DEP_1)
	v_fma_f64 v[18:19], v[22:23], v[24:25], v[22:23]
	v_mul_f64 v[22:23], v[12:13], v[18:19]
	s_delay_alu instid0(VALU_DEP_1) | instskip(NEXT) | instid1(VALU_DEP_1)
	v_fma_f64 v[12:13], -v[20:21], v[22:23], v[12:13]
	v_div_fmas_f64 v[12:13], v[12:13], v[18:19], v[22:23]
	s_delay_alu instid0(VALU_DEP_1) | instskip(NEXT) | instid1(VALU_DEP_1)
	v_div_fixup_f64 v[12:13], v[12:13], |v[14:15]|, |v[16:17]|
	v_fma_f64 v[12:13], v[12:13], v[12:13], 1.0
	s_delay_alu instid0(VALU_DEP_1) | instskip(SKIP_3) | instid1(VALU_DEP_1)
	v_cmp_gt_f64_e32 vcc_lo, 0x10000000, v[12:13]
	v_cndmask_b32_e64 v3, 0, 1, vcc_lo
	s_and_b32 s4, vcc_lo, exec_lo
	s_cselect_b32 s4, 0xffffff80, 0
	v_lshlrev_b32_e32 v3, 8, v3
	s_delay_alu instid0(VALU_DEP_1) | instskip(NEXT) | instid1(VALU_DEP_1)
	v_ldexp_f64 v[12:13], v[12:13], v3
	v_rsq_f64_e32 v[16:17], v[12:13]
	v_cmp_class_f64_e64 vcc_lo, v[12:13], 0x260
	s_waitcnt_depctr 0xfff
	v_mul_f64 v[18:19], v[12:13], v[16:17]
	v_mul_f64 v[16:17], v[16:17], 0.5
	s_delay_alu instid0(VALU_DEP_1) | instskip(NEXT) | instid1(VALU_DEP_1)
	v_fma_f64 v[20:21], -v[16:17], v[18:19], 0.5
	v_fma_f64 v[18:19], v[18:19], v[20:21], v[18:19]
	v_fma_f64 v[16:17], v[16:17], v[20:21], v[16:17]
	s_delay_alu instid0(VALU_DEP_2) | instskip(NEXT) | instid1(VALU_DEP_1)
	v_fma_f64 v[20:21], -v[18:19], v[18:19], v[12:13]
	v_fma_f64 v[18:19], v[20:21], v[16:17], v[18:19]
	s_delay_alu instid0(VALU_DEP_1) | instskip(NEXT) | instid1(VALU_DEP_1)
	v_fma_f64 v[20:21], -v[18:19], v[18:19], v[12:13]
	v_fma_f64 v[16:17], v[20:21], v[16:17], v[18:19]
	s_delay_alu instid0(VALU_DEP_1) | instskip(NEXT) | instid1(VALU_DEP_1)
	v_ldexp_f64 v[16:17], v[16:17], s4
	v_dual_cndmask_b32 v12, v16, v12 :: v_dual_cndmask_b32 v13, v17, v13
	s_delay_alu instid0(VALU_DEP_1)
	v_mul_f64 v[12:13], |v[14:15]|, v[12:13]
.LBB81_85:                              ;   in Loop: Header=BB81_49 Depth=2
	v_add_f64 v[16:17], v[6:7], v[10:11]
	v_cmp_gt_f64_e64 vcc_lo, |v[6:7]|, |v[10:11]|
	s_delay_alu instid0(VALU_DEP_2) | instskip(SKIP_2) | instid1(VALU_DEP_3)
	v_cmp_ngt_f64_e64 s4, 0, v[16:17]
	v_dual_cndmask_b32 v15, v7, v11 :: v_dual_cndmask_b32 v14, v6, v10
	v_dual_cndmask_b32 v7, v11, v7 :: v_dual_cndmask_b32 v6, v10, v6
	s_and_b32 vcc_lo, exec_lo, s4
	s_cbranch_vccz .LBB81_88
; %bb.86:                               ;   in Loop: Header=BB81_49 Depth=2
	v_cmp_nlt_f64_e32 vcc_lo, 0, v[16:17]
	s_cbranch_vccz .LBB81_89
; %bb.87:                               ;   in Loop: Header=BB81_49 Depth=2
	v_mul_f64 v[10:11], v[12:13], 0.5
	v_mul_f64 v[18:19], v[12:13], -0.5
	s_cbranch_execz .LBB81_90
	s_branch .LBB81_91
.LBB81_88:                              ;   in Loop: Header=BB81_49 Depth=2
                                        ; implicit-def: $vgpr18_vgpr19
                                        ; implicit-def: $vgpr10_vgpr11
	s_branch .LBB81_92
.LBB81_89:                              ;   in Loop: Header=BB81_49 Depth=2
                                        ; implicit-def: $vgpr18_vgpr19
                                        ; implicit-def: $vgpr10_vgpr11
.LBB81_90:                              ;   in Loop: Header=BB81_49 Depth=2
	v_add_f64 v[10:11], v[16:17], v[12:13]
	s_delay_alu instid0(VALU_DEP_1) | instskip(NEXT) | instid1(VALU_DEP_1)
	v_mul_f64 v[10:11], v[10:11], 0.5
	v_div_scale_f64 v[18:19], null, v[10:11], v[10:11], v[6:7]
	v_div_scale_f64 v[20:21], null, v[10:11], v[10:11], v[8:9]
	v_div_scale_f64 v[30:31], vcc_lo, v[6:7], v[10:11], v[6:7]
	s_delay_alu instid0(VALU_DEP_3) | instskip(NEXT) | instid1(VALU_DEP_2)
	v_rcp_f64_e32 v[22:23], v[18:19]
	v_rcp_f64_e32 v[24:25], v[20:21]
	s_waitcnt_depctr 0xfff
	v_fma_f64 v[26:27], -v[18:19], v[22:23], 1.0
	v_fma_f64 v[28:29], -v[20:21], v[24:25], 1.0
	s_delay_alu instid0(VALU_DEP_2) | instskip(NEXT) | instid1(VALU_DEP_2)
	v_fma_f64 v[22:23], v[22:23], v[26:27], v[22:23]
	v_fma_f64 v[24:25], v[24:25], v[28:29], v[24:25]
	s_delay_alu instid0(VALU_DEP_2) | instskip(NEXT) | instid1(VALU_DEP_2)
	v_fma_f64 v[26:27], -v[18:19], v[22:23], 1.0
	v_fma_f64 v[28:29], -v[20:21], v[24:25], 1.0
	s_delay_alu instid0(VALU_DEP_2) | instskip(SKIP_1) | instid1(VALU_DEP_3)
	v_fma_f64 v[22:23], v[22:23], v[26:27], v[22:23]
	v_div_scale_f64 v[26:27], s4, v[8:9], v[10:11], v[8:9]
	v_fma_f64 v[24:25], v[24:25], v[28:29], v[24:25]
	s_delay_alu instid0(VALU_DEP_3) | instskip(NEXT) | instid1(VALU_DEP_2)
	v_mul_f64 v[28:29], v[30:31], v[22:23]
	v_mul_f64 v[32:33], v[26:27], v[24:25]
	s_delay_alu instid0(VALU_DEP_2) | instskip(NEXT) | instid1(VALU_DEP_2)
	v_fma_f64 v[18:19], -v[18:19], v[28:29], v[30:31]
	v_fma_f64 v[20:21], -v[20:21], v[32:33], v[26:27]
	s_delay_alu instid0(VALU_DEP_2) | instskip(SKIP_1) | instid1(VALU_DEP_2)
	v_div_fmas_f64 v[18:19], v[18:19], v[22:23], v[28:29]
	s_mov_b32 vcc_lo, s4
	v_div_fmas_f64 v[20:21], v[20:21], v[24:25], v[32:33]
	s_delay_alu instid0(VALU_DEP_2) | instskip(NEXT) | instid1(VALU_DEP_2)
	v_div_fixup_f64 v[18:19], v[18:19], v[10:11], v[6:7]
	v_div_fixup_f64 v[20:21], v[20:21], v[10:11], v[8:9]
	s_delay_alu instid0(VALU_DEP_1) | instskip(NEXT) | instid1(VALU_DEP_1)
	v_mul_f64 v[20:21], v[8:9], v[20:21]
	v_fma_f64 v[18:19], v[14:15], v[18:19], -v[20:21]
.LBB81_91:                              ;   in Loop: Header=BB81_49 Depth=2
	s_cbranch_execnz .LBB81_93
.LBB81_92:                              ;   in Loop: Header=BB81_49 Depth=2
	v_add_f64 v[10:11], v[16:17], -v[12:13]
	s_delay_alu instid0(VALU_DEP_1) | instskip(NEXT) | instid1(VALU_DEP_1)
	v_mul_f64 v[10:11], v[10:11], 0.5
	v_div_scale_f64 v[12:13], null, v[10:11], v[10:11], v[6:7]
	v_div_scale_f64 v[16:17], null, v[10:11], v[10:11], v[8:9]
	v_div_scale_f64 v[26:27], vcc_lo, v[6:7], v[10:11], v[6:7]
	s_delay_alu instid0(VALU_DEP_3) | instskip(NEXT) | instid1(VALU_DEP_2)
	v_rcp_f64_e32 v[18:19], v[12:13]
	v_rcp_f64_e32 v[20:21], v[16:17]
	s_waitcnt_depctr 0xfff
	v_fma_f64 v[22:23], -v[12:13], v[18:19], 1.0
	v_fma_f64 v[24:25], -v[16:17], v[20:21], 1.0
	s_delay_alu instid0(VALU_DEP_2) | instskip(NEXT) | instid1(VALU_DEP_2)
	v_fma_f64 v[18:19], v[18:19], v[22:23], v[18:19]
	v_fma_f64 v[20:21], v[20:21], v[24:25], v[20:21]
	s_delay_alu instid0(VALU_DEP_2) | instskip(NEXT) | instid1(VALU_DEP_2)
	v_fma_f64 v[22:23], -v[12:13], v[18:19], 1.0
	v_fma_f64 v[24:25], -v[16:17], v[20:21], 1.0
	s_delay_alu instid0(VALU_DEP_2) | instskip(SKIP_1) | instid1(VALU_DEP_3)
	v_fma_f64 v[18:19], v[18:19], v[22:23], v[18:19]
	v_div_scale_f64 v[22:23], s4, v[8:9], v[10:11], v[8:9]
	v_fma_f64 v[20:21], v[20:21], v[24:25], v[20:21]
	s_delay_alu instid0(VALU_DEP_3) | instskip(NEXT) | instid1(VALU_DEP_2)
	v_mul_f64 v[24:25], v[26:27], v[18:19]
	v_mul_f64 v[28:29], v[22:23], v[20:21]
	s_delay_alu instid0(VALU_DEP_2) | instskip(NEXT) | instid1(VALU_DEP_2)
	v_fma_f64 v[12:13], -v[12:13], v[24:25], v[26:27]
	v_fma_f64 v[16:17], -v[16:17], v[28:29], v[22:23]
	s_delay_alu instid0(VALU_DEP_2) | instskip(SKIP_1) | instid1(VALU_DEP_2)
	v_div_fmas_f64 v[12:13], v[12:13], v[18:19], v[24:25]
	s_mov_b32 vcc_lo, s4
	v_div_fmas_f64 v[16:17], v[16:17], v[20:21], v[28:29]
	s_delay_alu instid0(VALU_DEP_2) | instskip(NEXT) | instid1(VALU_DEP_2)
	v_div_fixup_f64 v[6:7], v[12:13], v[10:11], v[6:7]
	v_div_fixup_f64 v[16:17], v[16:17], v[10:11], v[8:9]
	s_delay_alu instid0(VALU_DEP_1) | instskip(NEXT) | instid1(VALU_DEP_1)
	v_mul_f64 v[8:9], v[8:9], v[16:17]
	v_fma_f64 v[18:19], v[14:15], v[6:7], -v[8:9]
.LBB81_93:                              ;   in Loop: Header=BB81_49 Depth=2
	v_mov_b32_e32 v3, v2
	s_add_i32 s4, s30, 2
	s_mov_b32 s5, -1
	s_mov_b32 s42, s29
	s_clause 0x2
	global_store_b64 v2, v[10:11], s[34:35]
	global_store_b64 v2, v[18:19], s[36:37]
	;; [unrolled: 1-line block ×3, first 2 shown]
                                        ; implicit-def: $sgpr37
.LBB81_94:                              ;   in Loop: Header=BB81_49 Depth=2
	s_mov_b32 s29, s42
	s_and_b32 vcc_lo, exec_lo, s5
	s_cbranch_vccz .LBB81_48
.LBB81_95:                              ;   in Loop: Header=BB81_49 Depth=2
	s_cmp_gt_i32 s4, s69
	s_mov_b32 s37, s29
	s_cselect_b32 s5, -1, 0
	s_cmp_ge_i32 s29, s50
	s_cselect_b32 s30, -1, 0
	s_delay_alu instid0(SALU_CYCLE_1)
	s_or_b32 s31, s5, s30
	s_branch .LBB81_48
.LBB81_96:                              ;   in Loop: Header=BB81_97 Depth=2
	s_and_not1_b32 vcc_lo, exec_lo, s29
	s_mov_b32 s28, s3
	s_cbranch_vccz .LBB81_143
.LBB81_97:                              ;   Parent Loop BB81_4 Depth=1
                                        ; =>  This Loop Header: Depth=2
                                        ;       Child Loop BB81_99 Depth 3
                                        ;       Child Loop BB81_112 Depth 3
	s_ashr_i32 s29, s28, 31
	s_min_i32 s30, s69, s28
	s_lshl_b64 s[34:35], s[28:29], 3
	s_mov_b32 s31, s28
	s_add_u32 s36, s60, s34
	s_addc_u32 s37, s61, s35
	s_add_u32 s4, s64, s34
	s_addc_u32 s5, s65, s35
	s_branch .LBB81_99
	.p2align	6
.LBB81_98:                              ;   in Loop: Header=BB81_99 Depth=3
	s_delay_alu instid0(VALU_DEP_1)
	s_and_not1_b32 vcc_lo, exec_lo, s38
	s_cbranch_vccz .LBB81_101
.LBB81_99:                              ;   Parent Loop BB81_4 Depth=1
                                        ;     Parent Loop BB81_97 Depth=2
                                        ; =>    This Inner Loop Header: Depth=3
	s_mov_b32 s3, s31
	s_mov_b32 s29, -1
	s_cmp_le_i32 s31, s69
	s_mov_b32 s38, -1
                                        ; implicit-def: $sgpr31
	s_cbranch_scc1 .LBB81_98
; %bb.100:                              ;   in Loop: Header=BB81_99 Depth=3
	s_clause 0x1
	global_load_b128 v[6:9], v2, s[36:37] offset:-8
	global_load_b64 v[10:11], v2, s[4:5] offset:-16
	s_add_i32 s31, s3, -1
	s_add_u32 s36, s36, -8
	s_addc_u32 s37, s37, -1
	s_add_u32 s4, s4, -8
	s_addc_u32 s5, s5, -1
	s_mov_b32 s29, 0
	s_waitcnt vmcnt(1)
	v_mul_f64 v[6:7], v[8:9], v[6:7]
	s_delay_alu instid0(VALU_DEP_1) | instskip(SKIP_1) | instid1(VALU_DEP_1)
	v_mul_f64 v[6:7], v[0:1], |v[6:7]|
	s_waitcnt vmcnt(0)
	v_cmp_le_f64_e64 s38, |v[10:11]|, v[6:7]
	s_branch .LBB81_98
.LBB81_101:                             ;   in Loop: Header=BB81_97 Depth=2
	s_and_not1_b32 vcc_lo, exec_lo, s29
	s_cbranch_vccz .LBB81_103
; %bb.102:                              ;   in Loop: Header=BB81_97 Depth=2
	v_mov_b32_e32 v3, v2
	s_mov_b32 s30, s3
	global_store_b64 v2, v[2:3], s[4:5] offset:-8
.LBB81_103:                             ;   in Loop: Header=BB81_97 Depth=2
	s_add_i32 s3, s28, -1
	s_cmp_eq_u32 s30, s28
	s_mov_b32 s29, -1
	s_cbranch_scc1 .LBB81_118
; %bb.104:                              ;   in Loop: Header=BB81_97 Depth=2
	s_add_u32 s4, s48, s34
	s_addc_u32 s5, s49, s35
	s_cmp_lg_u32 s30, s3
	global_load_b64 v[6:7], v2, s[4:5]
	s_cbranch_scc0 .LBB81_119
; %bb.105:                              ;   in Loop: Header=BB81_97 Depth=2
	s_mov_b32 s40, 0
	s_cmp_lg_u32 s67, s50
	s_mov_b32 s36, 0
                                        ; implicit-def: $sgpr37
	s_cbranch_scc0 .LBB81_123
; %bb.106:                              ;   in Loop: Header=BB81_97 Depth=2
	s_add_u32 s34, s52, s34
	s_addc_u32 s35, s53, s35
	s_clause 0x1
	global_load_b64 v[8:9], v2, s[34:35]
	global_load_b64 v[10:11], v2, s[4:5] offset:-8
	s_waitcnt vmcnt(1)
	v_cmp_gt_f64_e32 vcc_lo, 0x10000000, v[8:9]
	s_waitcnt vmcnt(0)
	v_add_f64 v[10:11], v[10:11], -v[6:7]
	v_cndmask_b32_e64 v3, 0, 1, vcc_lo
	s_and_b32 s3, vcc_lo, exec_lo
	s_cselect_b32 s3, 0xffffff80, 0
	s_delay_alu instid0(VALU_DEP_1) | instskip(NEXT) | instid1(VALU_DEP_1)
	v_lshlrev_b32_e32 v3, 8, v3
	v_ldexp_f64 v[8:9], v[8:9], v3
	s_delay_alu instid0(VALU_DEP_1) | instskip(SKIP_4) | instid1(VALU_DEP_1)
	v_rsq_f64_e32 v[12:13], v[8:9]
	v_cmp_class_f64_e64 vcc_lo, v[8:9], 0x260
	s_waitcnt_depctr 0xfff
	v_mul_f64 v[14:15], v[8:9], v[12:13]
	v_mul_f64 v[12:13], v[12:13], 0.5
	v_fma_f64 v[16:17], -v[12:13], v[14:15], 0.5
	s_delay_alu instid0(VALU_DEP_1) | instskip(SKIP_1) | instid1(VALU_DEP_2)
	v_fma_f64 v[14:15], v[14:15], v[16:17], v[14:15]
	v_fma_f64 v[12:13], v[12:13], v[16:17], v[12:13]
	v_fma_f64 v[16:17], -v[14:15], v[14:15], v[8:9]
	s_delay_alu instid0(VALU_DEP_1) | instskip(NEXT) | instid1(VALU_DEP_1)
	v_fma_f64 v[14:15], v[16:17], v[12:13], v[14:15]
	v_fma_f64 v[16:17], -v[14:15], v[14:15], v[8:9]
	s_delay_alu instid0(VALU_DEP_1) | instskip(NEXT) | instid1(VALU_DEP_1)
	v_fma_f64 v[12:13], v[16:17], v[12:13], v[14:15]
	v_ldexp_f64 v[12:13], v[12:13], s3
	s_delay_alu instid0(VALU_DEP_1) | instskip(NEXT) | instid1(VALU_DEP_1)
	v_dual_cndmask_b32 v8, v12, v8 :: v_dual_cndmask_b32 v9, v13, v9
	v_add_f64 v[12:13], v[8:9], v[8:9]
	s_delay_alu instid0(VALU_DEP_1) | instskip(SKIP_1) | instid1(VALU_DEP_2)
	v_div_scale_f64 v[14:15], null, v[12:13], v[12:13], v[10:11]
	v_div_scale_f64 v[20:21], vcc_lo, v[10:11], v[12:13], v[10:11]
	v_rcp_f64_e32 v[16:17], v[14:15]
	s_waitcnt_depctr 0xfff
	v_fma_f64 v[18:19], -v[14:15], v[16:17], 1.0
	s_delay_alu instid0(VALU_DEP_1) | instskip(NEXT) | instid1(VALU_DEP_1)
	v_fma_f64 v[16:17], v[16:17], v[18:19], v[16:17]
	v_fma_f64 v[18:19], -v[14:15], v[16:17], 1.0
	s_delay_alu instid0(VALU_DEP_1) | instskip(NEXT) | instid1(VALU_DEP_1)
	v_fma_f64 v[16:17], v[16:17], v[18:19], v[16:17]
	v_mul_f64 v[18:19], v[20:21], v[16:17]
	s_delay_alu instid0(VALU_DEP_1) | instskip(NEXT) | instid1(VALU_DEP_1)
	v_fma_f64 v[14:15], -v[14:15], v[18:19], v[20:21]
	v_div_fmas_f64 v[14:15], v[14:15], v[16:17], v[18:19]
	s_delay_alu instid0(VALU_DEP_1) | instskip(NEXT) | instid1(VALU_DEP_1)
	v_div_fixup_f64 v[10:11], v[14:15], v[12:13], v[10:11]
	v_fma_f64 v[12:13], v[10:11], v[10:11], 1.0
	s_delay_alu instid0(VALU_DEP_1) | instskip(SKIP_4) | instid1(VALU_DEP_1)
	v_cmp_gt_f64_e32 vcc_lo, 0x10000000, v[12:13]
	v_cndmask_b32_e64 v3, 0, 1, vcc_lo
	s_and_b32 s3, vcc_lo, exec_lo
	s_cselect_b32 s3, 0xffffff80, 0
	s_ashr_i32 s31, s30, 31
	v_lshlrev_b32_e32 v3, 8, v3
	s_lshl_b64 s[38:39], s[30:31], 3
	s_delay_alu instid0(SALU_CYCLE_1) | instskip(SKIP_1) | instid1(VALU_DEP_1)
	s_add_u32 s36, s48, s38
	s_addc_u32 s37, s49, s39
	v_ldexp_f64 v[12:13], v[12:13], v3
	s_cmp_ge_i32 s30, s28
	s_delay_alu instid0(VALU_DEP_1) | instskip(SKIP_4) | instid1(VALU_DEP_1)
	v_rsq_f64_e32 v[14:15], v[12:13]
	v_cmp_class_f64_e64 vcc_lo, v[12:13], 0x260
	s_waitcnt_depctr 0xfff
	v_mul_f64 v[16:17], v[12:13], v[14:15]
	v_mul_f64 v[14:15], v[14:15], 0.5
	v_fma_f64 v[18:19], -v[14:15], v[16:17], 0.5
	s_delay_alu instid0(VALU_DEP_1) | instskip(SKIP_1) | instid1(VALU_DEP_2)
	v_fma_f64 v[16:17], v[16:17], v[18:19], v[16:17]
	v_fma_f64 v[14:15], v[14:15], v[18:19], v[14:15]
	v_fma_f64 v[18:19], -v[16:17], v[16:17], v[12:13]
	s_delay_alu instid0(VALU_DEP_1) | instskip(NEXT) | instid1(VALU_DEP_1)
	v_fma_f64 v[16:17], v[18:19], v[14:15], v[16:17]
	v_fma_f64 v[18:19], -v[16:17], v[16:17], v[12:13]
	s_delay_alu instid0(VALU_DEP_1) | instskip(SKIP_2) | instid1(VALU_DEP_1)
	v_fma_f64 v[14:15], v[18:19], v[14:15], v[16:17]
	global_load_b64 v[18:19], v2, s[36:37]
	v_ldexp_f64 v[14:15], v[14:15], s3
	v_dual_cndmask_b32 v3, v15, v13 :: v_dual_cndmask_b32 v12, v14, v12
	v_cmp_nle_f64_e32 vcc_lo, 0, v[10:11]
	s_delay_alu instid0(VALU_DEP_2) | instskip(SKIP_1) | instid1(VALU_DEP_1)
	v_and_b32_e32 v13, 0x7fffffff, v3
	v_or_b32_e32 v3, 0x80000000, v3
	v_cndmask_b32_e32 v13, v13, v3, vcc_lo
	s_delay_alu instid0(VALU_DEP_1) | instskip(NEXT) | instid1(VALU_DEP_1)
	v_add_f64 v[10:11], v[10:11], v[12:13]
	v_div_scale_f64 v[12:13], null, v[10:11], v[10:11], v[8:9]
	s_delay_alu instid0(VALU_DEP_1) | instskip(SKIP_2) | instid1(VALU_DEP_1)
	v_rcp_f64_e32 v[14:15], v[12:13]
	s_waitcnt_depctr 0xfff
	v_fma_f64 v[16:17], -v[12:13], v[14:15], 1.0
	v_fma_f64 v[14:15], v[14:15], v[16:17], v[14:15]
	s_delay_alu instid0(VALU_DEP_1) | instskip(NEXT) | instid1(VALU_DEP_1)
	v_fma_f64 v[16:17], -v[12:13], v[14:15], 1.0
	v_fma_f64 v[14:15], v[14:15], v[16:17], v[14:15]
	v_div_scale_f64 v[16:17], vcc_lo, v[8:9], v[10:11], v[8:9]
	s_delay_alu instid0(VALU_DEP_1) | instskip(NEXT) | instid1(VALU_DEP_1)
	v_mul_f64 v[20:21], v[16:17], v[14:15]
	v_fma_f64 v[12:13], -v[12:13], v[20:21], v[16:17]
	s_delay_alu instid0(VALU_DEP_1) | instskip(NEXT) | instid1(VALU_DEP_1)
	v_div_fmas_f64 v[12:13], v[12:13], v[14:15], v[20:21]
	v_div_fixup_f64 v[8:9], v[12:13], v[10:11], v[8:9]
	v_mov_b32_e32 v12, 0
	v_mov_b32_e32 v13, 0
	s_delay_alu instid0(VALU_DEP_3) | instskip(SKIP_1) | instid1(VALU_DEP_1)
	v_add_f64 v[8:9], v[6:7], -v[8:9]
	s_waitcnt vmcnt(0)
	v_add_f64 v[14:15], v[18:19], -v[8:9]
	s_delay_alu instid0(VALU_DEP_1)
	v_mul_f64 v[16:17], v[14:15], v[14:15]
	s_cbranch_scc1 .LBB81_122
; %bb.107:                              ;   in Loop: Header=BB81_97 Depth=2
	s_add_u32 s38, s10, s38
	s_addc_u32 s39, s11, s39
	s_clause 0x1
	global_load_b64 v[10:11], v2, s[38:39]
	global_load_b64 v[20:21], v2, s[36:37] offset:8
	s_waitcnt vmcnt(1)
	v_add_f64 v[18:19], v[16:17], v[10:11]
	s_delay_alu instid0(VALU_DEP_1) | instskip(SKIP_2) | instid1(VALU_DEP_3)
	v_div_scale_f64 v[12:13], null, v[18:19], v[18:19], v[16:17]
	v_div_scale_f64 v[22:23], null, v[18:19], v[18:19], v[10:11]
	v_div_scale_f64 v[32:33], vcc_lo, v[16:17], v[18:19], v[16:17]
	v_rcp_f64_e32 v[24:25], v[12:13]
	s_delay_alu instid0(VALU_DEP_2) | instskip(SKIP_3) | instid1(VALU_DEP_2)
	v_rcp_f64_e32 v[26:27], v[22:23]
	s_waitcnt_depctr 0xfff
	v_fma_f64 v[28:29], -v[12:13], v[24:25], 1.0
	v_fma_f64 v[30:31], -v[22:23], v[26:27], 1.0
	v_fma_f64 v[24:25], v[24:25], v[28:29], v[24:25]
	s_delay_alu instid0(VALU_DEP_2) | instskip(NEXT) | instid1(VALU_DEP_2)
	v_fma_f64 v[26:27], v[26:27], v[30:31], v[26:27]
	v_fma_f64 v[28:29], -v[12:13], v[24:25], 1.0
	s_delay_alu instid0(VALU_DEP_2) | instskip(NEXT) | instid1(VALU_DEP_2)
	v_fma_f64 v[30:31], -v[22:23], v[26:27], 1.0
	v_fma_f64 v[24:25], v[24:25], v[28:29], v[24:25]
	v_div_scale_f64 v[28:29], s3, v[10:11], v[18:19], v[10:11]
	s_delay_alu instid0(VALU_DEP_3) | instskip(NEXT) | instid1(VALU_DEP_3)
	v_fma_f64 v[26:27], v[26:27], v[30:31], v[26:27]
	v_mul_f64 v[30:31], v[32:33], v[24:25]
	s_delay_alu instid0(VALU_DEP_2) | instskip(NEXT) | instid1(VALU_DEP_2)
	v_mul_f64 v[34:35], v[28:29], v[26:27]
	v_fma_f64 v[12:13], -v[12:13], v[30:31], v[32:33]
	s_delay_alu instid0(VALU_DEP_2) | instskip(NEXT) | instid1(VALU_DEP_2)
	v_fma_f64 v[22:23], -v[22:23], v[34:35], v[28:29]
	v_div_fmas_f64 v[24:25], v[12:13], v[24:25], v[30:31]
	s_mov_b32 vcc_lo, s3
	s_delay_alu instid0(VALU_DEP_2) | instskip(SKIP_2) | instid1(VALU_DEP_3)
	v_div_fmas_f64 v[12:13], v[22:23], v[26:27], v[34:35]
	s_waitcnt vmcnt(0)
	v_add_f64 v[22:23], v[20:21], -v[8:9]
	v_div_fixup_f64 v[16:17], v[24:25], v[18:19], v[16:17]
	s_delay_alu instid0(VALU_DEP_3) | instskip(NEXT) | instid1(VALU_DEP_2)
	v_div_fixup_f64 v[12:13], v[12:13], v[18:19], v[10:11]
	v_cmp_eq_f64_e32 vcc_lo, 0, v[16:17]
	s_delay_alu instid0(VALU_DEP_2) | instskip(SKIP_1) | instid1(VALU_DEP_1)
	v_mul_f64 v[18:19], v[14:15], v[12:13]
	s_and_b32 vcc_lo, exec_lo, vcc_lo
	v_fma_f64 v[18:19], v[16:17], v[22:23], -v[18:19]
	s_delay_alu instid0(VALU_DEP_1) | instskip(NEXT) | instid1(VALU_DEP_1)
	v_add_f64 v[20:21], v[20:21], -v[18:19]
	v_add_f64 v[14:15], v[14:15], v[20:21]
	global_store_b64 v2, v[14:15], s[36:37]
	s_cbranch_vccnz .LBB81_109
; %bb.108:                              ;   in Loop: Header=BB81_97 Depth=2
	v_mul_f64 v[10:11], v[18:19], v[18:19]
	s_delay_alu instid0(VALU_DEP_1) | instskip(NEXT) | instid1(VALU_DEP_1)
	v_div_scale_f64 v[14:15], null, v[16:17], v[16:17], v[10:11]
	v_rcp_f64_e32 v[20:21], v[14:15]
	s_waitcnt_depctr 0xfff
	v_fma_f64 v[22:23], -v[14:15], v[20:21], 1.0
	s_delay_alu instid0(VALU_DEP_1) | instskip(NEXT) | instid1(VALU_DEP_1)
	v_fma_f64 v[20:21], v[20:21], v[22:23], v[20:21]
	v_fma_f64 v[22:23], -v[14:15], v[20:21], 1.0
	s_delay_alu instid0(VALU_DEP_1) | instskip(SKIP_1) | instid1(VALU_DEP_1)
	v_fma_f64 v[20:21], v[20:21], v[22:23], v[20:21]
	v_div_scale_f64 v[22:23], vcc_lo, v[10:11], v[16:17], v[10:11]
	v_mul_f64 v[24:25], v[22:23], v[20:21]
	s_delay_alu instid0(VALU_DEP_1) | instskip(NEXT) | instid1(VALU_DEP_1)
	v_fma_f64 v[14:15], -v[14:15], v[24:25], v[22:23]
	v_div_fmas_f64 v[14:15], v[14:15], v[20:21], v[24:25]
	s_delay_alu instid0(VALU_DEP_1)
	v_div_fixup_f64 v[10:11], v[14:15], v[16:17], v[10:11]
.LBB81_109:                             ;   in Loop: Header=BB81_97 Depth=2
	s_add_i32 s36, s30, 1
	s_delay_alu instid0(SALU_CYCLE_1)
	s_cmp_ge_i32 s36, s28
	s_cbranch_scc1 .LBB81_120
; %bb.110:                              ;   in Loop: Header=BB81_97 Depth=2
	s_ashr_i32 s37, s36, 31
	s_mov_b32 s31, 1
	s_lshl_b64 s[38:39], s[36:37], 3
	s_delay_alu instid0(SALU_CYCLE_1)
	s_add_u32 s36, s56, s38
	s_addc_u32 s37, s57, s39
	s_add_u32 s38, s62, s38
	s_addc_u32 s39, s63, s39
	global_load_b64 v[20:21], v2, s[36:37]
	s_cmp_eq_u32 s31, 0
	s_waitcnt vmcnt(0)
	v_add_f64 v[14:15], v[10:11], v[20:21]
	s_cbranch_scc1 .LBB81_112
.LBB81_111:                             ;   in Loop: Header=BB81_97 Depth=2
	s_delay_alu instid0(VALU_DEP_1)
	v_mul_f64 v[12:13], v[12:13], v[14:15]
	global_store_b64 v2, v[12:13], s[36:37] offset:-8
.LBB81_112:                             ;   Parent Loop BB81_4 Depth=1
                                        ;     Parent Loop BB81_97 Depth=2
                                        ; =>    This Inner Loop Header: Depth=3
	s_delay_alu instid0(VALU_DEP_1)
	v_div_scale_f64 v[12:13], null, v[14:15], v[14:15], v[10:11]
	v_div_scale_f64 v[22:23], null, v[14:15], v[14:15], v[20:21]
	global_load_b64 v[28:29], v2, s[38:39]
	v_div_scale_f64 v[34:35], vcc_lo, v[10:11], v[14:15], v[10:11]
	v_rcp_f64_e32 v[24:25], v[12:13]
	v_rcp_f64_e32 v[26:27], v[22:23]
	s_waitcnt_depctr 0xfff
	v_fma_f64 v[30:31], -v[12:13], v[24:25], 1.0
	v_fma_f64 v[32:33], -v[22:23], v[26:27], 1.0
	s_delay_alu instid0(VALU_DEP_2) | instskip(NEXT) | instid1(VALU_DEP_2)
	v_fma_f64 v[24:25], v[24:25], v[30:31], v[24:25]
	v_fma_f64 v[26:27], v[26:27], v[32:33], v[26:27]
	s_delay_alu instid0(VALU_DEP_2) | instskip(NEXT) | instid1(VALU_DEP_2)
	v_fma_f64 v[30:31], -v[12:13], v[24:25], 1.0
	v_fma_f64 v[32:33], -v[22:23], v[26:27], 1.0
	s_delay_alu instid0(VALU_DEP_2) | instskip(SKIP_1) | instid1(VALU_DEP_3)
	v_fma_f64 v[24:25], v[24:25], v[30:31], v[24:25]
	v_div_scale_f64 v[30:31], s3, v[20:21], v[14:15], v[20:21]
	v_fma_f64 v[26:27], v[26:27], v[32:33], v[26:27]
	s_delay_alu instid0(VALU_DEP_3) | instskip(NEXT) | instid1(VALU_DEP_2)
	v_mul_f64 v[32:33], v[34:35], v[24:25]
	v_mul_f64 v[36:37], v[30:31], v[26:27]
	s_delay_alu instid0(VALU_DEP_2) | instskip(NEXT) | instid1(VALU_DEP_2)
	v_fma_f64 v[12:13], -v[12:13], v[32:33], v[34:35]
	v_fma_f64 v[22:23], -v[22:23], v[36:37], v[30:31]
	s_delay_alu instid0(VALU_DEP_2) | instskip(SKIP_1) | instid1(VALU_DEP_2)
	v_div_fmas_f64 v[24:25], v[12:13], v[24:25], v[32:33]
	s_mov_b32 vcc_lo, s3
	v_div_fmas_f64 v[12:13], v[22:23], v[26:27], v[36:37]
	s_waitcnt vmcnt(0)
	v_add_f64 v[26:27], v[28:29], -v[8:9]
	s_delay_alu instid0(VALU_DEP_3) | instskip(NEXT) | instid1(VALU_DEP_3)
	v_div_fixup_f64 v[22:23], v[24:25], v[14:15], v[10:11]
	v_div_fixup_f64 v[12:13], v[12:13], v[14:15], v[20:21]
	s_delay_alu instid0(VALU_DEP_2) | instskip(NEXT) | instid1(VALU_DEP_2)
	v_cmp_eq_f64_e32 vcc_lo, 0, v[22:23]
	v_mul_f64 v[10:11], v[18:19], v[12:13]
	s_and_b32 vcc_lo, exec_lo, vcc_lo
	s_delay_alu instid0(VALU_DEP_1) | instskip(NEXT) | instid1(VALU_DEP_1)
	v_fma_f64 v[14:15], v[22:23], v[26:27], -v[10:11]
	v_add_f64 v[10:11], v[28:29], -v[14:15]
	s_delay_alu instid0(VALU_DEP_1)
	v_add_f64 v[10:11], v[18:19], v[10:11]
	global_store_b64 v2, v[10:11], s[38:39] offset:-8
	s_cbranch_vccz .LBB81_117
; %bb.113:                              ;   in Loop: Header=BB81_112 Depth=3
	v_mul_f64 v[10:11], v[16:17], v[20:21]
	s_cbranch_execnz .LBB81_115
.LBB81_114:                             ;   in Loop: Header=BB81_112 Depth=3
	v_mul_f64 v[10:11], v[14:15], v[14:15]
	s_delay_alu instid0(VALU_DEP_1) | instskip(NEXT) | instid1(VALU_DEP_1)
	v_div_scale_f64 v[16:17], null, v[22:23], v[22:23], v[10:11]
	v_rcp_f64_e32 v[18:19], v[16:17]
	s_waitcnt_depctr 0xfff
	v_fma_f64 v[20:21], -v[16:17], v[18:19], 1.0
	s_delay_alu instid0(VALU_DEP_1) | instskip(NEXT) | instid1(VALU_DEP_1)
	v_fma_f64 v[18:19], v[18:19], v[20:21], v[18:19]
	v_fma_f64 v[20:21], -v[16:17], v[18:19], 1.0
	s_delay_alu instid0(VALU_DEP_1) | instskip(SKIP_1) | instid1(VALU_DEP_1)
	v_fma_f64 v[18:19], v[18:19], v[20:21], v[18:19]
	v_div_scale_f64 v[20:21], vcc_lo, v[10:11], v[22:23], v[10:11]
	v_mul_f64 v[24:25], v[20:21], v[18:19]
	s_delay_alu instid0(VALU_DEP_1) | instskip(NEXT) | instid1(VALU_DEP_1)
	v_fma_f64 v[16:17], -v[16:17], v[24:25], v[20:21]
	v_div_fmas_f64 v[16:17], v[16:17], v[18:19], v[24:25]
	s_delay_alu instid0(VALU_DEP_1)
	v_div_fixup_f64 v[10:11], v[16:17], v[22:23], v[10:11]
.LBB81_115:                             ;   in Loop: Header=BB81_112 Depth=3
	s_add_i32 s31, s31, 1
	s_delay_alu instid0(SALU_CYCLE_1)
	s_add_i32 s3, s30, s31
	s_add_u32 s36, s36, 8
	s_addc_u32 s37, s37, 0
	s_add_u32 s38, s38, 8
	s_addc_u32 s39, s39, 0
	s_cmp_ge_i32 s3, s28
	s_cbranch_scc1 .LBB81_121
; %bb.116:                              ;   in Loop: Header=BB81_112 Depth=3
	v_dual_mov_b32 v16, v22 :: v_dual_mov_b32 v17, v23
	v_dual_mov_b32 v19, v15 :: v_dual_mov_b32 v18, v14
	global_load_b64 v[20:21], v2, s[36:37]
	s_cmp_eq_u32 s31, 0
	s_waitcnt vmcnt(0)
	v_add_f64 v[14:15], v[10:11], v[20:21]
	s_cbranch_scc0 .LBB81_111
	s_branch .LBB81_112
.LBB81_117:                             ;   in Loop: Header=BB81_112 Depth=3
                                        ; implicit-def: $vgpr10_vgpr11
	s_branch .LBB81_114
.LBB81_118:                             ;   in Loop: Header=BB81_97 Depth=2
                                        ; implicit-def: $sgpr31
	s_cbranch_execz .LBB81_96
	s_branch .LBB81_142
.LBB81_119:                             ;   in Loop: Header=BB81_97 Depth=2
	s_mov_b32 s36, 0
                                        ; implicit-def: $sgpr31
                                        ; implicit-def: $sgpr3
                                        ; implicit-def: $sgpr37
	s_cbranch_execnz .LBB81_124
	s_branch .LBB81_141
.LBB81_120:                             ;   in Loop: Header=BB81_97 Depth=2
	v_dual_mov_b32 v14, v18 :: v_dual_mov_b32 v15, v19
.LBB81_121:                             ;   in Loop: Header=BB81_97 Depth=2
	s_delay_alu instid0(VALU_DEP_1)
	v_dual_mov_b32 v17, v11 :: v_dual_mov_b32 v16, v10
.LBB81_122:                             ;   in Loop: Header=BB81_97 Depth=2
	s_delay_alu instid0(VALU_DEP_1) | instskip(NEXT) | instid1(VALU_DEP_3)
	v_mul_f64 v[10:11], v[16:17], v[12:13]
	v_add_f64 v[8:9], v[8:9], v[14:15]
	s_add_i32 s37, s67, 1
	s_mov_b32 s36, -1
	s_clause 0x1
	global_store_b64 v2, v[10:11], s[34:35]
	global_store_b64 v2, v[8:9], s[4:5]
.LBB81_123:                             ;   in Loop: Header=BB81_97 Depth=2
	s_mov_b32 s31, s50
	s_mov_b32 s3, s28
	s_and_b32 vcc_lo, exec_lo, s40
	s_cbranch_vccz .LBB81_141
.LBB81_124:                             ;   in Loop: Header=BB81_97 Depth=2
	s_ashr_i32 s31, s30, 31
	s_delay_alu instid0(SALU_CYCLE_1) | instskip(NEXT) | instid1(SALU_CYCLE_1)
	s_lshl_b64 s[34:35], s[30:31], 3
	s_add_u32 s30, s10, s34
	s_addc_u32 s31, s11, s35
	global_load_b64 v[8:9], v2, s[30:31]
	s_waitcnt vmcnt(0)
	v_cmp_gt_f64_e32 vcc_lo, 0x10000000, v[8:9]
	v_cndmask_b32_e64 v3, 0, 1, vcc_lo
	s_and_b32 s3, vcc_lo, exec_lo
	s_cselect_b32 s3, 0xffffff80, 0
	s_add_u32 s34, s48, s34
	s_addc_u32 s35, s49, s35
	v_lshlrev_b32_e32 v3, 8, v3
	global_load_b64 v[10:11], v2, s[34:35]
	v_ldexp_f64 v[8:9], v[8:9], v3
	s_delay_alu instid0(VALU_DEP_1) | instskip(SKIP_4) | instid1(VALU_DEP_1)
	v_rsq_f64_e32 v[12:13], v[8:9]
	v_cmp_class_f64_e64 vcc_lo, v[8:9], 0x260
	s_waitcnt_depctr 0xfff
	v_mul_f64 v[14:15], v[8:9], v[12:13]
	v_mul_f64 v[12:13], v[12:13], 0.5
	v_fma_f64 v[16:17], -v[12:13], v[14:15], 0.5
	s_delay_alu instid0(VALU_DEP_1) | instskip(SKIP_1) | instid1(VALU_DEP_2)
	v_fma_f64 v[14:15], v[14:15], v[16:17], v[14:15]
	v_fma_f64 v[12:13], v[12:13], v[16:17], v[12:13]
	v_fma_f64 v[16:17], -v[14:15], v[14:15], v[8:9]
	s_delay_alu instid0(VALU_DEP_1) | instskip(NEXT) | instid1(VALU_DEP_1)
	v_fma_f64 v[14:15], v[16:17], v[12:13], v[14:15]
	v_fma_f64 v[16:17], -v[14:15], v[14:15], v[8:9]
	s_delay_alu instid0(VALU_DEP_1) | instskip(SKIP_2) | instid1(VALU_DEP_2)
	v_fma_f64 v[12:13], v[16:17], v[12:13], v[14:15]
	s_waitcnt vmcnt(0)
	v_add_f64 v[14:15], v[6:7], -v[10:11]
	v_ldexp_f64 v[12:13], v[12:13], s3
	s_delay_alu instid0(VALU_DEP_1) | instskip(NEXT) | instid1(VALU_DEP_1)
	v_dual_cndmask_b32 v8, v12, v8 :: v_dual_cndmask_b32 v9, v13, v9
	v_add_f64 v[16:17], v[8:9], v[8:9]
	s_delay_alu instid0(VALU_DEP_1) | instskip(NEXT) | instid1(VALU_DEP_1)
	v_cmp_ngt_f64_e64 s3, |v[14:15]|, |v[16:17]|
	s_and_b32 vcc_lo, exec_lo, s3
	s_cbranch_vccz .LBB81_127
; %bb.125:                              ;   in Loop: Header=BB81_97 Depth=2
	v_cmp_nlt_f64_e64 s3, |v[14:15]|, |v[16:17]|
	s_delay_alu instid0(VALU_DEP_1)
	s_and_b32 vcc_lo, exec_lo, s3
	s_cbranch_vccz .LBB81_128
; %bb.126:                              ;   in Loop: Header=BB81_97 Depth=2
	v_mul_f64 v[12:13], |v[16:17]|, s[12:13]
	s_cbranch_execz .LBB81_129
	s_branch .LBB81_130
.LBB81_127:                             ;   in Loop: Header=BB81_97 Depth=2
                                        ; implicit-def: $vgpr12_vgpr13
	s_branch .LBB81_131
.LBB81_128:                             ;   in Loop: Header=BB81_97 Depth=2
                                        ; implicit-def: $vgpr12_vgpr13
.LBB81_129:                             ;   in Loop: Header=BB81_97 Depth=2
	v_dual_mov_b32 v12, v14 :: v_dual_and_b32 v13, 0x7fffffff, v15
	v_dual_mov_b32 v18, v16 :: v_dual_and_b32 v19, 0x7fffffff, v17
	s_delay_alu instid0(VALU_DEP_1) | instskip(SKIP_1) | instid1(VALU_DEP_2)
	v_div_scale_f64 v[20:21], null, v[18:19], v[18:19], v[12:13]
	v_div_scale_f64 v[12:13], vcc_lo, v[12:13], v[18:19], v[12:13]
	v_rcp_f64_e32 v[22:23], v[20:21]
	s_waitcnt_depctr 0xfff
	v_fma_f64 v[24:25], -v[20:21], v[22:23], 1.0
	s_delay_alu instid0(VALU_DEP_1) | instskip(NEXT) | instid1(VALU_DEP_1)
	v_fma_f64 v[22:23], v[22:23], v[24:25], v[22:23]
	v_fma_f64 v[24:25], -v[20:21], v[22:23], 1.0
	s_delay_alu instid0(VALU_DEP_1) | instskip(NEXT) | instid1(VALU_DEP_1)
	v_fma_f64 v[18:19], v[22:23], v[24:25], v[22:23]
	v_mul_f64 v[22:23], v[12:13], v[18:19]
	s_delay_alu instid0(VALU_DEP_1) | instskip(NEXT) | instid1(VALU_DEP_1)
	v_fma_f64 v[12:13], -v[20:21], v[22:23], v[12:13]
	v_div_fmas_f64 v[12:13], v[12:13], v[18:19], v[22:23]
	s_delay_alu instid0(VALU_DEP_1) | instskip(NEXT) | instid1(VALU_DEP_1)
	v_div_fixup_f64 v[12:13], v[12:13], |v[16:17]|, |v[14:15]|
	v_fma_f64 v[12:13], v[12:13], v[12:13], 1.0
	s_delay_alu instid0(VALU_DEP_1) | instskip(SKIP_3) | instid1(VALU_DEP_1)
	v_cmp_gt_f64_e32 vcc_lo, 0x10000000, v[12:13]
	v_cndmask_b32_e64 v3, 0, 1, vcc_lo
	s_and_b32 s3, vcc_lo, exec_lo
	s_cselect_b32 s3, 0xffffff80, 0
	v_lshlrev_b32_e32 v3, 8, v3
	s_delay_alu instid0(VALU_DEP_1) | instskip(NEXT) | instid1(VALU_DEP_1)
	v_ldexp_f64 v[12:13], v[12:13], v3
	v_rsq_f64_e32 v[18:19], v[12:13]
	v_cmp_class_f64_e64 vcc_lo, v[12:13], 0x260
	s_waitcnt_depctr 0xfff
	v_mul_f64 v[20:21], v[12:13], v[18:19]
	v_mul_f64 v[18:19], v[18:19], 0.5
	s_delay_alu instid0(VALU_DEP_1) | instskip(NEXT) | instid1(VALU_DEP_1)
	v_fma_f64 v[22:23], -v[18:19], v[20:21], 0.5
	v_fma_f64 v[20:21], v[20:21], v[22:23], v[20:21]
	v_fma_f64 v[18:19], v[18:19], v[22:23], v[18:19]
	s_delay_alu instid0(VALU_DEP_2) | instskip(NEXT) | instid1(VALU_DEP_1)
	v_fma_f64 v[22:23], -v[20:21], v[20:21], v[12:13]
	v_fma_f64 v[20:21], v[22:23], v[18:19], v[20:21]
	s_delay_alu instid0(VALU_DEP_1) | instskip(NEXT) | instid1(VALU_DEP_1)
	v_fma_f64 v[22:23], -v[20:21], v[20:21], v[12:13]
	v_fma_f64 v[18:19], v[22:23], v[18:19], v[20:21]
	s_delay_alu instid0(VALU_DEP_1) | instskip(NEXT) | instid1(VALU_DEP_1)
	v_ldexp_f64 v[18:19], v[18:19], s3
	v_dual_cndmask_b32 v12, v18, v12 :: v_dual_cndmask_b32 v13, v19, v13
	s_delay_alu instid0(VALU_DEP_1)
	v_mul_f64 v[12:13], |v[16:17]|, v[12:13]
.LBB81_130:                             ;   in Loop: Header=BB81_97 Depth=2
	s_cbranch_execnz .LBB81_132
.LBB81_131:                             ;   in Loop: Header=BB81_97 Depth=2
	v_dual_mov_b32 v12, v16 :: v_dual_and_b32 v13, 0x7fffffff, v17
	v_dual_mov_b32 v18, v14 :: v_dual_and_b32 v19, 0x7fffffff, v15
	s_delay_alu instid0(VALU_DEP_1) | instskip(SKIP_1) | instid1(VALU_DEP_2)
	v_div_scale_f64 v[20:21], null, v[18:19], v[18:19], v[12:13]
	v_div_scale_f64 v[12:13], vcc_lo, v[12:13], v[18:19], v[12:13]
	v_rcp_f64_e32 v[22:23], v[20:21]
	s_waitcnt_depctr 0xfff
	v_fma_f64 v[24:25], -v[20:21], v[22:23], 1.0
	s_delay_alu instid0(VALU_DEP_1) | instskip(NEXT) | instid1(VALU_DEP_1)
	v_fma_f64 v[22:23], v[22:23], v[24:25], v[22:23]
	v_fma_f64 v[24:25], -v[20:21], v[22:23], 1.0
	s_delay_alu instid0(VALU_DEP_1) | instskip(NEXT) | instid1(VALU_DEP_1)
	v_fma_f64 v[18:19], v[22:23], v[24:25], v[22:23]
	v_mul_f64 v[22:23], v[12:13], v[18:19]
	s_delay_alu instid0(VALU_DEP_1) | instskip(NEXT) | instid1(VALU_DEP_1)
	v_fma_f64 v[12:13], -v[20:21], v[22:23], v[12:13]
	v_div_fmas_f64 v[12:13], v[12:13], v[18:19], v[22:23]
	s_delay_alu instid0(VALU_DEP_1) | instskip(NEXT) | instid1(VALU_DEP_1)
	v_div_fixup_f64 v[12:13], v[12:13], |v[14:15]|, |v[16:17]|
	v_fma_f64 v[12:13], v[12:13], v[12:13], 1.0
	s_delay_alu instid0(VALU_DEP_1) | instskip(SKIP_3) | instid1(VALU_DEP_1)
	v_cmp_gt_f64_e32 vcc_lo, 0x10000000, v[12:13]
	v_cndmask_b32_e64 v3, 0, 1, vcc_lo
	s_and_b32 s3, vcc_lo, exec_lo
	s_cselect_b32 s3, 0xffffff80, 0
	v_lshlrev_b32_e32 v3, 8, v3
	s_delay_alu instid0(VALU_DEP_1) | instskip(NEXT) | instid1(VALU_DEP_1)
	v_ldexp_f64 v[12:13], v[12:13], v3
	v_rsq_f64_e32 v[16:17], v[12:13]
	v_cmp_class_f64_e64 vcc_lo, v[12:13], 0x260
	s_waitcnt_depctr 0xfff
	v_mul_f64 v[18:19], v[12:13], v[16:17]
	v_mul_f64 v[16:17], v[16:17], 0.5
	s_delay_alu instid0(VALU_DEP_1) | instskip(NEXT) | instid1(VALU_DEP_1)
	v_fma_f64 v[20:21], -v[16:17], v[18:19], 0.5
	v_fma_f64 v[18:19], v[18:19], v[20:21], v[18:19]
	v_fma_f64 v[16:17], v[16:17], v[20:21], v[16:17]
	s_delay_alu instid0(VALU_DEP_2) | instskip(NEXT) | instid1(VALU_DEP_1)
	v_fma_f64 v[20:21], -v[18:19], v[18:19], v[12:13]
	v_fma_f64 v[18:19], v[20:21], v[16:17], v[18:19]
	s_delay_alu instid0(VALU_DEP_1) | instskip(NEXT) | instid1(VALU_DEP_1)
	v_fma_f64 v[20:21], -v[18:19], v[18:19], v[12:13]
	v_fma_f64 v[16:17], v[20:21], v[16:17], v[18:19]
	s_delay_alu instid0(VALU_DEP_1) | instskip(NEXT) | instid1(VALU_DEP_1)
	v_ldexp_f64 v[16:17], v[16:17], s3
	v_dual_cndmask_b32 v12, v16, v12 :: v_dual_cndmask_b32 v13, v17, v13
	s_delay_alu instid0(VALU_DEP_1)
	v_mul_f64 v[12:13], |v[14:15]|, v[12:13]
.LBB81_132:                             ;   in Loop: Header=BB81_97 Depth=2
	v_add_f64 v[16:17], v[6:7], v[10:11]
	v_cmp_gt_f64_e64 vcc_lo, |v[6:7]|, |v[10:11]|
	s_delay_alu instid0(VALU_DEP_2) | instskip(SKIP_2) | instid1(VALU_DEP_3)
	v_cmp_ngt_f64_e64 s3, 0, v[16:17]
	v_dual_cndmask_b32 v15, v7, v11 :: v_dual_cndmask_b32 v14, v6, v10
	v_dual_cndmask_b32 v7, v11, v7 :: v_dual_cndmask_b32 v6, v10, v6
	s_and_b32 vcc_lo, exec_lo, s3
	s_cbranch_vccz .LBB81_135
; %bb.133:                              ;   in Loop: Header=BB81_97 Depth=2
	v_cmp_nlt_f64_e32 vcc_lo, 0, v[16:17]
	s_cbranch_vccz .LBB81_136
; %bb.134:                              ;   in Loop: Header=BB81_97 Depth=2
	v_mul_f64 v[10:11], v[12:13], 0.5
	v_mul_f64 v[18:19], v[12:13], -0.5
	s_cbranch_execz .LBB81_137
	s_branch .LBB81_138
.LBB81_135:                             ;   in Loop: Header=BB81_97 Depth=2
                                        ; implicit-def: $vgpr18_vgpr19
                                        ; implicit-def: $vgpr10_vgpr11
	s_branch .LBB81_139
.LBB81_136:                             ;   in Loop: Header=BB81_97 Depth=2
                                        ; implicit-def: $vgpr18_vgpr19
                                        ; implicit-def: $vgpr10_vgpr11
.LBB81_137:                             ;   in Loop: Header=BB81_97 Depth=2
	v_add_f64 v[10:11], v[16:17], v[12:13]
	s_delay_alu instid0(VALU_DEP_1) | instskip(NEXT) | instid1(VALU_DEP_1)
	v_mul_f64 v[10:11], v[10:11], 0.5
	v_div_scale_f64 v[18:19], null, v[10:11], v[10:11], v[6:7]
	v_div_scale_f64 v[20:21], null, v[10:11], v[10:11], v[8:9]
	v_div_scale_f64 v[30:31], vcc_lo, v[6:7], v[10:11], v[6:7]
	s_delay_alu instid0(VALU_DEP_3) | instskip(NEXT) | instid1(VALU_DEP_2)
	v_rcp_f64_e32 v[22:23], v[18:19]
	v_rcp_f64_e32 v[24:25], v[20:21]
	s_waitcnt_depctr 0xfff
	v_fma_f64 v[26:27], -v[18:19], v[22:23], 1.0
	v_fma_f64 v[28:29], -v[20:21], v[24:25], 1.0
	s_delay_alu instid0(VALU_DEP_2) | instskip(NEXT) | instid1(VALU_DEP_2)
	v_fma_f64 v[22:23], v[22:23], v[26:27], v[22:23]
	v_fma_f64 v[24:25], v[24:25], v[28:29], v[24:25]
	s_delay_alu instid0(VALU_DEP_2) | instskip(NEXT) | instid1(VALU_DEP_2)
	v_fma_f64 v[26:27], -v[18:19], v[22:23], 1.0
	v_fma_f64 v[28:29], -v[20:21], v[24:25], 1.0
	s_delay_alu instid0(VALU_DEP_2) | instskip(SKIP_1) | instid1(VALU_DEP_3)
	v_fma_f64 v[22:23], v[22:23], v[26:27], v[22:23]
	v_div_scale_f64 v[26:27], s3, v[8:9], v[10:11], v[8:9]
	v_fma_f64 v[24:25], v[24:25], v[28:29], v[24:25]
	s_delay_alu instid0(VALU_DEP_3) | instskip(NEXT) | instid1(VALU_DEP_2)
	v_mul_f64 v[28:29], v[30:31], v[22:23]
	v_mul_f64 v[32:33], v[26:27], v[24:25]
	s_delay_alu instid0(VALU_DEP_2) | instskip(NEXT) | instid1(VALU_DEP_2)
	v_fma_f64 v[18:19], -v[18:19], v[28:29], v[30:31]
	v_fma_f64 v[20:21], -v[20:21], v[32:33], v[26:27]
	s_delay_alu instid0(VALU_DEP_2) | instskip(SKIP_1) | instid1(VALU_DEP_2)
	v_div_fmas_f64 v[18:19], v[18:19], v[22:23], v[28:29]
	s_mov_b32 vcc_lo, s3
	v_div_fmas_f64 v[20:21], v[20:21], v[24:25], v[32:33]
	s_delay_alu instid0(VALU_DEP_2) | instskip(NEXT) | instid1(VALU_DEP_2)
	v_div_fixup_f64 v[18:19], v[18:19], v[10:11], v[6:7]
	v_div_fixup_f64 v[20:21], v[20:21], v[10:11], v[8:9]
	s_delay_alu instid0(VALU_DEP_1) | instskip(NEXT) | instid1(VALU_DEP_1)
	v_mul_f64 v[20:21], v[8:9], v[20:21]
	v_fma_f64 v[18:19], v[14:15], v[18:19], -v[20:21]
.LBB81_138:                             ;   in Loop: Header=BB81_97 Depth=2
	s_cbranch_execnz .LBB81_140
.LBB81_139:                             ;   in Loop: Header=BB81_97 Depth=2
	v_add_f64 v[10:11], v[16:17], -v[12:13]
	s_delay_alu instid0(VALU_DEP_1) | instskip(NEXT) | instid1(VALU_DEP_1)
	v_mul_f64 v[10:11], v[10:11], 0.5
	v_div_scale_f64 v[12:13], null, v[10:11], v[10:11], v[6:7]
	v_div_scale_f64 v[16:17], null, v[10:11], v[10:11], v[8:9]
	v_div_scale_f64 v[26:27], vcc_lo, v[6:7], v[10:11], v[6:7]
	s_delay_alu instid0(VALU_DEP_3) | instskip(NEXT) | instid1(VALU_DEP_2)
	v_rcp_f64_e32 v[18:19], v[12:13]
	v_rcp_f64_e32 v[20:21], v[16:17]
	s_waitcnt_depctr 0xfff
	v_fma_f64 v[22:23], -v[12:13], v[18:19], 1.0
	v_fma_f64 v[24:25], -v[16:17], v[20:21], 1.0
	s_delay_alu instid0(VALU_DEP_2) | instskip(NEXT) | instid1(VALU_DEP_2)
	v_fma_f64 v[18:19], v[18:19], v[22:23], v[18:19]
	v_fma_f64 v[20:21], v[20:21], v[24:25], v[20:21]
	s_delay_alu instid0(VALU_DEP_2) | instskip(NEXT) | instid1(VALU_DEP_2)
	v_fma_f64 v[22:23], -v[12:13], v[18:19], 1.0
	v_fma_f64 v[24:25], -v[16:17], v[20:21], 1.0
	s_delay_alu instid0(VALU_DEP_2) | instskip(SKIP_1) | instid1(VALU_DEP_3)
	v_fma_f64 v[18:19], v[18:19], v[22:23], v[18:19]
	v_div_scale_f64 v[22:23], s3, v[8:9], v[10:11], v[8:9]
	v_fma_f64 v[20:21], v[20:21], v[24:25], v[20:21]
	s_delay_alu instid0(VALU_DEP_3) | instskip(NEXT) | instid1(VALU_DEP_2)
	v_mul_f64 v[24:25], v[26:27], v[18:19]
	v_mul_f64 v[28:29], v[22:23], v[20:21]
	s_delay_alu instid0(VALU_DEP_2) | instskip(NEXT) | instid1(VALU_DEP_2)
	v_fma_f64 v[12:13], -v[12:13], v[24:25], v[26:27]
	v_fma_f64 v[16:17], -v[16:17], v[28:29], v[22:23]
	s_delay_alu instid0(VALU_DEP_2) | instskip(SKIP_1) | instid1(VALU_DEP_2)
	v_div_fmas_f64 v[12:13], v[12:13], v[18:19], v[24:25]
	s_mov_b32 vcc_lo, s3
	v_div_fmas_f64 v[16:17], v[16:17], v[20:21], v[28:29]
	s_delay_alu instid0(VALU_DEP_2) | instskip(NEXT) | instid1(VALU_DEP_2)
	v_div_fixup_f64 v[6:7], v[12:13], v[10:11], v[6:7]
	v_div_fixup_f64 v[16:17], v[16:17], v[10:11], v[8:9]
	s_delay_alu instid0(VALU_DEP_1) | instskip(NEXT) | instid1(VALU_DEP_1)
	v_mul_f64 v[8:9], v[8:9], v[16:17]
	v_fma_f64 v[18:19], v[14:15], v[6:7], -v[8:9]
.LBB81_140:                             ;   in Loop: Header=BB81_97 Depth=2
	v_mov_b32_e32 v3, v2
	s_add_i32 s3, s28, -2
	s_mov_b32 s36, -1
	s_mov_b32 s37, s67
	s_clause 0x2
	global_store_b64 v2, v[10:11], s[4:5]
	global_store_b64 v2, v[18:19], s[34:35]
	;; [unrolled: 1-line block ×3, first 2 shown]
                                        ; implicit-def: $sgpr31
.LBB81_141:                             ;   in Loop: Header=BB81_97 Depth=2
	s_mov_b32 s67, s37
	s_and_b32 vcc_lo, exec_lo, s36
	s_cbranch_vccz .LBB81_96
.LBB81_142:                             ;   in Loop: Header=BB81_97 Depth=2
	s_cmp_lt_i32 s3, s69
	s_mov_b32 s31, s67
	s_cselect_b32 s4, -1, 0
	s_cmp_ge_i32 s67, s50
	s_cselect_b32 s5, -1, 0
	s_delay_alu instid0(SALU_CYCLE_1)
	s_or_b32 s29, s4, s5
	s_branch .LBB81_96
.LBB81_143:                             ;   in Loop: Header=BB81_4 Depth=1
	s_mov_b32 s67, s31
.LBB81_144:                             ;   in Loop: Header=BB81_4 Depth=1
	s_delay_alu instid0(SALU_CYCLE_1)
	s_mov_b32 s37, s67
	v_cmp_lt_f64_e32 vcc_lo, s[14:15], v[4:5]
	s_and_not1_b32 vcc_lo, exec_lo, vcc_lo
	s_cbranch_vccnz .LBB81_148
.LBB81_145:                             ;   in Loop: Header=BB81_4 Depth=1
	s_waitcnt vmcnt(0)
	v_div_scale_f64 v[6:7], null, v[4:5], v[4:5], s[14:15]
	global_load_b64 v[10:11], v2, s[26:27]
	v_rcp_f64_e32 v[8:9], v[6:7]
	s_waitcnt_depctr 0xfff
	v_fma_f64 v[12:13], -v[6:7], v[8:9], 1.0
	s_delay_alu instid0(VALU_DEP_1) | instskip(NEXT) | instid1(VALU_DEP_1)
	v_fma_f64 v[8:9], v[8:9], v[12:13], v[8:9]
	v_fma_f64 v[12:13], -v[6:7], v[8:9], 1.0
	s_delay_alu instid0(VALU_DEP_1) | instskip(SKIP_1) | instid1(VALU_DEP_1)
	v_fma_f64 v[8:9], v[8:9], v[12:13], v[8:9]
	v_div_scale_f64 v[12:13], vcc_lo, s[14:15], v[4:5], s[14:15]
	v_mul_f64 v[14:15], v[12:13], v[8:9]
	s_delay_alu instid0(VALU_DEP_1) | instskip(NEXT) | instid1(VALU_DEP_1)
	v_fma_f64 v[6:7], -v[6:7], v[14:15], v[12:13]
	v_div_fmas_f64 v[6:7], v[6:7], v[8:9], v[14:15]
	s_and_b32 vcc_lo, exec_lo, s2
	s_delay_alu instid0(VALU_DEP_1) | instskip(SKIP_1) | instid1(VALU_DEP_1)
	v_div_fixup_f64 v[6:7], v[6:7], v[4:5], s[14:15]
	s_waitcnt vmcnt(0)
	v_mul_f64 v[8:9], v[6:7], v[10:11]
	global_store_b64 v2, v[8:9], s[26:27]
	s_cbranch_vccnz .LBB81_148
; %bb.146:                              ;   in Loop: Header=BB81_4 Depth=1
	s_add_u32 s4, s60, s24
	s_addc_u32 s5, s61, s25
	s_add_u32 s28, s56, s24
	s_addc_u32 s29, s57, s25
	s_mov_b32 s3, s68
	.p2align	6
.LBB81_147:                             ;   Parent Loop BB81_4 Depth=1
                                        ; =>  This Inner Loop Header: Depth=2
	global_load_b64 v[8:9], v2, s[4:5]
	s_add_i32 s3, s3, 1
	s_waitcnt vmcnt(0)
	v_mul_f64 v[8:9], v[6:7], v[8:9]
	global_store_b64 v2, v[8:9], s[4:5]
	global_load_b64 v[8:9], v2, s[28:29]
	s_add_u32 s4, s4, 8
	s_addc_u32 s5, s5, 0
	s_waitcnt vmcnt(0)
	v_mul_f64 v[8:9], v[6:7], v[8:9]
	global_store_b64 v2, v[8:9], s[28:29]
	s_add_u32 s28, s28, 8
	s_addc_u32 s29, s29, 0
	s_cmp_lt_i32 s3, s22
	s_cbranch_scc1 .LBB81_147
.LBB81_148:                             ;   in Loop: Header=BB81_4 Depth=1
	v_cmp_ngt_f64_e32 vcc_lo, s[18:19], v[4:5]
	s_cbranch_vccnz .LBB81_2
; %bb.149:                              ;   in Loop: Header=BB81_4 Depth=1
	s_waitcnt vmcnt(0)
	v_div_scale_f64 v[6:7], null, v[4:5], v[4:5], s[18:19]
	global_load_b64 v[10:11], v2, s[26:27]
	v_rcp_f64_e32 v[8:9], v[6:7]
	s_waitcnt_depctr 0xfff
	v_fma_f64 v[12:13], -v[6:7], v[8:9], 1.0
	s_delay_alu instid0(VALU_DEP_1) | instskip(NEXT) | instid1(VALU_DEP_1)
	v_fma_f64 v[8:9], v[8:9], v[12:13], v[8:9]
	v_fma_f64 v[12:13], -v[6:7], v[8:9], 1.0
	s_delay_alu instid0(VALU_DEP_1) | instskip(SKIP_1) | instid1(VALU_DEP_1)
	v_fma_f64 v[8:9], v[8:9], v[12:13], v[8:9]
	v_div_scale_f64 v[12:13], vcc_lo, s[18:19], v[4:5], s[18:19]
	v_mul_f64 v[14:15], v[12:13], v[8:9]
	s_delay_alu instid0(VALU_DEP_1) | instskip(NEXT) | instid1(VALU_DEP_1)
	v_fma_f64 v[6:7], -v[6:7], v[14:15], v[12:13]
	v_div_fmas_f64 v[6:7], v[6:7], v[8:9], v[14:15]
	s_and_b32 vcc_lo, exec_lo, s2
	s_delay_alu instid0(VALU_DEP_1) | instskip(SKIP_1) | instid1(VALU_DEP_1)
	v_div_fixup_f64 v[3:4], v[6:7], v[4:5], s[18:19]
	s_waitcnt vmcnt(0)
	v_mul_f64 v[5:6], v[3:4], v[10:11]
	global_store_b64 v2, v[5:6], s[26:27]
	s_cbranch_vccnz .LBB81_2
; %bb.150:                              ;   in Loop: Header=BB81_4 Depth=1
	s_add_u32 s2, s60, s24
	s_addc_u32 s3, s61, s25
	s_add_u32 s4, s56, s24
	s_addc_u32 s5, s57, s25
	.p2align	6
.LBB81_151:                             ;   Parent Loop BB81_4 Depth=1
                                        ; =>  This Inner Loop Header: Depth=2
	global_load_b64 v[5:6], v2, s[2:3]
	s_add_i32 s68, s68, 1
	s_waitcnt vmcnt(0)
	v_mul_f64 v[5:6], v[3:4], v[5:6]
	global_store_b64 v2, v[5:6], s[2:3]
	global_load_b64 v[5:6], v2, s[4:5]
	s_add_u32 s2, s2, 8
	s_addc_u32 s3, s3, 0
	s_waitcnt vmcnt(0)
	v_mul_f64 v[5:6], v[3:4], v[5:6]
	global_store_b64 v2, v[5:6], s[4:5]
	s_add_u32 s4, s4, 8
	s_addc_u32 s5, s5, 0
	s_cmp_lt_i32 s68, s22
	s_cbranch_scc1 .LBB81_151
	s_branch .LBB81_2
.LBB81_152:
	s_cmp_lt_i32 s33, 2
	s_cbranch_scc1 .LBB81_163
; %bb.153:
	s_load_b64 s[0:1], s[0:1], 0x28
	s_lshl_b64 s[2:3], s[20:21], 2
	v_mov_b32_e32 v0, 0
	s_waitcnt lgkmcnt(0)
	s_add_u32 s0, s0, s2
	s_addc_u32 s1, s1, s3
	s_mov_b32 s2, 1
	s_branch .LBB81_155
.LBB81_154:                             ;   in Loop: Header=BB81_155 Depth=1
	s_add_i32 s2, s2, 1
	s_add_u32 s10, s10, 8
	s_addc_u32 s11, s11, 0
	s_cmp_lg_u32 s33, s2
	s_cbranch_scc0 .LBB81_157
.LBB81_155:                             ; =>This Inner Loop Header: Depth=1
	global_load_b64 v[1:2], v0, s[10:11]
	s_waitcnt vmcnt(0)
	v_cmp_eq_f64_e32 vcc_lo, 0, v[1:2]
	s_cbranch_vccnz .LBB81_154
; %bb.156:                              ;   in Loop: Header=BB81_155 Depth=1
	global_load_b32 v1, v0, s[0:1]
	s_waitcnt vmcnt(0)
	v_add_nc_u32_e32 v1, 1, v1
	global_store_b32 v0, v1, s[0:1]
	s_branch .LBB81_154
.LBB81_157:
	s_add_u32 s10, s48, -8
	s_addc_u32 s11, s49, -1
	s_add_u32 s0, s6, s8
	v_mov_b32_e32 v4, 0
	s_addc_u32 s1, s7, s9
	s_add_u32 s0, s0, 8
	s_addc_u32 s1, s1, 0
	s_mov_b32 s2, 1
	s_set_inst_prefetch_distance 0x1
	s_branch .LBB81_159
	.p2align	6
.LBB81_158:                             ;   in Loop: Header=BB81_159 Depth=1
	s_add_i32 s2, s2, 1
	s_add_u32 s0, s0, 8
	s_addc_u32 s1, s1, 0
	s_cmp_lg_u32 s2, s33
	s_cbranch_scc0 .LBB81_163
.LBB81_159:                             ; =>This Loop Header: Depth=1
                                        ;     Child Loop BB81_160 Depth 2
	s_ashr_i32 s3, s2, 31
	s_mov_b64 s[8:9], s[0:1]
	s_lshl_b64 s[4:5], s[2:3], 3
	s_add_i32 s3, s2, -1
	s_add_u32 s4, s10, s4
	s_addc_u32 s5, s11, s5
	s_mov_b32 s7, s2
	global_load_b64 v[0:1], v4, s[4:5]
	s_mov_b32 s6, s3
	s_waitcnt vmcnt(0)
	v_dual_mov_b32 v3, v1 :: v_dual_mov_b32 v2, v0
.LBB81_160:                             ;   Parent Loop BB81_159 Depth=1
                                        ; =>  This Inner Loop Header: Depth=2
	global_load_b64 v[5:6], v4, s[8:9]
	s_waitcnt vmcnt(0)
	v_cmp_lt_f64_e32 vcc_lo, v[5:6], v[2:3]
	s_and_b32 s12, vcc_lo, exec_lo
	v_dual_cndmask_b32 v3, v3, v6 :: v_dual_cndmask_b32 v2, v2, v5
	s_cselect_b32 s6, s7, s6
	s_add_i32 s7, s7, 1
	s_add_u32 s8, s8, 8
	s_addc_u32 s9, s9, 0
	s_cmp_ge_i32 s7, s33
	s_cbranch_scc0 .LBB81_160
; %bb.161:                              ;   in Loop: Header=BB81_159 Depth=1
	s_cmp_lg_u32 s6, s3
	s_cbranch_scc0 .LBB81_158
; %bb.162:                              ;   in Loop: Header=BB81_159 Depth=1
	s_ashr_i32 s7, s6, 31
	s_delay_alu instid0(SALU_CYCLE_1) | instskip(NEXT) | instid1(SALU_CYCLE_1)
	s_lshl_b64 s[6:7], s[6:7], 3
	s_add_u32 s6, s48, s6
	s_addc_u32 s7, s49, s7
	s_clause 0x1
	global_store_b64 v4, v[0:1], s[6:7]
	global_store_b64 v4, v[2:3], s[4:5]
	s_branch .LBB81_158
.LBB81_163:
	s_set_inst_prefetch_distance 0x2
	s_nop 0
	s_sendmsg sendmsg(MSG_DEALLOC_VGPRS)
	s_endpgm
	.section	.rodata,"a",@progbits
	.p2align	6, 0x0
	.amdhsa_kernel _ZN9rocsolver6v33100L12sterf_kernelIdEEviPT_lS3_lPiS4_iS2_S2_S2_
		.amdhsa_group_segment_fixed_size 0
		.amdhsa_private_segment_fixed_size 0
		.amdhsa_kernarg_size 88
		.amdhsa_user_sgpr_count 15
		.amdhsa_user_sgpr_dispatch_ptr 0
		.amdhsa_user_sgpr_queue_ptr 0
		.amdhsa_user_sgpr_kernarg_segment_ptr 1
		.amdhsa_user_sgpr_dispatch_id 0
		.amdhsa_user_sgpr_private_segment_size 0
		.amdhsa_wavefront_size32 1
		.amdhsa_uses_dynamic_stack 0
		.amdhsa_enable_private_segment 0
		.amdhsa_system_sgpr_workgroup_id_x 1
		.amdhsa_system_sgpr_workgroup_id_y 0
		.amdhsa_system_sgpr_workgroup_id_z 0
		.amdhsa_system_sgpr_workgroup_info 0
		.amdhsa_system_vgpr_workitem_id 0
		.amdhsa_next_free_vgpr 38
		.amdhsa_next_free_sgpr 71
		.amdhsa_reserve_vcc 1
		.amdhsa_float_round_mode_32 0
		.amdhsa_float_round_mode_16_64 0
		.amdhsa_float_denorm_mode_32 3
		.amdhsa_float_denorm_mode_16_64 3
		.amdhsa_dx10_clamp 1
		.amdhsa_ieee_mode 1
		.amdhsa_fp16_overflow 0
		.amdhsa_workgroup_processor_mode 1
		.amdhsa_memory_ordered 1
		.amdhsa_forward_progress 0
		.amdhsa_shared_vgpr_count 0
		.amdhsa_exception_fp_ieee_invalid_op 0
		.amdhsa_exception_fp_denorm_src 0
		.amdhsa_exception_fp_ieee_div_zero 0
		.amdhsa_exception_fp_ieee_overflow 0
		.amdhsa_exception_fp_ieee_underflow 0
		.amdhsa_exception_fp_ieee_inexact 0
		.amdhsa_exception_int_div_zero 0
	.end_amdhsa_kernel
	.section	.text._ZN9rocsolver6v33100L12sterf_kernelIdEEviPT_lS3_lPiS4_iS2_S2_S2_,"axG",@progbits,_ZN9rocsolver6v33100L12sterf_kernelIdEEviPT_lS3_lPiS4_iS2_S2_S2_,comdat
.Lfunc_end81:
	.size	_ZN9rocsolver6v33100L12sterf_kernelIdEEviPT_lS3_lPiS4_iS2_S2_S2_, .Lfunc_end81-_ZN9rocsolver6v33100L12sterf_kernelIdEEviPT_lS3_lPiS4_iS2_S2_S2_
                                        ; -- End function
	.section	.AMDGPU.csdata,"",@progbits
; Kernel info:
; codeLenInByte = 10396
; NumSgprs: 73
; NumVgprs: 38
; ScratchSize: 0
; MemoryBound: 0
; FloatMode: 240
; IeeeMode: 1
; LDSByteSize: 0 bytes/workgroup (compile time only)
; SGPRBlocks: 9
; VGPRBlocks: 4
; NumSGPRsForWavesPerEU: 73
; NumVGPRsForWavesPerEU: 38
; Occupancy: 16
; WaveLimiterHint : 0
; COMPUTE_PGM_RSRC2:SCRATCH_EN: 0
; COMPUTE_PGM_RSRC2:USER_SGPR: 15
; COMPUTE_PGM_RSRC2:TRAP_HANDLER: 0
; COMPUTE_PGM_RSRC2:TGID_X_EN: 1
; COMPUTE_PGM_RSRC2:TGID_Y_EN: 0
; COMPUTE_PGM_RSRC2:TGID_Z_EN: 0
; COMPUTE_PGM_RSRC2:TIDIG_COMP_CNT: 0
	.section	.text._ZN9rocsolver6v33100L11lasr_kernelIddPdiEEv13rocblas_side_14rocblas_pivot_15rocblas_direct_T2_S6_PT0_lS8_lT1_lS6_lS6_,"axG",@progbits,_ZN9rocsolver6v33100L11lasr_kernelIddPdiEEv13rocblas_side_14rocblas_pivot_15rocblas_direct_T2_S6_PT0_lS8_lT1_lS6_lS6_,comdat
	.globl	_ZN9rocsolver6v33100L11lasr_kernelIddPdiEEv13rocblas_side_14rocblas_pivot_15rocblas_direct_T2_S6_PT0_lS8_lT1_lS6_lS6_ ; -- Begin function _ZN9rocsolver6v33100L11lasr_kernelIddPdiEEv13rocblas_side_14rocblas_pivot_15rocblas_direct_T2_S6_PT0_lS8_lT1_lS6_lS6_
	.p2align	8
	.type	_ZN9rocsolver6v33100L11lasr_kernelIddPdiEEv13rocblas_side_14rocblas_pivot_15rocblas_direct_T2_S6_PT0_lS8_lT1_lS6_lS6_,@function
_ZN9rocsolver6v33100L11lasr_kernelIddPdiEEv13rocblas_side_14rocblas_pivot_15rocblas_direct_T2_S6_PT0_lS8_lT1_lS6_lS6_: ; @_ZN9rocsolver6v33100L11lasr_kernelIddPdiEEv13rocblas_side_14rocblas_pivot_15rocblas_direct_T2_S6_PT0_lS8_lT1_lS6_lS6_
; %bb.0:
	s_load_b32 s33, s[0:1], 0x58
	s_waitcnt lgkmcnt(0)
	s_cmp_ge_u32 s15, s33
	s_cbranch_scc1 .LBB82_98
; %bb.1:
	s_clause 0x5
	s_load_b32 s12, s[0:1], 0x48
	s_load_b128 s[20:23], s[0:1], 0x38
	s_load_b64 s[24:25], s[0:1], 0x68
	s_load_b128 s[16:19], s[0:1], 0x0
	s_load_b32 s52, s[0:1], 0x10
	s_load_b32 s28, s[0:1], 0x60
	s_mov_b32 s43, 0
	v_mov_b32_e32 v34, 0
	s_mov_b32 s45, s43
	s_waitcnt lgkmcnt(0)
	s_ashr_i32 s13, s12, 31
	s_lshl_b64 s[2:3], s[22:23], 3
	s_and_b32 s26, s25, 0xffff
	s_add_u32 s25, s20, s2
	s_addc_u32 s53, s21, s3
	s_cmpk_lg_i32 s16, 0x8d
	v_mad_u64_u32 v[1:2], null, s14, s26, v[0:1]
	s_cselect_b32 s27, -1, 0
	s_cmpk_lg_i32 s16, 0x8e
	s_mov_b32 s22, s19
	s_cselect_b32 s30, -1, 0
	s_cmpk_lg_i32 s17, 0x119
	s_cselect_b32 s29, -1, 0
	s_cmpk_lg_i32 s17, 0x11b
	v_mad_i64_i32 v[2:3], null, s12, v1, 0
	s_cselect_b32 s31, -1, 0
	s_cmpk_lg_i32 s17, 0x11a
	s_load_b64 s[16:17], s[0:1], 0x50
	s_cselect_b32 s34, -1, 0
	s_cmpk_lg_i32 s18, 0xab
	s_mul_i32 s26, s28, s26
	s_cselect_b32 s35, -1, 0
	s_or_b32 s36, s27, s29
	s_ashr_i32 s23, s19, 31
	s_or_b32 s4, s36, s35
	s_add_i32 s42, s19, -2
	s_xor_b32 s14, s4, -1
	s_cmpk_lg_i32 s18, 0xac
	s_load_b256 s[4:11], s[0:1], 0x18
	s_cselect_b32 s37, -1, 0
	v_lshlrev_b64 v[2:3], 3, v[2:3]
	s_or_b32 s0, s36, s37
	v_cmp_le_i32_e32 vcc_lo, s19, v1
	s_xor_b32 s18, s0, -1
	s_cmp_gt_i32 s19, 1
	v_cmp_gt_i32_e64 s0, s52, v1
	s_cselect_b32 s54, -1, 0
	s_or_b32 s1, s27, s34
	s_or_b32 s27, s27, s31
	;; [unrolled: 1-line block ×9, first 2 shown]
	s_xor_b32 s55, s29, -1
	s_xor_b32 s56, s1, -1
	;; [unrolled: 1-line block ×5, first 2 shown]
	s_add_i32 s60, s52, -1
	s_xor_b32 s61, s28, -1
	s_add_i32 s44, s52, -2
	s_cmp_gt_i32 s52, 1
	s_mul_i32 s36, s12, s26
	s_cselect_b32 s62, -1, 0
	s_or_b32 s27, s30, s34
	s_lshl_b64 s[38:39], s[42:43], 3
	s_or_b32 s34, s27, s35
	s_or_b32 s27, s27, s37
	s_xor_b32 s63, s34, -1
	s_xor_b32 s64, s27, -1
	s_or_b32 s27, s30, s31
	s_or_b32 s30, s37, vcc_lo
	v_add_co_u32 v4, vcc_lo, v2, s2
	v_add_co_ci_u32_e32 v3, vcc_lo, s3, v3, vcc_lo
	s_or_b32 s31, s27, s35
	s_or_b32 s27, s27, s30
	s_mul_hi_i32 s37, s12, s26
	v_add_co_u32 v0, vcc_lo, s20, v4
	s_xor_b32 s65, s31, -1
	s_xor_b32 s66, s27, -1
	s_add_i32 s30, s19, -1
	s_waitcnt lgkmcnt(0)
	s_lshl_b64 s[34:35], s[16:17], 3
	s_ashr_i32 s27, s26, 31
	s_lshl_b64 s[36:37], s[36:37], 3
	s_lshl_b64 s[6:7], s[6:7], 3
	;; [unrolled: 1-line block ×3, first 2 shown]
	v_add_co_ci_u32_e32 v17, vcc_lo, s21, v3, vcc_lo
	s_add_u32 s67, s4, s38
	s_addc_u32 s68, s5, s39
	s_add_u32 s69, s8, s38
	v_add_co_u32 v18, vcc_lo, v0, 8
	s_addc_u32 s70, s9, s39
	s_add_u32 s31, s20, s38
	v_add_co_ci_u32_e32 v19, vcc_lo, 0, v17, vcc_lo
	s_addc_u32 s38, s21, s39
	v_add_co_u32 v20, vcc_lo, s31, v4
	v_add_co_ci_u32_e32 v21, vcc_lo, s38, v3, vcc_lo
	s_mov_b32 s31, s43
	s_mul_i32 s28, s12, s60
	s_lshl_b64 s[38:39], s[30:31], 3
	v_add_co_u32 v22, vcc_lo, v20, 8
	s_add_i32 s31, s19, 1
	s_mul_i32 s40, s13, s60
	s_mul_hi_u32 s41, s12, s60
	s_add_u32 s38, s20, s38
	v_add_co_ci_u32_e32 v23, vcc_lo, 0, v21, vcc_lo
	s_addc_u32 s39, s21, s39
	s_add_i32 s41, s41, s40
	s_mov_b32 s40, s28
	v_add_co_u32 v24, vcc_lo, s38, v4
	s_lshl_b64 s[46:47], s[40:41], 3
	v_add_co_ci_u32_e32 v25, vcc_lo, s39, v3, vcc_lo
	s_lshl_b64 s[38:39], s[12:13], 3
	s_lshl_b64 s[40:41], s[26:27], 3
	s_add_u32 s27, s46, s2
	v_ashrrev_i32_e32 v2, 31, v1
	s_addc_u32 s42, s47, s3
	s_add_u32 s46, s20, s27
	s_addc_u32 s47, s21, s42
	s_lshl_b64 s[42:43], s[44:45], 3
	v_lshlrev_b64 v[2:3], 3, v[1:2]
	s_add_u32 s27, s4, s42
	s_addc_u32 s71, s5, s43
	s_add_u32 s72, s8, s42
	s_mul_i32 s42, s13, s44
	s_mul_hi_u32 s45, s12, s44
	s_addc_u32 s13, s9, s43
	s_add_i32 s43, s45, s42
	s_mul_i32 s42, s12, s44
	v_add_co_u32 v26, vcc_lo, s25, v2
	s_lshl_b64 s[42:43], s[42:43], 3
	v_add_co_ci_u32_e32 v27, vcc_lo, s53, v3, vcc_lo
	s_add_u32 s42, s42, s2
	s_addc_u32 s43, s43, s3
	v_add_co_u32 v28, vcc_lo, s46, v2
	s_add_u32 s42, s20, s42
	s_addc_u32 s43, s21, s43
	v_add_co_ci_u32_e32 v29, vcc_lo, s47, v3, vcc_lo
	s_add_u32 s2, s2, s38
	v_add_co_u32 v30, vcc_lo, s42, v2
	s_addc_u32 s3, s3, s39
	s_add_u32 s2, s20, s2
	v_add_co_ci_u32_e32 v31, vcc_lo, s43, v3, vcc_lo
	s_addc_u32 s3, s21, s3
	v_add_co_u32 v32, vcc_lo, s2, v2
	v_cmp_gt_i32_e64 s1, s19, v1
	v_add_co_ci_u32_e32 v33, vcc_lo, s3, v3, vcc_lo
	s_add_i32 s73, s52, 1
	s_sub_u32 s74, 0, s38
	s_mul_hi_i32 s29, s12, s60
	s_subb_u32 s75, 0, s39
	s_branch .LBB82_4
.LBB82_2:                               ;   in Loop: Header=BB82_4 Depth=1
	s_or_b32 exec_lo, exec_lo, s42
.LBB82_3:                               ;   in Loop: Header=BB82_4 Depth=1
	s_add_i32 s15, s15, s24
	s_delay_alu instid0(SALU_CYCLE_1)
	s_cmp_ge_u32 s15, s33
	s_cbranch_scc1 .LBB82_98
.LBB82_4:                               ; =>This Loop Header: Depth=1
                                        ;     Child Loop BB82_8 Depth 2
                                        ;       Child Loop BB82_9 Depth 3
                                        ;     Child Loop BB82_16 Depth 2
                                        ;       Child Loop BB82_17 Depth 3
	;; [unrolled: 2-line block ×12, first 2 shown]
	s_mul_i32 s2, s7, s15
	s_mul_hi_u32 s3, s6, s15
	s_mul_i32 s80, s6, s15
	s_add_i32 s51, s3, s2
	s_mul_i32 s2, s11, s15
	s_mul_hi_u32 s3, s10, s15
	s_mul_i32 s81, s10, s15
	s_add_i32 s50, s3, s2
	s_mul_i32 s2, s35, s15
	s_mul_hi_u32 s3, s34, s15
	s_mul_i32 s79, s34, s15
	s_add_i32 s78, s3, s2
	s_add_u32 s20, s4, s80
	s_addc_u32 s21, s5, s51
	s_mul_i32 s2, s15, s17
	s_mul_hi_u32 s3, s15, s16
	s_add_u32 s42, s8, s81
	s_addc_u32 s43, s9, s50
	s_add_i32 s3, s3, s2
	s_mul_i32 s2, s15, s16
	v_add_co_u32 v2, vcc_lo, v18, s79
	s_lshl_b64 s[2:3], s[2:3], 3
	v_add_co_ci_u32_e32 v3, vcc_lo, s78, v19, vcc_lo
	s_add_u32 s76, s25, s2
	s_addc_u32 s77, s53, s3
	s_and_not1_b32 vcc_lo, exec_lo, s14
	s_mov_b32 s2, -1
	s_cbranch_vccnz .LBB82_11
; %bb.5:                                ;   in Loop: Header=BB82_4 Depth=1
	s_and_saveexec_b32 s46, s0
	s_cbranch_execz .LBB82_10
; %bb.6:                                ;   in Loop: Header=BB82_4 Depth=1
	s_lshl_b64 s[2:3], s[22:23], 3
	v_dual_mov_b32 v5, v3 :: v_dual_mov_b32 v4, v2
	s_add_u32 s2, s76, s2
	v_mov_b32_e32 v12, v1
	s_addc_u32 s3, s77, s3
	s_add_u32 s47, s2, -8
	s_addc_u32 s48, s3, -1
	s_mov_b32 s49, 0
	s_branch .LBB82_8
.LBB82_7:                               ;   in Loop: Header=BB82_8 Depth=2
	v_add_nc_u32_e32 v12, s26, v12
	v_add_co_u32 v8, vcc_lo, s47, v8
	v_add_co_ci_u32_e32 v9, vcc_lo, s48, v9, vcc_lo
	s_delay_alu instid0(VALU_DEP_3) | instskip(SKIP_1) | instid1(VALU_DEP_1)
	v_cmp_le_i32_e32 vcc_lo, s52, v12
	v_add_co_u32 v4, s2, v4, s36
	v_add_co_ci_u32_e64 v5, s2, s37, v5, s2
	s_or_b32 s49, vcc_lo, s49
	s_waitcnt vmcnt(0)
	global_store_b64 v[8:9], v[6:7], off
	s_and_not1_b32 exec_lo, exec_lo, s49
	s_cbranch_execz .LBB82_10
.LBB82_8:                               ;   Parent Loop BB82_4 Depth=1
                                        ; =>  This Loop Header: Depth=2
                                        ;       Child Loop BB82_9 Depth 3
	v_mad_i64_i32 v[6:7], null, v12, s12, 0
	v_dual_mov_b32 v11, v5 :: v_dual_mov_b32 v10, v4
	s_mov_b64 s[2:3], s[42:43]
	s_mov_b64 s[44:45], s[20:21]
	s_mov_b32 s82, s30
	s_delay_alu instid0(VALU_DEP_2) | instskip(NEXT) | instid1(VALU_DEP_1)
	v_lshlrev_b64 v[8:9], 3, v[6:7]
	v_add_co_u32 v6, vcc_lo, s76, v8
	s_delay_alu instid0(VALU_DEP_2)
	v_add_co_ci_u32_e32 v7, vcc_lo, s77, v9, vcc_lo
	s_and_not1_b32 vcc_lo, exec_lo, s54
	global_load_b64 v[6:7], v[6:7], off
	s_cbranch_vccnz .LBB82_7
	.p2align	6
.LBB82_9:                               ;   Parent Loop BB82_4 Depth=1
                                        ;     Parent Loop BB82_8 Depth=2
                                        ; =>    This Inner Loop Header: Depth=3
	global_load_b64 v[13:14], v34, s[2:3]
	global_load_b64 v[15:16], v[10:11], off
	global_load_b64 v[35:36], v34, s[44:45]
	s_add_i32 s82, s82, -1
	s_add_u32 s44, s44, 8
	s_addc_u32 s45, s45, 0
	s_add_u32 s2, s2, 8
	s_addc_u32 s3, s3, 0
	s_cmp_eq_u32 s82, 0
	s_waitcnt vmcnt(1)
	v_mul_f64 v[37:38], v[13:14], v[15:16]
	v_mul_f64 v[13:14], v[6:7], v[13:14]
	s_waitcnt vmcnt(0)
	s_delay_alu instid0(VALU_DEP_2) | instskip(NEXT) | instid1(VALU_DEP_2)
	v_fma_f64 v[37:38], v[6:7], v[35:36], v[37:38]
	v_fma_f64 v[6:7], v[35:36], v[15:16], -v[13:14]
	global_store_b64 v[10:11], v[37:38], off offset:-8
	v_add_co_u32 v10, vcc_lo, v10, 8
	v_add_co_ci_u32_e32 v11, vcc_lo, 0, v11, vcc_lo
	s_cbranch_scc0 .LBB82_9
	s_branch .LBB82_7
.LBB82_10:                              ;   in Loop: Header=BB82_4 Depth=1
	s_or_b32 exec_lo, exec_lo, s46
	s_mov_b32 s2, 0
.LBB82_11:                              ;   in Loop: Header=BB82_4 Depth=1
	s_delay_alu instid0(SALU_CYCLE_1)
	s_and_not1_b32 vcc_lo, exec_lo, s2
	s_cbranch_vccnz .LBB82_3
; %bb.12:                               ;   in Loop: Header=BB82_4 Depth=1
	s_add_u32 s44, s67, s80
	s_addc_u32 s45, s68, s51
	s_add_u32 s46, s69, s81
	s_addc_u32 s47, s70, s50
	s_and_not1_b32 vcc_lo, exec_lo, s18
	s_mov_b32 s2, -1
	s_cbranch_vccnz .LBB82_19
; %bb.13:                               ;   in Loop: Header=BB82_4 Depth=1
	s_and_saveexec_b32 s82, s0
	s_cbranch_execz .LBB82_18
; %bb.14:                               ;   in Loop: Header=BB82_4 Depth=1
	s_lshl_b64 s[2:3], s[22:23], 3
	v_add_co_u32 v4, vcc_lo, v22, s79
	v_add_co_ci_u32_e32 v5, vcc_lo, s78, v23, vcc_lo
	s_add_u32 s2, s76, s2
	v_mov_b32_e32 v12, v1
	s_addc_u32 s3, s77, s3
	s_add_u32 s83, s2, -8
	s_addc_u32 s84, s3, -1
	s_mov_b32 s85, 0
	s_branch .LBB82_16
.LBB82_15:                              ;   in Loop: Header=BB82_16 Depth=2
	v_add_nc_u32_e32 v12, s26, v12
	v_add_co_u32 v8, vcc_lo, s76, v8
	v_add_co_ci_u32_e32 v9, vcc_lo, s77, v9, vcc_lo
	s_delay_alu instid0(VALU_DEP_3) | instskip(SKIP_1) | instid1(VALU_DEP_1)
	v_cmp_le_i32_e32 vcc_lo, s52, v12
	v_add_co_u32 v4, s2, v4, s36
	v_add_co_ci_u32_e64 v5, s2, s37, v5, s2
	s_or_b32 s85, vcc_lo, s85
	s_waitcnt vmcnt(0)
	global_store_b64 v[8:9], v[6:7], off
	s_and_not1_b32 exec_lo, exec_lo, s85
	s_cbranch_execz .LBB82_18
.LBB82_16:                              ;   Parent Loop BB82_4 Depth=1
                                        ; =>  This Loop Header: Depth=2
                                        ;       Child Loop BB82_17 Depth 3
	v_mad_i64_i32 v[6:7], null, v12, s12, 0
	v_dual_mov_b32 v11, v5 :: v_dual_mov_b32 v10, v4
	s_mov_b64 s[2:3], s[46:47]
	s_mov_b64 s[48:49], s[44:45]
	s_mov_b32 s86, s30
	s_delay_alu instid0(VALU_DEP_2) | instskip(NEXT) | instid1(VALU_DEP_1)
	v_lshlrev_b64 v[8:9], 3, v[6:7]
	v_add_co_u32 v6, vcc_lo, s83, v8
	s_delay_alu instid0(VALU_DEP_2)
	v_add_co_ci_u32_e32 v7, vcc_lo, s84, v9, vcc_lo
	s_and_not1_b32 vcc_lo, exec_lo, s54
	global_load_b64 v[6:7], v[6:7], off
	s_cbranch_vccnz .LBB82_15
	.p2align	6
.LBB82_17:                              ;   Parent Loop BB82_4 Depth=1
                                        ;     Parent Loop BB82_16 Depth=2
                                        ; =>    This Inner Loop Header: Depth=3
	global_load_b64 v[13:14], v34, s[2:3]
	global_load_b64 v[15:16], v[10:11], off offset:-8
	global_load_b64 v[35:36], v34, s[48:49]
	s_add_i32 s86, s86, -1
	s_add_u32 s48, s48, -8
	s_addc_u32 s49, s49, -1
	s_add_u32 s2, s2, -8
	s_addc_u32 s3, s3, -1
	s_cmp_eq_u32 s86, 0
	s_waitcnt vmcnt(1)
	v_mul_f64 v[37:38], v[13:14], v[15:16]
	s_waitcnt vmcnt(0)
	v_mul_f64 v[15:16], v[35:36], v[15:16]
	s_delay_alu instid0(VALU_DEP_2) | instskip(NEXT) | instid1(VALU_DEP_2)
	v_fma_f64 v[35:36], v[6:7], v[35:36], -v[37:38]
	v_fma_f64 v[6:7], v[6:7], v[13:14], v[15:16]
	v_add_co_u32 v13, vcc_lo, v10, -8
	v_add_co_ci_u32_e32 v14, vcc_lo, -1, v11, vcc_lo
	global_store_b64 v[10:11], v[35:36], off
	v_dual_mov_b32 v10, v13 :: v_dual_mov_b32 v11, v14
	s_cbranch_scc0 .LBB82_17
	s_branch .LBB82_15
.LBB82_18:                              ;   in Loop: Header=BB82_4 Depth=1
	s_or_b32 exec_lo, exec_lo, s82
	s_mov_b32 s2, 0
.LBB82_19:                              ;   in Loop: Header=BB82_4 Depth=1
	s_delay_alu instid0(SALU_CYCLE_1)
	s_and_not1_b32 vcc_lo, exec_lo, s2
	s_cbranch_vccnz .LBB82_3
; %bb.20:                               ;   in Loop: Header=BB82_4 Depth=1
	s_and_not1_b32 vcc_lo, exec_lo, s55
	s_mov_b32 s2, -1
	s_cbranch_vccnz .LBB82_27
; %bb.21:                               ;   in Loop: Header=BB82_4 Depth=1
	s_and_saveexec_b32 s82, s0
	s_cbranch_execz .LBB82_26
; %bb.22:                               ;   in Loop: Header=BB82_4 Depth=1
	v_mov_b32_e32 v10, v1
	s_mov_b32 s83, 0
	s_branch .LBB82_24
.LBB82_23:                              ;   in Loop: Header=BB82_24 Depth=2
	v_add_nc_u32_e32 v10, s26, v10
	v_add_co_u32 v2, s2, v2, s36
	s_delay_alu instid0(VALU_DEP_1) | instskip(NEXT) | instid1(VALU_DEP_3)
	v_add_co_ci_u32_e64 v3, s2, s37, v3, s2
	v_cmp_le_i32_e32 vcc_lo, s52, v10
	s_waitcnt vmcnt(0)
	global_store_b64 v[4:5], v[6:7], off
	s_or_b32 s83, vcc_lo, s83
	s_delay_alu instid0(SALU_CYCLE_1)
	s_and_not1_b32 exec_lo, exec_lo, s83
	s_cbranch_execz .LBB82_26
.LBB82_24:                              ;   Parent Loop BB82_4 Depth=1
                                        ; =>  This Loop Header: Depth=2
                                        ;       Child Loop BB82_25 Depth 3
	s_delay_alu instid0(VALU_DEP_1) | instskip(SKIP_4) | instid1(VALU_DEP_2)
	v_mad_i64_i32 v[4:5], null, v10, s12, 0
	v_dual_mov_b32 v9, v3 :: v_dual_mov_b32 v8, v2
	s_mov_b32 s84, s30
	s_mov_b64 s[2:3], s[20:21]
	s_mov_b64 s[48:49], s[42:43]
	v_lshlrev_b64 v[4:5], 3, v[4:5]
	s_delay_alu instid0(VALU_DEP_1) | instskip(NEXT) | instid1(VALU_DEP_2)
	v_add_co_u32 v4, vcc_lo, s76, v4
	v_add_co_ci_u32_e32 v5, vcc_lo, s77, v5, vcc_lo
	s_and_not1_b32 vcc_lo, exec_lo, s54
	global_load_b64 v[6:7], v[4:5], off
	s_cbranch_vccnz .LBB82_23
	.p2align	6
.LBB82_25:                              ;   Parent Loop BB82_4 Depth=1
                                        ;     Parent Loop BB82_24 Depth=2
                                        ; =>    This Inner Loop Header: Depth=3
	s_clause 0x1
	global_load_b64 v[11:12], v34, s[48:49]
	global_load_b64 v[13:14], v34, s[2:3]
	global_load_b64 v[15:16], v[8:9], off
	s_add_u32 s48, s48, 8
	s_addc_u32 s49, s49, 0
	s_add_u32 s2, s2, 8
	s_addc_u32 s3, s3, 0
	s_add_i32 s84, s84, -1
	s_delay_alu instid0(SALU_CYCLE_1) | instskip(SKIP_4) | instid1(VALU_DEP_2)
	s_cmp_eq_u32 s84, 0
	s_waitcnt vmcnt(2)
	v_mul_f64 v[35:36], v[6:7], v[11:12]
	s_waitcnt vmcnt(0)
	v_mul_f64 v[11:12], v[11:12], v[15:16]
	v_fma_f64 v[15:16], v[13:14], v[15:16], -v[35:36]
	s_delay_alu instid0(VALU_DEP_2)
	v_fma_f64 v[6:7], v[6:7], v[13:14], v[11:12]
	global_store_b64 v[8:9], v[15:16], off
	v_add_co_u32 v8, vcc_lo, v8, 8
	v_add_co_ci_u32_e32 v9, vcc_lo, 0, v9, vcc_lo
	s_cbranch_scc0 .LBB82_25
	s_branch .LBB82_23
.LBB82_26:                              ;   in Loop: Header=BB82_4 Depth=1
	s_or_b32 exec_lo, exec_lo, s82
	s_mov_b32 s2, 0
.LBB82_27:                              ;   in Loop: Header=BB82_4 Depth=1
	s_delay_alu instid0(SALU_CYCLE_1)
	s_and_not1_b32 vcc_lo, exec_lo, s2
	s_cbranch_vccnz .LBB82_3
; %bb.28:                               ;   in Loop: Header=BB82_4 Depth=1
	s_and_not1_b32 vcc_lo, exec_lo, s56
	s_mov_b32 s2, -1
	s_cbranch_vccnz .LBB82_35
; %bb.29:                               ;   in Loop: Header=BB82_4 Depth=1
	s_and_saveexec_b32 s82, s0
	s_cbranch_execz .LBB82_34
; %bb.30:                               ;   in Loop: Header=BB82_4 Depth=1
	v_add_co_u32 v2, vcc_lo, v24, s79
	v_add_co_ci_u32_e32 v3, vcc_lo, s78, v25, vcc_lo
	v_mov_b32_e32 v10, v1
	s_mov_b32 s83, 0
	s_branch .LBB82_32
.LBB82_31:                              ;   in Loop: Header=BB82_32 Depth=2
	v_add_nc_u32_e32 v10, s26, v10
	v_add_co_u32 v2, s2, v2, s36
	s_delay_alu instid0(VALU_DEP_1) | instskip(NEXT) | instid1(VALU_DEP_3)
	v_add_co_ci_u32_e64 v3, s2, s37, v3, s2
	v_cmp_le_i32_e32 vcc_lo, s52, v10
	s_waitcnt vmcnt(0)
	global_store_b64 v[4:5], v[6:7], off
	s_or_b32 s83, vcc_lo, s83
	s_delay_alu instid0(SALU_CYCLE_1)
	s_and_not1_b32 exec_lo, exec_lo, s83
	s_cbranch_execz .LBB82_34
.LBB82_32:                              ;   Parent Loop BB82_4 Depth=1
                                        ; =>  This Loop Header: Depth=2
                                        ;       Child Loop BB82_33 Depth 3
	s_delay_alu instid0(VALU_DEP_1) | instskip(SKIP_4) | instid1(VALU_DEP_2)
	v_mad_i64_i32 v[4:5], null, v10, s12, 0
	v_dual_mov_b32 v9, v3 :: v_dual_mov_b32 v8, v2
	s_mov_b64 s[2:3], s[46:47]
	s_mov_b64 s[48:49], s[44:45]
	s_mov_b32 s84, s31
	v_lshlrev_b64 v[4:5], 3, v[4:5]
	s_delay_alu instid0(VALU_DEP_1) | instskip(NEXT) | instid1(VALU_DEP_2)
	v_add_co_u32 v4, vcc_lo, s76, v4
	v_add_co_ci_u32_e32 v5, vcc_lo, s77, v5, vcc_lo
	s_and_not1_b32 vcc_lo, exec_lo, s54
	global_load_b64 v[6:7], v[4:5], off
	s_cbranch_vccnz .LBB82_31
	.p2align	6
.LBB82_33:                              ;   Parent Loop BB82_4 Depth=1
                                        ;     Parent Loop BB82_32 Depth=2
                                        ; =>    This Inner Loop Header: Depth=3
	s_clause 0x1
	global_load_b64 v[11:12], v34, s[2:3]
	global_load_b64 v[13:14], v34, s[48:49]
	global_load_b64 v[15:16], v[8:9], off
	s_add_i32 s84, s84, -1
	s_add_u32 s48, s48, -8
	s_addc_u32 s49, s49, -1
	s_add_u32 s2, s2, -8
	s_addc_u32 s3, s3, -1
	s_cmp_lt_u32 s84, 3
	s_waitcnt vmcnt(2)
	v_mul_f64 v[35:36], v[6:7], v[11:12]
	s_waitcnt vmcnt(0)
	v_mul_f64 v[11:12], v[11:12], v[15:16]
	s_delay_alu instid0(VALU_DEP_2) | instskip(NEXT) | instid1(VALU_DEP_2)
	v_fma_f64 v[15:16], v[13:14], v[15:16], -v[35:36]
	v_fma_f64 v[6:7], v[6:7], v[13:14], v[11:12]
	global_store_b64 v[8:9], v[15:16], off
	v_add_co_u32 v8, vcc_lo, v8, -8
	v_add_co_ci_u32_e32 v9, vcc_lo, -1, v9, vcc_lo
	s_cbranch_scc0 .LBB82_33
	s_branch .LBB82_31
.LBB82_34:                              ;   in Loop: Header=BB82_4 Depth=1
	s_or_b32 exec_lo, exec_lo, s82
	s_mov_b32 s2, 0
.LBB82_35:                              ;   in Loop: Header=BB82_4 Depth=1
	s_delay_alu instid0(SALU_CYCLE_1)
	s_and_not1_b32 vcc_lo, exec_lo, s2
	s_cbranch_vccnz .LBB82_3
; %bb.36:                               ;   in Loop: Header=BB82_4 Depth=1
	s_and_not1_b32 vcc_lo, exec_lo, s57
	s_mov_b32 s2, -1
	s_cbranch_vccnz .LBB82_43
; %bb.37:                               ;   in Loop: Header=BB82_4 Depth=1
	s_and_saveexec_b32 s82, s0
	s_cbranch_execz .LBB82_42
; %bb.38:                               ;   in Loop: Header=BB82_4 Depth=1
	s_lshl_b64 s[2:3], s[22:23], 3
	v_add_co_u32 v2, vcc_lo, v0, s79
	v_add_co_ci_u32_e32 v3, vcc_lo, s78, v17, vcc_lo
	s_add_u32 s2, s76, s2
	v_mov_b32_e32 v10, v1
	s_addc_u32 s3, s77, s3
	s_add_u32 s83, s2, -8
	s_addc_u32 s84, s3, -1
	s_mov_b32 s85, 0
	s_branch .LBB82_40
.LBB82_39:                              ;   in Loop: Header=BB82_40 Depth=2
	v_add_nc_u32_e32 v10, s26, v10
	v_add_co_u32 v2, s2, v2, s36
	s_delay_alu instid0(VALU_DEP_1) | instskip(NEXT) | instid1(VALU_DEP_3)
	v_add_co_ci_u32_e64 v3, s2, s37, v3, s2
	v_cmp_le_i32_e32 vcc_lo, s52, v10
	s_waitcnt vmcnt(0)
	global_store_b64 v[4:5], v[6:7], off
	s_or_b32 s85, vcc_lo, s85
	s_delay_alu instid0(SALU_CYCLE_1)
	s_and_not1_b32 exec_lo, exec_lo, s85
	s_cbranch_execz .LBB82_42
.LBB82_40:                              ;   Parent Loop BB82_4 Depth=1
                                        ; =>  This Loop Header: Depth=2
                                        ;       Child Loop BB82_41 Depth 3
	v_mad_i64_i32 v[4:5], null, v10, s12, 0
	v_dual_mov_b32 v9, v3 :: v_dual_mov_b32 v8, v2
	s_mov_b64 s[2:3], s[42:43]
	s_mov_b64 s[48:49], s[20:21]
	s_mov_b32 s86, s30
	s_delay_alu instid0(VALU_DEP_2) | instskip(NEXT) | instid1(VALU_DEP_1)
	v_lshlrev_b64 v[4:5], 3, v[4:5]
	v_add_co_u32 v4, vcc_lo, s83, v4
	s_delay_alu instid0(VALU_DEP_2)
	v_add_co_ci_u32_e32 v5, vcc_lo, s84, v5, vcc_lo
	s_and_not1_b32 vcc_lo, exec_lo, s54
	global_load_b64 v[6:7], v[4:5], off
	s_cbranch_vccnz .LBB82_39
	.p2align	6
.LBB82_41:                              ;   Parent Loop BB82_4 Depth=1
                                        ;     Parent Loop BB82_40 Depth=2
                                        ; =>    This Inner Loop Header: Depth=3
	global_load_b64 v[11:12], v[8:9], off
	s_clause 0x1
	global_load_b64 v[13:14], v34, s[48:49]
	global_load_b64 v[15:16], v34, s[2:3]
	s_add_i32 s86, s86, -1
	s_add_u32 s48, s48, 8
	s_addc_u32 s49, s49, 0
	s_add_u32 s2, s2, 8
	s_addc_u32 s3, s3, 0
	s_cmp_eq_u32 s86, 0
	s_waitcnt vmcnt(1)
	v_mul_f64 v[35:36], v[13:14], v[11:12]
	s_waitcnt vmcnt(0)
	v_mul_f64 v[11:12], v[15:16], v[11:12]
	s_delay_alu instid0(VALU_DEP_2) | instskip(NEXT) | instid1(VALU_DEP_2)
	v_fma_f64 v[15:16], v[6:7], v[15:16], v[35:36]
	v_fma_f64 v[6:7], v[6:7], v[13:14], -v[11:12]
	global_store_b64 v[8:9], v[15:16], off
	v_add_co_u32 v8, vcc_lo, v8, 8
	v_add_co_ci_u32_e32 v9, vcc_lo, 0, v9, vcc_lo
	s_cbranch_scc0 .LBB82_41
	s_branch .LBB82_39
.LBB82_42:                              ;   in Loop: Header=BB82_4 Depth=1
	s_or_b32 exec_lo, exec_lo, s82
	s_mov_b32 s2, 0
.LBB82_43:                              ;   in Loop: Header=BB82_4 Depth=1
	s_delay_alu instid0(SALU_CYCLE_1)
	s_and_not1_b32 vcc_lo, exec_lo, s2
	s_cbranch_vccnz .LBB82_3
; %bb.44:                               ;   in Loop: Header=BB82_4 Depth=1
	s_and_not1_b32 vcc_lo, exec_lo, s58
	s_mov_b32 s2, -1
	s_cbranch_vccnz .LBB82_51
; %bb.45:                               ;   in Loop: Header=BB82_4 Depth=1
	s_and_saveexec_b32 s82, s0
	s_cbranch_execz .LBB82_50
; %bb.46:                               ;   in Loop: Header=BB82_4 Depth=1
	s_lshl_b64 s[2:3], s[22:23], 3
	v_add_co_u32 v2, vcc_lo, v20, s79
	v_add_co_ci_u32_e32 v3, vcc_lo, s78, v21, vcc_lo
	s_add_u32 s2, s76, s2
	v_mov_b32_e32 v10, v1
	s_addc_u32 s3, s77, s3
	s_add_u32 s83, s2, -8
	s_addc_u32 s84, s3, -1
	s_mov_b32 s85, 0
	s_branch .LBB82_48
.LBB82_47:                              ;   in Loop: Header=BB82_48 Depth=2
	v_add_nc_u32_e32 v10, s26, v10
	v_add_co_u32 v2, s2, v2, s36
	s_delay_alu instid0(VALU_DEP_1) | instskip(NEXT) | instid1(VALU_DEP_3)
	v_add_co_ci_u32_e64 v3, s2, s37, v3, s2
	v_cmp_le_i32_e32 vcc_lo, s52, v10
	s_waitcnt vmcnt(0)
	global_store_b64 v[4:5], v[6:7], off
	s_or_b32 s85, vcc_lo, s85
	s_delay_alu instid0(SALU_CYCLE_1)
	s_and_not1_b32 exec_lo, exec_lo, s85
	s_cbranch_execz .LBB82_50
.LBB82_48:                              ;   Parent Loop BB82_4 Depth=1
                                        ; =>  This Loop Header: Depth=2
                                        ;       Child Loop BB82_49 Depth 3
	v_mad_i64_i32 v[4:5], null, v10, s12, 0
	v_dual_mov_b32 v9, v3 :: v_dual_mov_b32 v8, v2
	s_mov_b64 s[2:3], s[46:47]
	s_mov_b64 s[48:49], s[44:45]
	s_mov_b32 s86, s30
	s_delay_alu instid0(VALU_DEP_2) | instskip(NEXT) | instid1(VALU_DEP_1)
	v_lshlrev_b64 v[4:5], 3, v[4:5]
	v_add_co_u32 v4, vcc_lo, s83, v4
	s_delay_alu instid0(VALU_DEP_2)
	v_add_co_ci_u32_e32 v5, vcc_lo, s84, v5, vcc_lo
	s_and_not1_b32 vcc_lo, exec_lo, s54
	global_load_b64 v[6:7], v[4:5], off
	s_cbranch_vccnz .LBB82_47
	.p2align	6
.LBB82_49:                              ;   Parent Loop BB82_4 Depth=1
                                        ;     Parent Loop BB82_48 Depth=2
                                        ; =>    This Inner Loop Header: Depth=3
	global_load_b64 v[11:12], v[8:9], off
	s_clause 0x1
	global_load_b64 v[13:14], v34, s[48:49]
	global_load_b64 v[15:16], v34, s[2:3]
	s_add_i32 s86, s86, -1
	s_add_u32 s48, s48, -8
	s_addc_u32 s49, s49, -1
	s_add_u32 s2, s2, -8
	s_addc_u32 s3, s3, -1
	s_cmp_eq_u32 s86, 0
	s_waitcnt vmcnt(1)
	v_mul_f64 v[35:36], v[13:14], v[11:12]
	s_waitcnt vmcnt(0)
	v_mul_f64 v[11:12], v[15:16], v[11:12]
	s_delay_alu instid0(VALU_DEP_2) | instskip(NEXT) | instid1(VALU_DEP_2)
	v_fma_f64 v[15:16], v[6:7], v[15:16], v[35:36]
	v_fma_f64 v[6:7], v[6:7], v[13:14], -v[11:12]
	global_store_b64 v[8:9], v[15:16], off
	v_add_co_u32 v8, vcc_lo, v8, -8
	v_add_co_ci_u32_e32 v9, vcc_lo, -1, v9, vcc_lo
	s_cbranch_scc0 .LBB82_49
	s_branch .LBB82_47
.LBB82_50:                              ;   in Loop: Header=BB82_4 Depth=1
	s_or_b32 exec_lo, exec_lo, s82
	s_mov_b32 s2, 0
.LBB82_51:                              ;   in Loop: Header=BB82_4 Depth=1
	s_delay_alu instid0(SALU_CYCLE_1)
	s_and_not1_b32 vcc_lo, exec_lo, s2
	s_cbranch_vccnz .LBB82_3
; %bb.52:                               ;   in Loop: Header=BB82_4 Depth=1
	v_add_co_u32 v2, vcc_lo, v26, s79
	v_add_co_ci_u32_e32 v3, vcc_lo, s78, v27, vcc_lo
	s_and_not1_b32 vcc_lo, exec_lo, s59
	s_mov_b32 s2, -1
	s_cbranch_vccnz .LBB82_59
; %bb.53:                               ;   in Loop: Header=BB82_4 Depth=1
	s_and_saveexec_b32 s46, s1
	s_cbranch_execz .LBB82_58
; %bb.54:                               ;   in Loop: Header=BB82_4 Depth=1
	s_lshl_b64 s[2:3], s[28:29], 3
	v_dual_mov_b32 v5, v3 :: v_dual_mov_b32 v4, v2
	v_mov_b32_e32 v6, v1
	s_add_u32 s47, s76, s2
	s_addc_u32 s48, s77, s3
	s_mov_b32 s49, 0
	s_branch .LBB82_56
.LBB82_55:                              ;   in Loop: Header=BB82_56 Depth=2
	v_add_nc_u32_e32 v6, s26, v6
	v_add_co_u32 v9, vcc_lo, s47, v9
	v_add_co_ci_u32_e32 v10, vcc_lo, s48, v10, vcc_lo
	s_delay_alu instid0(VALU_DEP_3) | instskip(SKIP_1) | instid1(VALU_DEP_1)
	v_cmp_le_i32_e32 vcc_lo, s19, v6
	v_add_co_u32 v4, s2, v4, s40
	v_add_co_ci_u32_e64 v5, s2, s41, v5, s2
	s_or_b32 s49, vcc_lo, s49
	s_waitcnt vmcnt(0)
	global_store_b64 v[9:10], v[7:8], off
	s_and_not1_b32 exec_lo, exec_lo, s49
	s_cbranch_execz .LBB82_58
.LBB82_56:                              ;   Parent Loop BB82_4 Depth=1
                                        ; =>  This Loop Header: Depth=2
                                        ;       Child Loop BB82_57 Depth 3
	v_ashrrev_i32_e32 v7, 31, v6
	v_dual_mov_b32 v12, v5 :: v_dual_mov_b32 v11, v4
	s_mov_b64 s[2:3], s[42:43]
	s_mov_b64 s[44:45], s[20:21]
	s_delay_alu instid0(VALU_DEP_2) | instskip(SKIP_1) | instid1(VALU_DEP_1)
	v_lshlrev_b64 v[9:10], 3, v[6:7]
	s_mov_b32 s82, s60
	v_add_co_u32 v7, vcc_lo, s76, v9
	s_delay_alu instid0(VALU_DEP_2)
	v_add_co_ci_u32_e32 v8, vcc_lo, s77, v10, vcc_lo
	s_and_not1_b32 vcc_lo, exec_lo, s62
	global_load_b64 v[7:8], v[7:8], off
	s_cbranch_vccnz .LBB82_55
	.p2align	6
.LBB82_57:                              ;   Parent Loop BB82_4 Depth=1
                                        ;     Parent Loop BB82_56 Depth=2
                                        ; =>    This Inner Loop Header: Depth=3
	s_delay_alu instid0(VALU_DEP_1) | instskip(NEXT) | instid1(VALU_DEP_2)
	v_add_co_u32 v13, vcc_lo, v11, s38
	v_add_co_ci_u32_e32 v14, vcc_lo, s39, v12, vcc_lo
	s_add_i32 s82, s82, -1
	global_load_b64 v[15:16], v34, s[2:3]
	global_load_b64 v[35:36], v[13:14], off
	global_load_b64 v[37:38], v34, s[44:45]
	s_add_u32 s44, s44, 8
	s_addc_u32 s45, s45, 0
	s_add_u32 s2, s2, 8
	s_addc_u32 s3, s3, 0
	s_cmp_eq_u32 s82, 0
	s_waitcnt vmcnt(1)
	v_mul_f64 v[39:40], v[15:16], v[35:36]
	v_mul_f64 v[15:16], v[7:8], v[15:16]
	s_waitcnt vmcnt(0)
	s_delay_alu instid0(VALU_DEP_2) | instskip(NEXT) | instid1(VALU_DEP_2)
	v_fma_f64 v[39:40], v[7:8], v[37:38], v[39:40]
	v_fma_f64 v[7:8], v[37:38], v[35:36], -v[15:16]
	global_store_b64 v[11:12], v[39:40], off
	v_dual_mov_b32 v11, v13 :: v_dual_mov_b32 v12, v14
	s_cbranch_scc0 .LBB82_57
	s_branch .LBB82_55
.LBB82_58:                              ;   in Loop: Header=BB82_4 Depth=1
	s_or_b32 exec_lo, exec_lo, s46
	s_mov_b32 s2, 0
.LBB82_59:                              ;   in Loop: Header=BB82_4 Depth=1
	s_delay_alu instid0(SALU_CYCLE_1)
	s_and_not1_b32 vcc_lo, exec_lo, s2
	s_cbranch_vccnz .LBB82_3
; %bb.60:                               ;   in Loop: Header=BB82_4 Depth=1
	v_add_co_u32 v4, vcc_lo, v30, s79
	v_add_co_ci_u32_e32 v5, vcc_lo, s78, v31, vcc_lo
	v_add_co_u32 v6, vcc_lo, v28, s79
	s_add_u32 s44, s27, s80
	v_add_co_ci_u32_e32 v7, vcc_lo, s78, v29, vcc_lo
	s_addc_u32 s45, s71, s51
	s_add_u32 s46, s72, s81
	s_addc_u32 s47, s13, s50
	s_and_not1_b32 vcc_lo, exec_lo, s61
	s_mov_b32 s2, -1
	s_cbranch_vccnz .LBB82_68
; %bb.61:                               ;   in Loop: Header=BB82_4 Depth=1
	s_and_saveexec_b32 s80, s1
	s_cbranch_execz .LBB82_67
; %bb.62:                               ;   in Loop: Header=BB82_4 Depth=1
	s_lshl_b64 s[2:3], s[28:29], 3
	v_dual_mov_b32 v9, v5 :: v_dual_mov_b32 v8, v4
	v_dual_mov_b32 v11, v7 :: v_dual_mov_b32 v10, v6
	v_mov_b32_e32 v12, v1
	s_add_u32 s81, s76, s2
	s_addc_u32 s82, s77, s3
	s_mov_b32 s83, 0
	s_branch .LBB82_64
.LBB82_63:                              ;   in Loop: Header=BB82_64 Depth=2
	v_add_co_u32 v15, vcc_lo, s76, v15
	v_add_nc_u32_e32 v12, s26, v12
	v_add_co_ci_u32_e32 v16, vcc_lo, s77, v16, vcc_lo
	v_add_co_u32 v10, vcc_lo, v10, s40
	v_add_co_ci_u32_e32 v11, vcc_lo, s41, v11, vcc_lo
	s_delay_alu instid0(VALU_DEP_4) | instskip(SKIP_1) | instid1(VALU_DEP_1)
	v_cmp_le_i32_e32 vcc_lo, s19, v12
	v_add_co_u32 v8, s2, v8, s40
	v_add_co_ci_u32_e64 v9, s2, s41, v9, s2
	s_or_b32 s83, vcc_lo, s83
	s_waitcnt vmcnt(0)
	global_store_b64 v[15:16], v[13:14], off
	s_and_not1_b32 exec_lo, exec_lo, s83
	s_cbranch_execz .LBB82_67
.LBB82_64:                              ;   Parent Loop BB82_4 Depth=1
                                        ; =>  This Loop Header: Depth=2
                                        ;       Child Loop BB82_66 Depth 3
	v_ashrrev_i32_e32 v13, 31, v12
	s_delay_alu instid0(VALU_DEP_1) | instskip(NEXT) | instid1(VALU_DEP_1)
	v_lshlrev_b64 v[15:16], 3, v[12:13]
	v_add_co_u32 v13, vcc_lo, s81, v15
	s_delay_alu instid0(VALU_DEP_2)
	v_add_co_ci_u32_e32 v14, vcc_lo, s82, v16, vcc_lo
	s_and_not1_b32 vcc_lo, exec_lo, s62
	global_load_b64 v[13:14], v[13:14], off
	s_cbranch_vccnz .LBB82_63
; %bb.65:                               ;   in Loop: Header=BB82_64 Depth=2
	s_mov_b64 s[2:3], 0
	s_mov_b64 s[48:49], s[46:47]
	;; [unrolled: 1-line block ×3, first 2 shown]
	s_mov_b32 s84, s60
	.p2align	6
.LBB82_66:                              ;   Parent Loop BB82_4 Depth=1
                                        ;     Parent Loop BB82_64 Depth=2
                                        ; =>    This Inner Loop Header: Depth=3
	v_add_co_u32 v35, vcc_lo, v8, s2
	v_add_co_ci_u32_e32 v36, vcc_lo, s3, v9, vcc_lo
	s_add_i32 s84, s84, -1
	s_clause 0x1
	global_load_b64 v[37:38], v34, s[50:51]
	global_load_b64 v[39:40], v34, s[48:49]
	global_load_b64 v[35:36], v[35:36], off
	s_waitcnt vmcnt(0)
	v_mul_f64 v[41:42], v[39:40], v[35:36]
	v_mul_f64 v[35:36], v[37:38], v[35:36]
	s_delay_alu instid0(VALU_DEP_2) | instskip(NEXT) | instid1(VALU_DEP_2)
	v_fma_f64 v[37:38], v[13:14], v[37:38], -v[41:42]
	v_fma_f64 v[13:14], v[13:14], v[39:40], v[35:36]
	v_add_co_u32 v35, vcc_lo, v10, s2
	s_sub_u32 s2, s2, s38
	v_add_co_ci_u32_e32 v36, vcc_lo, s3, v11, vcc_lo
	s_subb_u32 s3, s3, s39
	s_add_u32 s50, s50, -8
	s_addc_u32 s51, s51, -1
	s_add_u32 s48, s48, -8
	s_addc_u32 s49, s49, -1
	s_cmp_eq_u32 s84, 0
	global_store_b64 v[35:36], v[37:38], off
	s_cbranch_scc0 .LBB82_66
	s_branch .LBB82_63
.LBB82_67:                              ;   in Loop: Header=BB82_4 Depth=1
	s_or_b32 exec_lo, exec_lo, s80
	s_mov_b32 s2, 0
.LBB82_68:                              ;   in Loop: Header=BB82_4 Depth=1
	s_delay_alu instid0(SALU_CYCLE_1)
	s_and_not1_b32 vcc_lo, exec_lo, s2
	s_cbranch_vccnz .LBB82_3
; %bb.69:                               ;   in Loop: Header=BB82_4 Depth=1
	s_and_not1_b32 vcc_lo, exec_lo, s63
	s_mov_b32 s2, -1
	s_cbranch_vccnz .LBB82_76
; %bb.70:                               ;   in Loop: Header=BB82_4 Depth=1
	s_and_saveexec_b32 s50, s1
	s_cbranch_execz .LBB82_75
; %bb.71:                               ;   in Loop: Header=BB82_4 Depth=1
	v_add_co_u32 v8, vcc_lo, v32, s79
	v_add_co_ci_u32_e32 v9, vcc_lo, s78, v33, vcc_lo
	v_mov_b32_e32 v10, v1
	s_mov_b32 s51, 0
	s_branch .LBB82_73
.LBB82_72:                              ;   in Loop: Header=BB82_73 Depth=2
	v_add_nc_u32_e32 v10, s26, v10
	v_add_co_u32 v8, s2, v8, s40
	s_delay_alu instid0(VALU_DEP_1) | instskip(NEXT) | instid1(VALU_DEP_3)
	v_add_co_ci_u32_e64 v9, s2, s41, v9, s2
	v_cmp_le_i32_e32 vcc_lo, s19, v10
	s_waitcnt vmcnt(0)
	global_store_b64 v[11:12], v[13:14], off
	s_or_b32 s51, vcc_lo, s51
	s_delay_alu instid0(SALU_CYCLE_1)
	s_and_not1_b32 exec_lo, exec_lo, s51
	s_cbranch_execz .LBB82_75
.LBB82_73:                              ;   Parent Loop BB82_4 Depth=1
                                        ; =>  This Loop Header: Depth=2
                                        ;       Child Loop BB82_74 Depth 3
	s_delay_alu instid0(VALU_DEP_1) | instskip(SKIP_3) | instid1(VALU_DEP_2)
	v_ashrrev_i32_e32 v11, 31, v10
	v_dual_mov_b32 v16, v9 :: v_dual_mov_b32 v15, v8
	s_mov_b32 s78, s60
	s_mov_b64 s[2:3], s[20:21]
	v_lshlrev_b64 v[11:12], 3, v[10:11]
	s_mov_b64 s[48:49], s[42:43]
	s_delay_alu instid0(VALU_DEP_1) | instskip(NEXT) | instid1(VALU_DEP_2)
	v_add_co_u32 v11, vcc_lo, s76, v11
	v_add_co_ci_u32_e32 v12, vcc_lo, s77, v12, vcc_lo
	s_and_not1_b32 vcc_lo, exec_lo, s62
	global_load_b64 v[13:14], v[11:12], off
	s_cbranch_vccnz .LBB82_72
	.p2align	6
.LBB82_74:                              ;   Parent Loop BB82_4 Depth=1
                                        ;     Parent Loop BB82_73 Depth=2
                                        ; =>    This Inner Loop Header: Depth=3
	s_clause 0x1
	global_load_b64 v[35:36], v34, s[48:49]
	global_load_b64 v[37:38], v34, s[2:3]
	global_load_b64 v[39:40], v[15:16], off
	s_add_u32 s48, s48, 8
	s_addc_u32 s49, s49, 0
	s_add_u32 s2, s2, 8
	s_addc_u32 s3, s3, 0
	s_add_i32 s78, s78, -1
	s_delay_alu instid0(SALU_CYCLE_1) | instskip(SKIP_4) | instid1(VALU_DEP_2)
	s_cmp_eq_u32 s78, 0
	s_waitcnt vmcnt(2)
	v_mul_f64 v[41:42], v[13:14], v[35:36]
	s_waitcnt vmcnt(0)
	v_mul_f64 v[35:36], v[35:36], v[39:40]
	v_fma_f64 v[39:40], v[37:38], v[39:40], -v[41:42]
	s_delay_alu instid0(VALU_DEP_2)
	v_fma_f64 v[13:14], v[13:14], v[37:38], v[35:36]
	global_store_b64 v[15:16], v[39:40], off
	v_add_co_u32 v15, vcc_lo, v15, s38
	v_add_co_ci_u32_e32 v16, vcc_lo, s39, v16, vcc_lo
	s_cbranch_scc0 .LBB82_74
	s_branch .LBB82_72
.LBB82_75:                              ;   in Loop: Header=BB82_4 Depth=1
	s_or_b32 exec_lo, exec_lo, s50
	s_mov_b32 s2, 0
.LBB82_76:                              ;   in Loop: Header=BB82_4 Depth=1
	s_delay_alu instid0(SALU_CYCLE_1)
	s_and_not1_b32 vcc_lo, exec_lo, s2
	s_cbranch_vccnz .LBB82_3
; %bb.77:                               ;   in Loop: Header=BB82_4 Depth=1
	s_and_not1_b32 vcc_lo, exec_lo, s64
	s_mov_b32 s2, -1
	s_cbranch_vccnz .LBB82_84
; %bb.78:                               ;   in Loop: Header=BB82_4 Depth=1
	s_and_saveexec_b32 s50, s1
	s_cbranch_execz .LBB82_83
; %bb.79:                               ;   in Loop: Header=BB82_4 Depth=1
	v_mov_b32_e32 v8, v1
	s_mov_b32 s51, 0
	s_branch .LBB82_81
.LBB82_80:                              ;   in Loop: Header=BB82_81 Depth=2
	v_add_nc_u32_e32 v8, s26, v8
	v_add_co_u32 v6, s2, v6, s40
	s_delay_alu instid0(VALU_DEP_1) | instskip(NEXT) | instid1(VALU_DEP_3)
	v_add_co_ci_u32_e64 v7, s2, s41, v7, s2
	v_cmp_le_i32_e32 vcc_lo, s19, v8
	s_waitcnt vmcnt(0)
	global_store_b64 v[9:10], v[11:12], off
	s_or_b32 s51, vcc_lo, s51
	s_delay_alu instid0(SALU_CYCLE_1)
	s_and_not1_b32 exec_lo, exec_lo, s51
	s_cbranch_execz .LBB82_83
.LBB82_81:                              ;   Parent Loop BB82_4 Depth=1
                                        ; =>  This Loop Header: Depth=2
                                        ;       Child Loop BB82_82 Depth 3
	s_delay_alu instid0(VALU_DEP_1) | instskip(SKIP_3) | instid1(VALU_DEP_2)
	v_ashrrev_i32_e32 v9, 31, v8
	v_dual_mov_b32 v14, v7 :: v_dual_mov_b32 v13, v6
	s_mov_b64 s[2:3], s[46:47]
	s_mov_b64 s[48:49], s[44:45]
	v_lshlrev_b64 v[9:10], 3, v[8:9]
	s_mov_b32 s78, s73
	s_delay_alu instid0(VALU_DEP_1) | instskip(NEXT) | instid1(VALU_DEP_2)
	v_add_co_u32 v9, vcc_lo, s76, v9
	v_add_co_ci_u32_e32 v10, vcc_lo, s77, v10, vcc_lo
	s_and_not1_b32 vcc_lo, exec_lo, s62
	global_load_b64 v[11:12], v[9:10], off
	s_cbranch_vccnz .LBB82_80
	.p2align	6
.LBB82_82:                              ;   Parent Loop BB82_4 Depth=1
                                        ;     Parent Loop BB82_81 Depth=2
                                        ; =>    This Inner Loop Header: Depth=3
	s_clause 0x1
	global_load_b64 v[15:16], v34, s[2:3]
	global_load_b64 v[35:36], v34, s[48:49]
	global_load_b64 v[37:38], v[13:14], off
	s_add_i32 s78, s78, -1
	s_add_u32 s48, s48, -8
	s_addc_u32 s49, s49, -1
	s_add_u32 s2, s2, -8
	s_addc_u32 s3, s3, -1
	s_cmp_lt_u32 s78, 3
	s_waitcnt vmcnt(2)
	v_mul_f64 v[39:40], v[11:12], v[15:16]
	s_waitcnt vmcnt(0)
	v_mul_f64 v[15:16], v[15:16], v[37:38]
	s_delay_alu instid0(VALU_DEP_2) | instskip(NEXT) | instid1(VALU_DEP_2)
	v_fma_f64 v[37:38], v[35:36], v[37:38], -v[39:40]
	v_fma_f64 v[11:12], v[11:12], v[35:36], v[15:16]
	global_store_b64 v[13:14], v[37:38], off
	v_add_co_u32 v13, vcc_lo, v13, s74
	v_add_co_ci_u32_e32 v14, vcc_lo, s75, v14, vcc_lo
	s_cbranch_scc0 .LBB82_82
	s_branch .LBB82_80
.LBB82_83:                              ;   in Loop: Header=BB82_4 Depth=1
	s_or_b32 exec_lo, exec_lo, s50
	s_mov_b32 s2, 0
.LBB82_84:                              ;   in Loop: Header=BB82_4 Depth=1
	s_delay_alu instid0(SALU_CYCLE_1)
	s_and_not1_b32 vcc_lo, exec_lo, s2
	s_cbranch_vccnz .LBB82_3
; %bb.85:                               ;   in Loop: Header=BB82_4 Depth=1
	s_and_not1_b32 vcc_lo, exec_lo, s65
	s_mov_b32 s2, -1
	s_cbranch_vccnz .LBB82_92
; %bb.86:                               ;   in Loop: Header=BB82_4 Depth=1
	s_and_saveexec_b32 s50, s1
	s_cbranch_execz .LBB82_91
; %bb.87:                               ;   in Loop: Header=BB82_4 Depth=1
	s_lshl_b64 s[2:3], s[28:29], 3
	v_mov_b32_e32 v6, v1
	s_add_u32 s51, s76, s2
	s_addc_u32 s78, s77, s3
	s_mov_b32 s79, 0
	s_branch .LBB82_89
.LBB82_88:                              ;   in Loop: Header=BB82_89 Depth=2
	v_add_nc_u32_e32 v6, s26, v6
	v_add_co_u32 v2, s2, v2, s40
	s_delay_alu instid0(VALU_DEP_1) | instskip(NEXT) | instid1(VALU_DEP_3)
	v_add_co_ci_u32_e64 v3, s2, s41, v3, s2
	v_cmp_le_i32_e32 vcc_lo, s19, v6
	s_waitcnt vmcnt(0)
	global_store_b64 v[7:8], v[9:10], off
	s_or_b32 s79, vcc_lo, s79
	s_delay_alu instid0(SALU_CYCLE_1)
	s_and_not1_b32 exec_lo, exec_lo, s79
	s_cbranch_execz .LBB82_91
.LBB82_89:                              ;   Parent Loop BB82_4 Depth=1
                                        ; =>  This Loop Header: Depth=2
                                        ;       Child Loop BB82_90 Depth 3
	v_ashrrev_i32_e32 v7, 31, v6
	v_dual_mov_b32 v12, v3 :: v_dual_mov_b32 v11, v2
	s_mov_b64 s[2:3], s[42:43]
	s_mov_b64 s[48:49], s[20:21]
	s_delay_alu instid0(VALU_DEP_2) | instskip(SKIP_1) | instid1(VALU_DEP_1)
	v_lshlrev_b64 v[7:8], 3, v[6:7]
	s_mov_b32 s80, s60
	v_add_co_u32 v7, vcc_lo, s51, v7
	s_delay_alu instid0(VALU_DEP_2)
	v_add_co_ci_u32_e32 v8, vcc_lo, s78, v8, vcc_lo
	s_and_not1_b32 vcc_lo, exec_lo, s62
	global_load_b64 v[9:10], v[7:8], off
	s_cbranch_vccnz .LBB82_88
	.p2align	6
.LBB82_90:                              ;   Parent Loop BB82_4 Depth=1
                                        ;     Parent Loop BB82_89 Depth=2
                                        ; =>    This Inner Loop Header: Depth=3
	global_load_b64 v[13:14], v[11:12], off
	s_clause 0x1
	global_load_b64 v[15:16], v34, s[48:49]
	global_load_b64 v[35:36], v34, s[2:3]
	s_add_i32 s80, s80, -1
	s_add_u32 s48, s48, 8
	s_addc_u32 s49, s49, 0
	s_add_u32 s2, s2, 8
	s_addc_u32 s3, s3, 0
	s_cmp_eq_u32 s80, 0
	s_waitcnt vmcnt(1)
	v_mul_f64 v[37:38], v[15:16], v[13:14]
	s_waitcnt vmcnt(0)
	v_mul_f64 v[13:14], v[35:36], v[13:14]
	s_delay_alu instid0(VALU_DEP_2) | instskip(NEXT) | instid1(VALU_DEP_2)
	v_fma_f64 v[35:36], v[9:10], v[35:36], v[37:38]
	v_fma_f64 v[9:10], v[9:10], v[15:16], -v[13:14]
	global_store_b64 v[11:12], v[35:36], off
	v_add_co_u32 v11, vcc_lo, v11, s38
	v_add_co_ci_u32_e32 v12, vcc_lo, s39, v12, vcc_lo
	s_cbranch_scc0 .LBB82_90
	s_branch .LBB82_88
.LBB82_91:                              ;   in Loop: Header=BB82_4 Depth=1
	s_or_b32 exec_lo, exec_lo, s50
	s_mov_b32 s2, 0
.LBB82_92:                              ;   in Loop: Header=BB82_4 Depth=1
	s_delay_alu instid0(SALU_CYCLE_1)
	s_and_not1_b32 vcc_lo, exec_lo, s2
	s_cbranch_vccnz .LBB82_3
; %bb.93:                               ;   in Loop: Header=BB82_4 Depth=1
	s_and_saveexec_b32 s42, s66
	s_cbranch_execz .LBB82_2
; %bb.94:                               ;   in Loop: Header=BB82_4 Depth=1
	s_lshl_b64 s[2:3], s[28:29], 3
	v_mov_b32_e32 v2, v1
	s_add_u32 s43, s76, s2
	s_addc_u32 s48, s77, s3
	s_mov_b32 s49, 0
	s_branch .LBB82_96
.LBB82_95:                              ;   in Loop: Header=BB82_96 Depth=2
	v_add_nc_u32_e32 v2, s26, v2
	v_add_co_u32 v4, s2, v4, s40
	s_delay_alu instid0(VALU_DEP_1) | instskip(NEXT) | instid1(VALU_DEP_3)
	v_add_co_ci_u32_e64 v5, s2, s41, v5, s2
	v_cmp_le_i32_e32 vcc_lo, s19, v2
	s_waitcnt vmcnt(0)
	global_store_b64 v[6:7], v[8:9], off
	s_or_b32 s49, vcc_lo, s49
	s_delay_alu instid0(SALU_CYCLE_1)
	s_and_not1_b32 exec_lo, exec_lo, s49
	s_cbranch_execz .LBB82_2
.LBB82_96:                              ;   Parent Loop BB82_4 Depth=1
                                        ; =>  This Loop Header: Depth=2
                                        ;       Child Loop BB82_97 Depth 3
	v_ashrrev_i32_e32 v3, 31, v2
	v_dual_mov_b32 v11, v5 :: v_dual_mov_b32 v10, v4
	s_mov_b64 s[2:3], s[46:47]
	s_mov_b64 s[20:21], s[44:45]
	s_delay_alu instid0(VALU_DEP_2) | instskip(SKIP_1) | instid1(VALU_DEP_1)
	v_lshlrev_b64 v[6:7], 3, v[2:3]
	s_mov_b32 s50, s60
	v_add_co_u32 v6, vcc_lo, s43, v6
	s_delay_alu instid0(VALU_DEP_2)
	v_add_co_ci_u32_e32 v7, vcc_lo, s48, v7, vcc_lo
	s_and_not1_b32 vcc_lo, exec_lo, s62
	global_load_b64 v[8:9], v[6:7], off
	s_cbranch_vccnz .LBB82_95
	.p2align	6
.LBB82_97:                              ;   Parent Loop BB82_4 Depth=1
                                        ;     Parent Loop BB82_96 Depth=2
                                        ; =>    This Inner Loop Header: Depth=3
	global_load_b64 v[12:13], v[10:11], off
	s_clause 0x1
	global_load_b64 v[14:15], v34, s[20:21]
	global_load_b64 v[35:36], v34, s[2:3]
	s_add_i32 s50, s50, -1
	s_add_u32 s20, s20, -8
	s_addc_u32 s21, s21, -1
	s_add_u32 s2, s2, -8
	s_addc_u32 s3, s3, -1
	s_cmp_eq_u32 s50, 0
	s_waitcnt vmcnt(1)
	v_mul_f64 v[37:38], v[14:15], v[12:13]
	s_waitcnt vmcnt(0)
	v_mul_f64 v[12:13], v[35:36], v[12:13]
	s_delay_alu instid0(VALU_DEP_2) | instskip(NEXT) | instid1(VALU_DEP_2)
	v_fma_f64 v[35:36], v[8:9], v[35:36], v[37:38]
	v_fma_f64 v[8:9], v[8:9], v[14:15], -v[12:13]
	global_store_b64 v[10:11], v[35:36], off
	v_add_co_u32 v10, vcc_lo, v10, s74
	v_add_co_ci_u32_e32 v11, vcc_lo, s75, v11, vcc_lo
	s_cbranch_scc0 .LBB82_97
	s_branch .LBB82_95
.LBB82_98:
	s_nop 0
	s_sendmsg sendmsg(MSG_DEALLOC_VGPRS)
	s_endpgm
	.section	.rodata,"a",@progbits
	.p2align	6, 0x0
	.amdhsa_kernel _ZN9rocsolver6v33100L11lasr_kernelIddPdiEEv13rocblas_side_14rocblas_pivot_15rocblas_direct_T2_S6_PT0_lS8_lT1_lS6_lS6_
		.amdhsa_group_segment_fixed_size 0
		.amdhsa_private_segment_fixed_size 0
		.amdhsa_kernarg_size 352
		.amdhsa_user_sgpr_count 14
		.amdhsa_user_sgpr_dispatch_ptr 0
		.amdhsa_user_sgpr_queue_ptr 0
		.amdhsa_user_sgpr_kernarg_segment_ptr 1
		.amdhsa_user_sgpr_dispatch_id 0
		.amdhsa_user_sgpr_private_segment_size 0
		.amdhsa_wavefront_size32 1
		.amdhsa_uses_dynamic_stack 0
		.amdhsa_enable_private_segment 0
		.amdhsa_system_sgpr_workgroup_id_x 1
		.amdhsa_system_sgpr_workgroup_id_y 0
		.amdhsa_system_sgpr_workgroup_id_z 1
		.amdhsa_system_sgpr_workgroup_info 0
		.amdhsa_system_vgpr_workitem_id 0
		.amdhsa_next_free_vgpr 43
		.amdhsa_next_free_sgpr 87
		.amdhsa_reserve_vcc 1
		.amdhsa_float_round_mode_32 0
		.amdhsa_float_round_mode_16_64 0
		.amdhsa_float_denorm_mode_32 3
		.amdhsa_float_denorm_mode_16_64 3
		.amdhsa_dx10_clamp 1
		.amdhsa_ieee_mode 1
		.amdhsa_fp16_overflow 0
		.amdhsa_workgroup_processor_mode 1
		.amdhsa_memory_ordered 1
		.amdhsa_forward_progress 0
		.amdhsa_shared_vgpr_count 0
		.amdhsa_exception_fp_ieee_invalid_op 0
		.amdhsa_exception_fp_denorm_src 0
		.amdhsa_exception_fp_ieee_div_zero 0
		.amdhsa_exception_fp_ieee_overflow 0
		.amdhsa_exception_fp_ieee_underflow 0
		.amdhsa_exception_fp_ieee_inexact 0
		.amdhsa_exception_int_div_zero 0
	.end_amdhsa_kernel
	.section	.text._ZN9rocsolver6v33100L11lasr_kernelIddPdiEEv13rocblas_side_14rocblas_pivot_15rocblas_direct_T2_S6_PT0_lS8_lT1_lS6_lS6_,"axG",@progbits,_ZN9rocsolver6v33100L11lasr_kernelIddPdiEEv13rocblas_side_14rocblas_pivot_15rocblas_direct_T2_S6_PT0_lS8_lT1_lS6_lS6_,comdat
.Lfunc_end82:
	.size	_ZN9rocsolver6v33100L11lasr_kernelIddPdiEEv13rocblas_side_14rocblas_pivot_15rocblas_direct_T2_S6_PT0_lS8_lT1_lS6_lS6_, .Lfunc_end82-_ZN9rocsolver6v33100L11lasr_kernelIddPdiEEv13rocblas_side_14rocblas_pivot_15rocblas_direct_T2_S6_PT0_lS8_lT1_lS6_lS6_
                                        ; -- End function
	.section	.AMDGPU.csdata,"",@progbits
; Kernel info:
; codeLenInByte = 4836
; NumSgprs: 89
; NumVgprs: 43
; ScratchSize: 0
; MemoryBound: 0
; FloatMode: 240
; IeeeMode: 1
; LDSByteSize: 0 bytes/workgroup (compile time only)
; SGPRBlocks: 11
; VGPRBlocks: 5
; NumSGPRsForWavesPerEU: 89
; NumVGPRsForWavesPerEU: 43
; Occupancy: 16
; WaveLimiterHint : 0
; COMPUTE_PGM_RSRC2:SCRATCH_EN: 0
; COMPUTE_PGM_RSRC2:USER_SGPR: 14
; COMPUTE_PGM_RSRC2:TRAP_HANDLER: 0
; COMPUTE_PGM_RSRC2:TGID_X_EN: 1
; COMPUTE_PGM_RSRC2:TGID_Y_EN: 0
; COMPUTE_PGM_RSRC2:TGID_Z_EN: 1
; COMPUTE_PGM_RSRC2:TIDIG_COMP_CNT: 0
	.section	.text._ZN9rocsolver6v33100L11swap_kernelIdiEEvT0_PT_S2_S4_S2_,"axG",@progbits,_ZN9rocsolver6v33100L11swap_kernelIdiEEvT0_PT_S2_S4_S2_,comdat
	.globl	_ZN9rocsolver6v33100L11swap_kernelIdiEEvT0_PT_S2_S4_S2_ ; -- Begin function _ZN9rocsolver6v33100L11swap_kernelIdiEEvT0_PT_S2_S4_S2_
	.p2align	8
	.type	_ZN9rocsolver6v33100L11swap_kernelIdiEEvT0_PT_S2_S4_S2_,@function
_ZN9rocsolver6v33100L11swap_kernelIdiEEvT0_PT_S2_S4_S2_: ; @_ZN9rocsolver6v33100L11swap_kernelIdiEEvT0_PT_S2_S4_S2_
; %bb.0:
	s_load_b32 s12, s[0:1], 0x0
	s_waitcnt lgkmcnt(0)
	s_cmp_lt_i32 s12, 1
	s_cbranch_scc1 .LBB83_10
; %bb.1:
	s_clause 0x5
	s_load_b32 s6, s[0:1], 0x34
	s_load_b32 s8, s[0:1], 0x10
	;; [unrolled: 1-line block ×4, first 2 shown]
	s_load_b64 s[2:3], s[0:1], 0x8
	s_load_b64 s[4:5], s[0:1], 0x18
	s_waitcnt lgkmcnt(0)
	s_and_b32 s0, s6, 0xffff
	s_cmp_eq_u32 s8, 1
	v_mad_u64_u32 v[1:2], null, s15, s0, v[0:1]
	s_cselect_b32 s1, -1, 0
	s_cmp_eq_u32 s9, 1
	s_mul_i32 s6, s7, s0
	s_cselect_b32 s10, -1, 0
	s_delay_alu instid0(SALU_CYCLE_1) | instskip(NEXT) | instid1(VALU_DEP_1)
	s_and_b32 s1, s1, s10
	v_cmp_gt_i32_e64 s0, s12, v1
	s_and_b32 vcc_lo, exec_lo, s1
	s_mov_b32 s1, -1
	s_cbranch_vccnz .LBB83_6
; %bb.2:
	s_delay_alu instid0(VALU_DEP_1)
	s_and_saveexec_b32 s7, s0
	s_cbranch_execz .LBB83_5
; %bb.3:
	v_mad_i64_i32 v[2:3], null, s9, v1, 0
	v_mad_i64_i32 v[4:5], null, s8, v1, 0
	v_mov_b32_e32 v0, v1
	s_mul_hi_i32 s11, s9, s6
	s_mul_i32 s10, s9, s6
	s_mul_hi_i32 s15, s8, s6
	s_delay_alu instid0(VALU_DEP_3) | instskip(SKIP_1) | instid1(VALU_DEP_3)
	v_lshlrev_b64 v[2:3], 3, v[2:3]
	s_mul_i32 s14, s8, s6
	v_lshlrev_b64 v[4:5], 3, v[4:5]
	s_lshl_b64 s[8:9], s[10:11], 3
	s_lshl_b64 s[10:11], s[14:15], 3
	s_mov_b32 s13, 0
	v_add_co_u32 v2, vcc_lo, s4, v2
	v_add_co_ci_u32_e32 v3, vcc_lo, s5, v3, vcc_lo
	v_add_co_u32 v4, vcc_lo, s2, v4
	v_add_co_ci_u32_e32 v5, vcc_lo, s3, v5, vcc_lo
	.p2align	6
.LBB83_4:                               ; =>This Inner Loop Header: Depth=1
	global_load_b64 v[6:7], v[4:5], off
	global_load_b64 v[8:9], v[2:3], off
	v_add_nc_u32_e32 v0, s6, v0
	s_waitcnt vmcnt(1)
	global_store_b64 v[2:3], v[6:7], off
	s_waitcnt vmcnt(0)
	global_store_b64 v[4:5], v[8:9], off
	v_add_co_u32 v2, s1, v2, s8
	s_delay_alu instid0(VALU_DEP_1) | instskip(SKIP_2) | instid1(VALU_DEP_1)
	v_add_co_ci_u32_e64 v3, s1, s9, v3, s1
	v_cmp_le_i32_e32 vcc_lo, s12, v0
	v_add_co_u32 v4, s1, v4, s10
	v_add_co_ci_u32_e64 v5, s1, s11, v5, s1
	s_or_b32 s13, vcc_lo, s13
	s_delay_alu instid0(SALU_CYCLE_1)
	s_and_not1_b32 exec_lo, exec_lo, s13
	s_cbranch_execnz .LBB83_4
.LBB83_5:
	s_or_b32 exec_lo, exec_lo, s7
	s_mov_b32 s1, 0
.LBB83_6:
	s_delay_alu instid0(SALU_CYCLE_1)
	s_and_not1_b32 vcc_lo, exec_lo, s1
	s_cbranch_vccnz .LBB83_10
; %bb.7:
	s_and_saveexec_b32 s1, s0
	s_cbranch_execz .LBB83_10
; %bb.8:
	v_ashrrev_i32_e32 v2, 31, v1
	s_ashr_i32 s7, s6, 31
	s_mov_b32 s1, 0
	s_lshl_b64 s[8:9], s[6:7], 3
	s_delay_alu instid0(VALU_DEP_1)
	v_lshlrev_b64 v[2:3], 3, v[1:2]
	.p2align	6
.LBB83_9:                               ; =>This Inner Loop Header: Depth=1
	s_delay_alu instid0(VALU_DEP_1) | instskip(NEXT) | instid1(VALU_DEP_2)
	v_add_co_u32 v4, vcc_lo, s2, v2
	v_add_co_ci_u32_e32 v5, vcc_lo, s3, v3, vcc_lo
	v_add_co_u32 v6, vcc_lo, s4, v2
	v_add_co_ci_u32_e32 v7, vcc_lo, s5, v3, vcc_lo
	v_add_nc_u32_e32 v1, s6, v1
	global_load_b64 v[8:9], v[4:5], off
	global_load_b64 v[10:11], v[6:7], off
	v_add_co_u32 v2, s0, v2, s8
	v_cmp_le_i32_e32 vcc_lo, s12, v1
	v_add_co_ci_u32_e64 v3, s0, s9, v3, s0
	s_waitcnt vmcnt(1)
	global_store_b64 v[6:7], v[8:9], off
	s_waitcnt vmcnt(0)
	global_store_b64 v[4:5], v[10:11], off
	s_or_b32 s1, vcc_lo, s1
	s_delay_alu instid0(SALU_CYCLE_1)
	s_and_not1_b32 exec_lo, exec_lo, s1
	s_cbranch_execnz .LBB83_9
.LBB83_10:
	s_nop 0
	s_sendmsg sendmsg(MSG_DEALLOC_VGPRS)
	s_endpgm
	.section	.rodata,"a",@progbits
	.p2align	6, 0x0
	.amdhsa_kernel _ZN9rocsolver6v33100L11swap_kernelIdiEEvT0_PT_S2_S4_S2_
		.amdhsa_group_segment_fixed_size 0
		.amdhsa_private_segment_fixed_size 0
		.amdhsa_kernarg_size 296
		.amdhsa_user_sgpr_count 15
		.amdhsa_user_sgpr_dispatch_ptr 0
		.amdhsa_user_sgpr_queue_ptr 0
		.amdhsa_user_sgpr_kernarg_segment_ptr 1
		.amdhsa_user_sgpr_dispatch_id 0
		.amdhsa_user_sgpr_private_segment_size 0
		.amdhsa_wavefront_size32 1
		.amdhsa_uses_dynamic_stack 0
		.amdhsa_enable_private_segment 0
		.amdhsa_system_sgpr_workgroup_id_x 1
		.amdhsa_system_sgpr_workgroup_id_y 0
		.amdhsa_system_sgpr_workgroup_id_z 0
		.amdhsa_system_sgpr_workgroup_info 0
		.amdhsa_system_vgpr_workitem_id 0
		.amdhsa_next_free_vgpr 12
		.amdhsa_next_free_sgpr 16
		.amdhsa_reserve_vcc 1
		.amdhsa_float_round_mode_32 0
		.amdhsa_float_round_mode_16_64 0
		.amdhsa_float_denorm_mode_32 3
		.amdhsa_float_denorm_mode_16_64 3
		.amdhsa_dx10_clamp 1
		.amdhsa_ieee_mode 1
		.amdhsa_fp16_overflow 0
		.amdhsa_workgroup_processor_mode 1
		.amdhsa_memory_ordered 1
		.amdhsa_forward_progress 0
		.amdhsa_shared_vgpr_count 0
		.amdhsa_exception_fp_ieee_invalid_op 0
		.amdhsa_exception_fp_denorm_src 0
		.amdhsa_exception_fp_ieee_div_zero 0
		.amdhsa_exception_fp_ieee_overflow 0
		.amdhsa_exception_fp_ieee_underflow 0
		.amdhsa_exception_fp_ieee_inexact 0
		.amdhsa_exception_int_div_zero 0
	.end_amdhsa_kernel
	.section	.text._ZN9rocsolver6v33100L11swap_kernelIdiEEvT0_PT_S2_S4_S2_,"axG",@progbits,_ZN9rocsolver6v33100L11swap_kernelIdiEEvT0_PT_S2_S4_S2_,comdat
.Lfunc_end83:
	.size	_ZN9rocsolver6v33100L11swap_kernelIdiEEvT0_PT_S2_S4_S2_, .Lfunc_end83-_ZN9rocsolver6v33100L11swap_kernelIdiEEvT0_PT_S2_S4_S2_
                                        ; -- End function
	.section	.AMDGPU.csdata,"",@progbits
; Kernel info:
; codeLenInByte = 520
; NumSgprs: 18
; NumVgprs: 12
; ScratchSize: 0
; MemoryBound: 0
; FloatMode: 240
; IeeeMode: 1
; LDSByteSize: 0 bytes/workgroup (compile time only)
; SGPRBlocks: 2
; VGPRBlocks: 1
; NumSGPRsForWavesPerEU: 18
; NumVGPRsForWavesPerEU: 12
; Occupancy: 16
; WaveLimiterHint : 0
; COMPUTE_PGM_RSRC2:SCRATCH_EN: 0
; COMPUTE_PGM_RSRC2:USER_SGPR: 15
; COMPUTE_PGM_RSRC2:TRAP_HANDLER: 0
; COMPUTE_PGM_RSRC2:TGID_X_EN: 1
; COMPUTE_PGM_RSRC2:TGID_Y_EN: 0
; COMPUTE_PGM_RSRC2:TGID_Z_EN: 0
; COMPUTE_PGM_RSRC2:TIDIG_COMP_CNT: 0
	.text
	.p2align	2                               ; -- Begin function _ZN9rocsolver6v331009run_steqrIddEEviiiPT0_S3_PT_iPiS3_iS2_S2_S2_b
	.type	_ZN9rocsolver6v331009run_steqrIddEEviiiPT0_S3_PT_iPiS3_iS2_S2_S2_b,@function
_ZN9rocsolver6v331009run_steqrIddEEviiiPT0_S3_PT_iPiS3_iS2_S2_S2_b: ; @_ZN9rocsolver6v331009run_steqrIddEEviiiPT0_S3_PT_iPiS3_iS2_S2_S2_b
; %bb.0:
	s_waitcnt vmcnt(0) expcnt(0) lgkmcnt(0)
	v_dual_mov_b32 v23, v3 :: v_dual_mov_b32 v26, v1
	v_and_b32_e32 v1, 1, v21
	v_dual_mov_b32 v25, v11 :: v_dual_mov_b32 v24, v10
	v_cmp_eq_u32_e64 s2, 0, v0
	v_cmp_ne_u32_e64 s0, 0, v0
	s_delay_alu instid0(VALU_DEP_4) | instskip(SKIP_4) | instid1(SALU_CYCLE_1)
	v_cmp_eq_u32_e64 s1, 1, v1
	s_mov_b32 s4, s15
	s_mul_hi_i32 s3, s15, 36
	s_mul_i32 s6, s15, 36
                                        ; implicit-def: $sgpr9
                                        ; implicit-def: $sgpr8
	s_and_saveexec_b32 s5, s0
	s_xor_b32 s7, exec_lo, s5
; %bb.1:
	s_getpc_b64 s[8:9]
	s_add_u32 s8, s8, llvm.amdgcn.lds.offset.table@rel32@lo+16
	s_addc_u32 s9, s9, llvm.amdgcn.lds.offset.table@rel32@hi+24
	s_ashr_i32 s5, s4, 31
	s_add_u32 s8, s6, s8
	s_addc_u32 s9, s3, s9
	s_getpc_b64 s[10:11]
	s_add_u32 s10, s10, llvm.amdgcn.lds.offset.table@rel32@lo+32
	s_addc_u32 s11, s11, llvm.amdgcn.lds.offset.table@rel32@hi+40
	s_add_u32 s10, s6, s10
	s_addc_u32 s11, s3, s11
	s_clause 0x1
	s_load_b32 s8, s[8:9], 0x0
	s_load_b32 s9, s[10:11], 0x0
; %bb.2:
	s_or_saveexec_b32 s7, s7
	s_waitcnt lgkmcnt(0)
	v_dual_mov_b32 v130, s9 :: v_dual_mov_b32 v131, s8
	v_dual_mov_b32 v11, s5 :: v_dual_mov_b32 v10, s4
	s_xor_b32 exec_lo, exec_lo, s7
	s_cbranch_execz .LBB84_4
; %bb.3:
	s_getpc_b64 s[8:9]
	s_add_u32 s8, s8, llvm.amdgcn.lds.offset.table@rel32@lo+16
	s_addc_u32 s9, s9, llvm.amdgcn.lds.offset.table@rel32@hi+24
	s_ashr_i32 s5, s4, 31
	s_add_u32 s8, s6, s8
	s_addc_u32 s9, s3, s9
	s_getpc_b64 s[10:11]
	s_add_u32 s10, s10, llvm.amdgcn.lds.offset.table@rel32@lo+32
	s_addc_u32 s11, s11, llvm.amdgcn.lds.offset.table@rel32@hi+40
	s_add_u32 s10, s6, s10
	s_addc_u32 s11, s3, s11
	s_clause 0x1
	s_load_b32 s3, s[8:9], 0x0
	s_load_b32 s6, s[10:11], 0x0
	v_mov_b32_e32 v11, s5
	v_dual_mov_b32 v1, 0 :: v_dual_mov_b32 v10, s4
	s_waitcnt lgkmcnt(0)
	v_dual_mov_b32 v3, s3 :: v_dual_mov_b32 v130, s6
	v_mov_b32_e32 v131, s3
	v_mov_b32_e32 v21, s6
	ds_store_b32 v3, v1
	ds_store_b32 v21, v1
.LBB84_4:
	s_or_b32 exec_lo, exec_lo, s7
	s_getpc_b64 s[4:5]
	s_add_u32 s4, s4, llvm.amdgcn.lds.offset.table@rel32@lo+4
	s_addc_u32 s5, s5, llvm.amdgcn.lds.offset.table@rel32@hi+12
	s_waitcnt lgkmcnt(0)
	s_waitcnt_vscnt null, 0x0
	s_barrier
	buffer_gl0_inv
	ds_load_b32 v28, v131
	ds_load_b32 v3, v130
	v_mad_u64_u32 v[21:22], null, v10, 36, s[4:5]
	v_ashrrev_i32_e32 v27, 31, v26
	s_delay_alu instid0(VALU_DEP_2) | instskip(NEXT) | instid1(VALU_DEP_1)
	v_dual_mov_b32 v1, v22 :: v_dual_add_nc_u32 v32, -1, v2
	v_mad_u64_u32 v[29:30], null, v11, 36, v[1:2]
	v_ashrrev_i32_e32 v1, 31, v0
	s_waitcnt lgkmcnt(1)
	v_cmp_lt_i32_e32 vcc_lo, v28, v2
	s_waitcnt lgkmcnt(0)
	v_cmp_lt_i32_e64 s3, v3, v14
	s_delay_alu instid0(VALU_DEP_4) | instskip(NEXT) | instid1(VALU_DEP_2)
	v_mov_b32_e32 v22, v29
	s_and_b32 s3, vcc_lo, s3
	s_delay_alu instid0(SALU_CYCLE_1)
	s_and_saveexec_b32 s7, s3
	s_cbranch_execz .LBB84_242
; %bb.5:
	v_mul_f64 v[34:35], v[15:16], v[15:16]
	v_add_co_u32 v11, vcc_lo, v5, -8
	v_add_co_ci_u32_e32 v132, vcc_lo, -1, v6, vcc_lo
	v_add_co_u32 v133, vcc_lo, v12, -8
	v_ashrrev_i32_e32 v10, 31, v9
	v_lshlrev_b64 v[29:30], 3, v[0:1]
	v_add_co_ci_u32_e32 v134, vcc_lo, -1, v13, vcc_lo
	v_ashrrev_i32_e32 v3, 31, v2
	v_add_co_u32 v135, vcc_lo, v23, -8
	v_add_co_ci_u32_e32 v144, vcc_lo, -1, v4, vcc_lo
	v_lshlrev_b64 v[48:49], 3, v[9:10]
	v_add_co_u32 v145, vcc_lo, v7, v29
	v_add_co_ci_u32_e32 v146, vcc_lo, v8, v30, vcc_lo
	v_lshlrev_b64 v[29:30], 3, v[2:3]
	v_ashrrev_i32_e32 v33, 31, v32
	v_sub_co_u32 v3, vcc_lo, 0, v48
	v_sub_co_ci_u32_e32 v147, vcc_lo, 0, v49, vcc_lo
	s_delay_alu instid0(VALU_DEP_4)
	v_add_co_u32 v148, vcc_lo, v29, -8
	v_lshlrev_b64 v[36:37], 3, v[26:27]
	v_lshlrev_b64 v[38:39], 3, v[32:33]
	v_cmp_lt_i32_e64 s3, v0, v2
	v_add_co_ci_u32_e32 v149, vcc_lo, -1, v30, vcc_lo
	v_mov_b32_e32 v50, 0
	v_mov_b32_e32 v150, v130
	s_mov_b32 s8, 0x667f3bcd
	s_mov_b32 s9, 0x3ff6a09e
	;; [unrolled: 1-line block ×3, first 2 shown]
                                        ; implicit-def: $vgpr80_vgpr81
                                        ; implicit-def: $vgpr70_vgpr71
                                        ; implicit-def: $vgpr64_vgpr65
                                        ; implicit-def: $vgpr151
                                        ; implicit-def: $vgpr66_vgpr67
                                        ; implicit-def: $vgpr52_vgpr53
                                        ; implicit-def: $vgpr160
                                        ; implicit-def: $vgpr68_vgpr69
                                        ; implicit-def: $vgpr54_vgpr55
	s_branch .LBB84_8
.LBB84_6:                               ;   in Loop: Header=BB84_8 Depth=1
	s_or_b32 exec_lo, exec_lo, s5
	v_mov_b32_e32 v30, v150
	v_mov_b32_e32 v31, v150
	s_waitcnt lgkmcnt(0)
	s_waitcnt_vscnt null, 0x0
	s_barrier
	buffer_gl0_inv
.LBB84_7:                               ;   in Loop: Header=BB84_8 Depth=1
	s_or_b32 exec_lo, exec_lo, s11
	ds_load_b32 v28, v131
	ds_load_b32 v29, v31
	v_mov_b32_e32 v150, v30
	s_waitcnt lgkmcnt(1)
	v_cmp_ge_i32_e32 vcc_lo, v28, v2
	s_waitcnt lgkmcnt(0)
	v_cmp_ge_i32_e64 s4, v29, v14
	s_delay_alu instid0(VALU_DEP_1) | instskip(NEXT) | instid1(SALU_CYCLE_1)
	s_or_b32 s4, vcc_lo, s4
	s_and_b32 s4, exec_lo, s4
	s_delay_alu instid0(SALU_CYCLE_1) | instskip(NEXT) | instid1(SALU_CYCLE_1)
	s_or_b32 s10, s4, s10
	s_and_not1_b32 exec_lo, exec_lo, s10
	s_cbranch_execz .LBB84_242
.LBB84_8:                               ; =>This Loop Header: Depth=1
                                        ;     Child Loop BB84_133 Depth 2
                                        ;     Child Loop BB84_23 Depth 2
	;; [unrolled: 1-line block ×5, first 2 shown]
                                        ;       Child Loop BB84_84 Depth 3
                                        ;       Child Loop BB84_69 Depth 3
	;; [unrolled: 1-line block ×3, first 2 shown]
                                        ;         Child Loop BB84_128 Depth 4
                                        ;     Child Loop BB84_144 Depth 2
                                        ;       Child Loop BB84_181 Depth 3
                                        ;       Child Loop BB84_166 Depth 3
                                        ;       Child Loop BB84_223 Depth 3
                                        ;         Child Loop BB84_225 Depth 4
                                        ;     Child Loop BB84_235 Depth 2
                                        ;     Child Loop BB84_241 Depth 2
                                        ; implicit-def: $vgpr87
                                        ; implicit-def: $vgpr82
	s_and_saveexec_b32 s4, s0
	s_delay_alu instid0(SALU_CYCLE_1)
	s_xor_b32 s4, exec_lo, s4
; %bb.9:                                ;   in Loop: Header=BB84_8 Depth=1
	s_clause 0x1
	global_load_b64 v[82:83], v[21:22], off offset:20
	global_load_b32 v87, v[21:22], off
                                        ; implicit-def: $vgpr28
; %bb.10:                               ;   in Loop: Header=BB84_8 Depth=1
	s_and_not1_saveexec_b32 s5, s4
	s_cbranch_execz .LBB84_26
; %bb.11:                               ;   in Loop: Header=BB84_8 Depth=1
	s_mov_b32 s4, exec_lo
	v_cmpx_lt_i32_e32 0, v28
	s_cbranch_execz .LBB84_13
; %bb.12:                               ;   in Loop: Header=BB84_8 Depth=1
	v_mov_b32_e32 v29, v50
	v_mov_b32_e32 v51, v50
	s_delay_alu instid0(VALU_DEP_2) | instskip(NEXT) | instid1(VALU_DEP_1)
	v_lshlrev_b64 v[29:30], 3, v[28:29]
	v_add_co_u32 v29, vcc_lo, v11, v29
	s_delay_alu instid0(VALU_DEP_2)
	v_add_co_ci_u32_e32 v30, vcc_lo, v132, v30, vcc_lo
	flat_store_b64 v[29:30], v[50:51]
.LBB84_13:                              ;   in Loop: Header=BB84_8 Depth=1
	s_or_b32 exec_lo, exec_lo, s4
	v_ashrrev_i32_e32 v29, 31, v28
	s_mov_b32 s4, 0
	s_mov_b32 s6, 0
	s_mov_b32 s11, exec_lo
                                        ; implicit-def: $vgpr30_vgpr31
	v_cmpx_ge_i32_e64 v28, v32
	s_xor_b32 s11, exec_lo, s11
; %bb.14:                               ;   in Loop: Header=BB84_8 Depth=1
	v_dual_mov_b32 v31, v29 :: v_dual_mov_b32 v30, v28
	s_mov_b32 s6, exec_lo
; %bb.15:                               ;   in Loop: Header=BB84_8 Depth=1
	s_or_saveexec_b32 s11, s11
	s_waitcnt vmcnt(1)
	s_delay_alu instid0(VALU_DEP_1)
	v_dual_mov_b32 v98, v28 :: v_dual_mov_b32 v83, v31
	v_mov_b32_e32 v82, v30
	s_xor_b32 exec_lo, exec_lo, s11
	s_cbranch_execnz .LBB84_131
; %bb.16:                               ;   in Loop: Header=BB84_8 Depth=1
	s_or_b32 exec_lo, exec_lo, s11
	s_and_saveexec_b32 s11, s6
	s_cbranch_execnz .LBB84_136
.LBB84_17:                              ;   in Loop: Header=BB84_8 Depth=1
	s_or_b32 exec_lo, exec_lo, s11
	s_and_saveexec_b32 s6, s4
	s_cbranch_execz .LBB84_19
.LBB84_18:                              ;   in Loop: Header=BB84_8 Depth=1
	global_load_b32 v29, v[21:22], off offset:4
	v_dual_mov_b32 v83, v65 :: v_dual_mov_b32 v30, v80
	v_dual_mov_b32 v51, v50 :: v_dual_mov_b32 v82, v64
	;; [unrolled: 1-line block ×3, first 2 shown]
	flat_store_b64 v[70:71], v[50:51]
	s_waitcnt vmcnt(0)
	ds_store_b32 v29, v80
.LBB84_19:                              ;   in Loop: Header=BB84_8 Depth=1
	s_or_b32 exec_lo, exec_lo, s6
	v_lshlrev_b64 v[29:30], 3, v[30:31]
	v_lshlrev_b64 v[96:97], 3, v[82:83]
	s_mov_b32 s4, exec_lo
	v_add_nc_u32_e32 v51, 1, v98
	s_delay_alu instid0(VALU_DEP_3) | instskip(NEXT) | instid1(VALU_DEP_4)
	v_add_co_u32 v29, vcc_lo, v23, v29
	v_add_co_ci_u32_e32 v30, vcc_lo, v4, v30, vcc_lo
	s_delay_alu instid0(VALU_DEP_4)
	v_add_co_u32 v85, vcc_lo, v23, v96
	v_add_co_ci_u32_e32 v86, vcc_lo, v4, v97, vcc_lo
	s_clause 0x1
	flat_load_b64 v[29:30], v[29:30]
	flat_load_b64 v[99:100], v[85:86]
	s_clause 0x2
	global_load_b32 v87, v[21:22], off
	global_load_b64 v[83:84], v[21:22], off offset:16
	global_load_b32 v31, v[21:22], off offset:32
	s_waitcnt vmcnt(2)
	ds_store_b32 v87, v28
	s_waitcnt vmcnt(1)
	ds_store_b32 v83, v28
	ds_store_b32 v84, v98
	s_waitcnt vmcnt(0)
	ds_store_b32 v31, v98
	ds_store_b32 v131, v51
	s_waitcnt lgkmcnt(5)
	v_cmpx_lt_f64_e64 |v[29:30]|, |v[99:100]|
	s_cbranch_execz .LBB84_21
; %bb.20:                               ;   in Loop: Header=BB84_8 Depth=1
	ds_store_b32 v84, v28
	ds_store_b32 v87, v98
.LBB84_21:                              ;   in Loop: Header=BB84_8 Depth=1
	s_or_b32 exec_lo, exec_lo, s4
	v_and_b32_e32 v30, 0x7fffffff, v30
	s_mov_b32 s6, exec_lo
	v_cmpx_lt_i32_e64 v28, v98
	s_cbranch_execz .LBB84_25
; %bb.22:                               ;   in Loop: Header=BB84_8 Depth=1
	v_add_co_u32 v82, vcc_lo, v5, v96
	v_add_co_ci_u32_e32 v83, vcc_lo, v6, v97, vcc_lo
	s_mov_b32 s11, 0
	.p2align	6
.LBB84_23:                              ;   Parent Loop BB84_8 Depth=1
                                        ; =>  This Inner Loop Header: Depth=2
	flat_load_b64 v[96:97], v[82:83]
	flat_load_b64 v[99:100], v[85:86]
	v_max_f64 v[29:30], v[29:30], v[29:30]
	v_add_nc_u32_e32 v28, 1, v28
	v_add_co_u32 v82, vcc_lo, v82, 8
	v_add_co_ci_u32_e32 v83, vcc_lo, 0, v83, vcc_lo
	s_delay_alu instid0(VALU_DEP_3) | instskip(SKIP_1) | instid1(VALU_DEP_1)
	v_cmp_ge_i32_e32 vcc_lo, v28, v98
	v_add_co_u32 v85, s4, v85, 8
	v_add_co_ci_u32_e64 v86, s4, 0, v86, s4
	s_or_b32 s11, vcc_lo, s11
	s_waitcnt vmcnt(1) lgkmcnt(1)
	v_max_f64 v[96:97], |v[96:97]|, |v[96:97]|
	s_waitcnt vmcnt(0) lgkmcnt(0)
	v_max_f64 v[99:100], |v[99:100]|, |v[99:100]|
	s_delay_alu instid0(VALU_DEP_1) | instskip(NEXT) | instid1(VALU_DEP_1)
	v_max_f64 v[96:97], v[99:100], v[96:97]
	v_max_f64 v[29:30], v[29:30], v[96:97]
	s_and_not1_b32 exec_lo, exec_lo, s11
	s_cbranch_execnz .LBB84_23
; %bb.24:                               ;   in Loop: Header=BB84_8 Depth=1
	s_or_b32 exec_lo, exec_lo, s11
.LBB84_25:                              ;   in Loop: Header=BB84_8 Depth=1
	s_delay_alu instid0(SALU_CYCLE_1)
	s_or_b32 exec_lo, exec_lo, s6
	global_load_b32 v83, v[21:22], off offset:24
	v_mov_b32_e32 v82, v84
	s_waitcnt vmcnt(0)
	ds_store_b64 v83, v[29:30]
.LBB84_26:                              ;   in Loop: Header=BB84_8 Depth=1
	s_or_b32 exec_lo, exec_lo, s5
	s_waitcnt vmcnt(0) lgkmcnt(0)
	s_waitcnt_vscnt null, 0x0
	s_barrier
	buffer_gl0_inv
	ds_load_b64 v[28:29], v83
	ds_load_b32 v30, v82
	ds_load_b32 v31, v87
	s_waitcnt lgkmcnt(2)
	v_cmp_neq_f64_e32 vcc_lo, 0, v[28:29]
	s_waitcnt lgkmcnt(0)
	v_cmp_ne_u32_e64 s4, v30, v31
	v_mov_b32_e32 v30, v130
	v_mov_b32_e32 v31, v130
	s_delay_alu instid0(VALU_DEP_3) | instskip(NEXT) | instid1(SALU_CYCLE_1)
	s_and_b32 s4, s4, vcc_lo
	s_and_saveexec_b32 s11, s4
	s_cbranch_execz .LBB84_7
; %bb.27:                               ;   in Loop: Header=BB84_8 Depth=1
	s_mov_b32 s4, exec_lo
	v_cmpx_ngt_f64_e32 v[28:29], v[19:20]
	s_xor_b32 s5, exec_lo, s4
	s_cbranch_execz .LBB84_35
; %bb.28:                               ;   in Loop: Header=BB84_8 Depth=1
	s_mov_b32 s6, exec_lo
	v_cmpx_lt_f64_e32 v[28:29], v[17:18]
	s_cbranch_execz .LBB84_34
; %bb.29:                               ;   in Loop: Header=BB84_8 Depth=1
	v_div_scale_f64 v[30:31], null, v[17:18], v[17:18], v[28:29]
	s_clause 0x1
	global_load_b32 v51, v[21:22], off offset:16
	global_load_b32 v86, v[21:22], off offset:32
	v_rcp_f64_e32 v[84:85], v[30:31]
	s_waitcnt_depctr 0xfff
	v_fma_f64 v[96:97], -v[30:31], v[84:85], 1.0
	s_delay_alu instid0(VALU_DEP_1) | instskip(NEXT) | instid1(VALU_DEP_1)
	v_fma_f64 v[84:85], v[84:85], v[96:97], v[84:85]
	v_fma_f64 v[96:97], -v[30:31], v[84:85], 1.0
	s_delay_alu instid0(VALU_DEP_1) | instskip(SKIP_1) | instid1(VALU_DEP_1)
	v_fma_f64 v[84:85], v[84:85], v[96:97], v[84:85]
	v_div_scale_f64 v[96:97], vcc_lo, v[28:29], v[17:18], v[28:29]
	v_mul_f64 v[98:99], v[96:97], v[84:85]
	s_delay_alu instid0(VALU_DEP_1) | instskip(NEXT) | instid1(VALU_DEP_1)
	v_fma_f64 v[30:31], -v[30:31], v[98:99], v[96:97]
	v_div_fmas_f64 v[30:31], v[30:31], v[84:85], v[98:99]
	s_delay_alu instid0(VALU_DEP_1)
	v_div_fixup_f64 v[28:29], v[30:31], v[17:18], v[28:29]
	s_waitcnt vmcnt(1)
	ds_load_b32 v51, v51
	s_waitcnt vmcnt(0)
	ds_load_b32 v30, v86
	s_and_saveexec_b32 s4, s2
	s_cbranch_execz .LBB84_31
; %bb.30:                               ;   in Loop: Header=BB84_8 Depth=1
	s_waitcnt lgkmcnt(0)
	v_ashrrev_i32_e32 v31, 31, v30
	s_delay_alu instid0(VALU_DEP_1) | instskip(NEXT) | instid1(VALU_DEP_1)
	v_lshlrev_b64 v[84:85], 3, v[30:31]
	v_add_co_u32 v84, vcc_lo, v23, v84
	s_delay_alu instid0(VALU_DEP_2)
	v_add_co_ci_u32_e32 v85, vcc_lo, v4, v85, vcc_lo
	flat_load_b64 v[96:97], v[84:85]
	s_waitcnt vmcnt(0) lgkmcnt(0)
	v_mul_f64 v[96:97], v[28:29], v[96:97]
	flat_store_b64 v[84:85], v[96:97]
.LBB84_31:                              ;   in Loop: Header=BB84_8 Depth=1
	s_or_b32 exec_lo, exec_lo, s4
	s_waitcnt lgkmcnt(1)
	v_add_nc_u32_e32 v84, v51, v0
	s_waitcnt lgkmcnt(0)
	s_delay_alu instid0(VALU_DEP_1)
	v_cmp_lt_i32_e32 vcc_lo, v84, v30
	s_and_b32 exec_lo, exec_lo, vcc_lo
	s_cbranch_execz .LBB84_34
; %bb.32:                               ;   in Loop: Header=BB84_8 Depth=1
	v_ashrrev_i32_e32 v85, 31, v84
	s_mov_b32 s12, 0
	s_delay_alu instid0(VALU_DEP_1)
	v_lshlrev_b64 v[85:86], 3, v[84:85]
	.p2align	6
.LBB84_33:                              ;   Parent Loop BB84_8 Depth=1
                                        ; =>  This Inner Loop Header: Depth=2
	s_delay_alu instid0(VALU_DEP_1) | instskip(NEXT) | instid1(VALU_DEP_2)
	v_add_co_u32 v96, vcc_lo, v23, v85
	v_add_co_ci_u32_e32 v97, vcc_lo, v4, v86, vcc_lo
	v_add_co_u32 v100, vcc_lo, v5, v85
	v_add_co_ci_u32_e32 v101, vcc_lo, v6, v86, vcc_lo
	flat_load_b64 v[98:99], v[96:97]
	v_add_nc_u32_e32 v84, v84, v26
	v_add_co_u32 v85, s4, v85, v36
	s_delay_alu instid0(VALU_DEP_1) | instskip(NEXT) | instid1(VALU_DEP_3)
	v_add_co_ci_u32_e64 v86, s4, v86, v37, s4
	v_cmp_ge_i32_e32 vcc_lo, v84, v30
	s_or_b32 s12, vcc_lo, s12
	s_waitcnt vmcnt(0) lgkmcnt(0)
	v_mul_f64 v[98:99], v[28:29], v[98:99]
	flat_store_b64 v[96:97], v[98:99]
	flat_load_b64 v[96:97], v[100:101]
	s_waitcnt vmcnt(0) lgkmcnt(0)
	v_mul_f64 v[96:97], v[28:29], v[96:97]
	flat_store_b64 v[100:101], v[96:97]
	s_and_not1_b32 exec_lo, exec_lo, s12
	s_cbranch_execnz .LBB84_33
.LBB84_34:                              ;   in Loop: Header=BB84_8 Depth=1
	s_or_b32 exec_lo, exec_lo, s6
                                        ; implicit-def: $vgpr28_vgpr29
.LBB84_35:                              ;   in Loop: Header=BB84_8 Depth=1
	s_and_not1_saveexec_b32 s5, s5
	s_cbranch_execz .LBB84_42
; %bb.36:                               ;   in Loop: Header=BB84_8 Depth=1
	v_div_scale_f64 v[30:31], null, v[19:20], v[19:20], v[28:29]
	s_clause 0x1
	global_load_b32 v51, v[21:22], off offset:16
	global_load_b32 v86, v[21:22], off offset:32
	v_rcp_f64_e32 v[84:85], v[30:31]
	s_waitcnt_depctr 0xfff
	v_fma_f64 v[96:97], -v[30:31], v[84:85], 1.0
	s_delay_alu instid0(VALU_DEP_1) | instskip(NEXT) | instid1(VALU_DEP_1)
	v_fma_f64 v[84:85], v[84:85], v[96:97], v[84:85]
	v_fma_f64 v[96:97], -v[30:31], v[84:85], 1.0
	s_delay_alu instid0(VALU_DEP_1) | instskip(SKIP_1) | instid1(VALU_DEP_1)
	v_fma_f64 v[84:85], v[84:85], v[96:97], v[84:85]
	v_div_scale_f64 v[96:97], vcc_lo, v[28:29], v[19:20], v[28:29]
	v_mul_f64 v[98:99], v[96:97], v[84:85]
	s_delay_alu instid0(VALU_DEP_1) | instskip(NEXT) | instid1(VALU_DEP_1)
	v_fma_f64 v[30:31], -v[30:31], v[98:99], v[96:97]
	v_div_fmas_f64 v[30:31], v[30:31], v[84:85], v[98:99]
	s_delay_alu instid0(VALU_DEP_1)
	v_div_fixup_f64 v[28:29], v[30:31], v[19:20], v[28:29]
	s_waitcnt vmcnt(1)
	ds_load_b32 v51, v51
	s_waitcnt vmcnt(0)
	ds_load_b32 v30, v86
	s_and_saveexec_b32 s4, s2
	s_cbranch_execz .LBB84_38
; %bb.37:                               ;   in Loop: Header=BB84_8 Depth=1
	s_waitcnt lgkmcnt(0)
	v_ashrrev_i32_e32 v31, 31, v30
	s_delay_alu instid0(VALU_DEP_1) | instskip(NEXT) | instid1(VALU_DEP_1)
	v_lshlrev_b64 v[84:85], 3, v[30:31]
	v_add_co_u32 v84, vcc_lo, v23, v84
	s_delay_alu instid0(VALU_DEP_2)
	v_add_co_ci_u32_e32 v85, vcc_lo, v4, v85, vcc_lo
	flat_load_b64 v[96:97], v[84:85]
	s_waitcnt vmcnt(0) lgkmcnt(0)
	v_mul_f64 v[96:97], v[28:29], v[96:97]
	flat_store_b64 v[84:85], v[96:97]
.LBB84_38:                              ;   in Loop: Header=BB84_8 Depth=1
	s_or_b32 exec_lo, exec_lo, s4
	s_waitcnt lgkmcnt(1)
	v_add_nc_u32_e32 v84, v51, v0
	s_mov_b32 s6, exec_lo
	s_waitcnt lgkmcnt(0)
	s_delay_alu instid0(VALU_DEP_1)
	v_cmpx_lt_i32_e64 v84, v30
	s_cbranch_execz .LBB84_41
; %bb.39:                               ;   in Loop: Header=BB84_8 Depth=1
	v_ashrrev_i32_e32 v85, 31, v84
	s_mov_b32 s12, 0
	s_delay_alu instid0(VALU_DEP_1)
	v_lshlrev_b64 v[85:86], 3, v[84:85]
	.p2align	6
.LBB84_40:                              ;   Parent Loop BB84_8 Depth=1
                                        ; =>  This Inner Loop Header: Depth=2
	s_delay_alu instid0(VALU_DEP_1) | instskip(NEXT) | instid1(VALU_DEP_2)
	v_add_co_u32 v96, vcc_lo, v23, v85
	v_add_co_ci_u32_e32 v97, vcc_lo, v4, v86, vcc_lo
	v_add_co_u32 v100, vcc_lo, v5, v85
	v_add_co_ci_u32_e32 v101, vcc_lo, v6, v86, vcc_lo
	flat_load_b64 v[98:99], v[96:97]
	v_add_nc_u32_e32 v84, v84, v26
	v_add_co_u32 v85, s4, v85, v36
	s_delay_alu instid0(VALU_DEP_1) | instskip(NEXT) | instid1(VALU_DEP_3)
	v_add_co_ci_u32_e64 v86, s4, v86, v37, s4
	v_cmp_ge_i32_e32 vcc_lo, v84, v30
	s_or_b32 s12, vcc_lo, s12
	s_waitcnt vmcnt(0) lgkmcnt(0)
	v_mul_f64 v[98:99], v[28:29], v[98:99]
	flat_store_b64 v[96:97], v[98:99]
	flat_load_b64 v[96:97], v[100:101]
	s_waitcnt vmcnt(0) lgkmcnt(0)
	v_mul_f64 v[96:97], v[28:29], v[96:97]
	flat_store_b64 v[100:101], v[96:97]
	s_and_not1_b32 exec_lo, exec_lo, s12
	s_cbranch_execnz .LBB84_40
.LBB84_41:                              ;   in Loop: Header=BB84_8 Depth=1
	s_or_b32 exec_lo, exec_lo, s6
.LBB84_42:                              ;   in Loop: Header=BB84_8 Depth=1
	s_delay_alu instid0(SALU_CYCLE_1)
	s_or_b32 exec_lo, exec_lo, s5
	s_waitcnt lgkmcnt(0)
	s_waitcnt_vscnt null, 0x0
	s_barrier
	buffer_gl0_inv
	ds_load_b32 v51, v82
	ds_load_b32 v84, v87
	;; [unrolled: 1-line block ×3, first 2 shown]
	s_mov_b32 s5, exec_lo
	s_waitcnt lgkmcnt(0)
	v_cmp_lt_i32_e64 s4, v98, v14
	v_cmpx_ge_i32_e64 v51, v84
	s_xor_b32 s12, exec_lo, s5
	s_cbranch_execz .LBB84_139
; %bb.43:                               ;   in Loop: Header=BB84_8 Depth=1
	s_delay_alu instid0(VALU_DEP_2)
	s_and_saveexec_b32 s13, s4
	s_cbranch_execz .LBB84_138
; %bb.44:                               ;   in Loop: Header=BB84_8 Depth=1
	s_mov_b32 s14, 0
	s_branch .LBB84_47
.LBB84_45:                              ;   in Loop: Header=BB84_47 Depth=2
	s_or_b32 exec_lo, exec_lo, s16
	s_waitcnt lgkmcnt(0)
	s_waitcnt_vscnt null, 0x0
	s_barrier
	buffer_gl0_inv
	ds_load_b32 v84, v87
.LBB84_46:                              ;   in Loop: Header=BB84_47 Depth=2
	s_or_b32 exec_lo, exec_lo, s15
	ds_load_b32 v51, v82
	ds_load_b32 v98, v150
	s_waitcnt lgkmcnt(1)
	v_cmp_gt_i32_e32 vcc_lo, v84, v51
	s_waitcnt lgkmcnt(0)
	v_cmp_ge_i32_e64 s5, v98, v14
	s_delay_alu instid0(VALU_DEP_1) | instskip(NEXT) | instid1(SALU_CYCLE_1)
	s_or_b32 s5, vcc_lo, s5
	s_and_b32 s5, exec_lo, s5
	s_delay_alu instid0(SALU_CYCLE_1) | instskip(NEXT) | instid1(SALU_CYCLE_1)
	s_or_b32 s14, s5, s14
	s_and_not1_b32 exec_lo, exec_lo, s14
	s_cbranch_execz .LBB84_137
.LBB84_47:                              ;   Parent Loop BB84_8 Depth=1
                                        ; =>  This Loop Header: Depth=2
                                        ;       Child Loop BB84_84 Depth 3
                                        ;       Child Loop BB84_69 Depth 3
	;; [unrolled: 1-line block ×3, first 2 shown]
                                        ;         Child Loop BB84_128 Depth 4
                                        ; implicit-def: $vgpr161
	s_and_saveexec_b32 s5, s0
	s_delay_alu instid0(SALU_CYCLE_1)
	s_xor_b32 s5, exec_lo, s5
	s_cbranch_execz .LBB84_49
; %bb.48:                               ;   in Loop: Header=BB84_47 Depth=2
	global_load_b32 v161, v[21:22], off offset:4
                                        ; implicit-def: $vgpr84
                                        ; implicit-def: $vgpr51
                                        ; implicit-def: $vgpr98
.LBB84_49:                              ;   in Loop: Header=BB84_47 Depth=2
	s_and_not1_saveexec_b32 s6, s5
	s_cbranch_execz .LBB84_122
; %bb.50:                               ;   in Loop: Header=BB84_47 Depth=2
	v_ashrrev_i32_e32 v85, 31, v84
	s_mov_b32 s5, 0
	s_mov_b32 s15, 0
	s_mov_b32 s16, exec_lo
                                        ; implicit-def: $vgpr29_vgpr30
	v_cmpx_ge_i32_e64 v84, v51
	s_xor_b32 s16, exec_lo, s16
	s_cbranch_execnz .LBB84_81
; %bb.51:                               ;   in Loop: Header=BB84_47 Depth=2
	s_or_saveexec_b32 s16, s16
	v_mov_b32_e32 v28, v84
	s_xor_b32 exec_lo, exec_lo, s16
	s_cbranch_execnz .LBB84_82
.LBB84_52:                              ;   in Loop: Header=BB84_47 Depth=2
	s_or_b32 exec_lo, exec_lo, s16
                                        ; implicit-def: $vgpr161
	s_and_saveexec_b32 s16, s15
	s_cbranch_execnz .LBB84_87
.LBB84_53:                              ;   in Loop: Header=BB84_47 Depth=2
	s_or_b32 exec_lo, exec_lo, s16
	s_and_saveexec_b32 s15, s5
	s_cbranch_execz .LBB84_55
.LBB84_54:                              ;   in Loop: Header=BB84_47 Depth=2
	s_clause 0x1
	global_load_b32 v161, v[21:22], off offset:4
	global_load_b32 v31, v[21:22], off offset:16
	v_dual_mov_b32 v29, v54 :: v_dual_mov_b32 v28, v160
	v_dual_mov_b32 v51, v50 :: v_dual_mov_b32 v30, v55
	s_waitcnt vmcnt(1)
	ds_store_b32 v161, v160
	s_waitcnt vmcnt(0)
	ds_store_b32 v31, v84
	flat_store_b64 v[68:69], v[50:51]
.LBB84_55:                              ;   in Loop: Header=BB84_47 Depth=2
	s_or_b32 exec_lo, exec_lo, s15
	v_lshlrev_b64 v[96:97], 3, v[29:30]
	v_add_nc_u32_e32 v29, 1, v84
	s_mov_b32 s5, exec_lo
	s_delay_alu instid0(VALU_DEP_2) | instskip(NEXT) | instid1(VALU_DEP_3)
	v_add_co_u32 v85, vcc_lo, v23, v96
	v_add_co_ci_u32_e32 v86, vcc_lo, v4, v97, vcc_lo
	flat_load_b64 v[112:113], v[85:86]
	global_load_b32 v162, v[21:22], off offset:8
	s_waitcnt vmcnt(0) lgkmcnt(0)
	ds_store_b64 v162, v[112:113]
	v_cmpx_ne_u32_e64 v28, v84
	s_xor_b32 s15, exec_lo, s5
	s_cbranch_execz .LBB84_119
; %bb.56:                               ;   in Loop: Header=BB84_47 Depth=2
	s_mov_b32 s5, exec_lo
	v_cmpx_ne_u32_e64 v28, v29
	s_xor_b32 s16, exec_lo, s5
	s_cbranch_execz .LBB84_91
; %bb.57:                               ;   in Loop: Header=BB84_47 Depth=2
	v_add_co_u32 v30, vcc_lo, v5, v96
	v_add_co_ci_u32_e32 v31, vcc_lo, v6, v97, vcc_lo
	s_mov_b32 s17, exec_lo
	flat_load_b64 v[96:97], v[85:86] offset:8
	flat_load_b64 v[114:115], v[30:31]
	s_waitcnt vmcnt(1) lgkmcnt(1)
	v_add_f64 v[96:97], v[96:97], -v[112:113]
	s_waitcnt vmcnt(0) lgkmcnt(0)
	v_add_f64 v[99:100], v[114:115], v[114:115]
	s_delay_alu instid0(VALU_DEP_1) | instskip(SKIP_1) | instid1(VALU_DEP_2)
	v_div_scale_f64 v[101:102], null, v[99:100], v[99:100], v[96:97]
	v_div_scale_f64 v[128:129], vcc_lo, v[96:97], v[99:100], v[96:97]
	v_rcp_f64_e32 v[116:117], v[101:102]
	s_waitcnt_depctr 0xfff
	v_fma_f64 v[118:119], -v[101:102], v[116:117], 1.0
	s_delay_alu instid0(VALU_DEP_1) | instskip(NEXT) | instid1(VALU_DEP_1)
	v_fma_f64 v[116:117], v[116:117], v[118:119], v[116:117]
	v_fma_f64 v[118:119], -v[101:102], v[116:117], 1.0
	s_delay_alu instid0(VALU_DEP_1) | instskip(NEXT) | instid1(VALU_DEP_1)
	v_fma_f64 v[116:117], v[116:117], v[118:119], v[116:117]
	v_mul_f64 v[118:119], v[128:129], v[116:117]
	s_delay_alu instid0(VALU_DEP_1) | instskip(NEXT) | instid1(VALU_DEP_1)
	v_fma_f64 v[101:102], -v[101:102], v[118:119], v[128:129]
	v_div_fmas_f64 v[101:102], v[101:102], v[116:117], v[118:119]
	s_delay_alu instid0(VALU_DEP_1) | instskip(NEXT) | instid1(VALU_DEP_1)
	v_div_fixup_f64 v[96:97], v[101:102], v[99:100], v[96:97]
	v_fma_f64 v[99:100], v[96:97], v[96:97], 1.0
	s_delay_alu instid0(VALU_DEP_1) | instskip(SKIP_1) | instid1(VALU_DEP_1)
	v_cmp_gt_f64_e32 vcc_lo, 0x10000000, v[99:100]
	v_cndmask_b32_e64 v29, 0, 1, vcc_lo
	v_lshlrev_b32_e32 v29, 8, v29
	s_delay_alu instid0(VALU_DEP_1) | instskip(SKIP_1) | instid1(VALU_DEP_2)
	v_ldexp_f64 v[99:100], v[99:100], v29
	v_cndmask_b32_e64 v29, 0, 0xffffff80, vcc_lo
	v_rsq_f64_e32 v[101:102], v[99:100]
	v_cmp_class_f64_e64 vcc_lo, v[99:100], 0x260
	s_waitcnt_depctr 0xfff
	v_mul_f64 v[116:117], v[99:100], v[101:102]
	v_mul_f64 v[101:102], v[101:102], 0.5
	s_delay_alu instid0(VALU_DEP_1) | instskip(NEXT) | instid1(VALU_DEP_1)
	v_fma_f64 v[118:119], -v[101:102], v[116:117], 0.5
	v_fma_f64 v[116:117], v[116:117], v[118:119], v[116:117]
	v_fma_f64 v[101:102], v[101:102], v[118:119], v[101:102]
	s_delay_alu instid0(VALU_DEP_2) | instskip(NEXT) | instid1(VALU_DEP_1)
	v_fma_f64 v[118:119], -v[116:117], v[116:117], v[99:100]
	v_fma_f64 v[116:117], v[118:119], v[101:102], v[116:117]
	s_delay_alu instid0(VALU_DEP_1) | instskip(NEXT) | instid1(VALU_DEP_1)
	v_fma_f64 v[118:119], -v[116:117], v[116:117], v[99:100]
	v_fma_f64 v[101:102], v[118:119], v[101:102], v[116:117]
	s_delay_alu instid0(VALU_DEP_1) | instskip(NEXT) | instid1(VALU_DEP_1)
	v_ldexp_f64 v[101:102], v[101:102], v29
	v_cndmask_b32_e32 v29, v102, v100, vcc_lo
	s_delay_alu instid0(VALU_DEP_1) | instskip(SKIP_1) | instid1(VALU_DEP_4)
	v_and_b32_e32 v51, 0x7fffffff, v29
	v_or_b32_e32 v29, 0x80000000, v29
	v_cndmask_b32_e32 v99, v101, v99, vcc_lo
	v_cmp_nle_f64_e32 vcc_lo, 0, v[96:97]
	s_delay_alu instid0(VALU_DEP_3) | instskip(SKIP_2) | instid1(VALU_DEP_3)
	v_cndmask_b32_e32 v100, v51, v29, vcc_lo
	v_ashrrev_i32_e32 v29, 31, v28
	v_mov_b32_e32 v51, v50
	v_add_f64 v[96:97], v[96:97], v[99:100]
	s_delay_alu instid0(VALU_DEP_3) | instskip(SKIP_2) | instid1(VALU_DEP_3)
	v_lshlrev_b64 v[102:103], 3, v[28:29]
	v_dual_mov_b32 v98, 0 :: v_dual_add_nc_u32 v29, 1, v98
	v_mov_b32_e32 v99, 0
	v_add_co_u32 v100, vcc_lo, v23, v102
	s_delay_alu instid0(VALU_DEP_4) | instskip(SKIP_4) | instid1(VALU_DEP_1)
	v_add_co_ci_u32_e32 v101, vcc_lo, v4, v103, vcc_lo
	flat_load_b64 v[118:119], v[100:101]
	ds_store_b32 v150, v29
	ds_store_b64 v162, v[50:51]
	v_div_scale_f64 v[116:117], null, v[96:97], v[96:97], v[114:115]
	v_rcp_f64_e32 v[128:129], v[116:117]
	s_waitcnt_depctr 0xfff
	v_fma_f64 v[163:164], -v[116:117], v[128:129], 1.0
	s_delay_alu instid0(VALU_DEP_1) | instskip(NEXT) | instid1(VALU_DEP_1)
	v_fma_f64 v[128:129], v[128:129], v[163:164], v[128:129]
	v_fma_f64 v[163:164], -v[116:117], v[128:129], 1.0
	s_delay_alu instid0(VALU_DEP_1) | instskip(SKIP_1) | instid1(VALU_DEP_1)
	v_fma_f64 v[128:129], v[128:129], v[163:164], v[128:129]
	v_div_scale_f64 v[163:164], vcc_lo, v[114:115], v[96:97], v[114:115]
	v_mul_f64 v[165:166], v[163:164], v[128:129]
	s_delay_alu instid0(VALU_DEP_1) | instskip(SKIP_2) | instid1(VALU_DEP_2)
	v_fma_f64 v[116:117], -v[116:117], v[165:166], v[163:164]
	s_waitcnt vmcnt(0) lgkmcnt(2)
	v_add_f64 v[112:113], v[118:119], -v[112:113]
	v_div_fmas_f64 v[116:117], v[116:117], v[128:129], v[165:166]
	s_delay_alu instid0(VALU_DEP_1) | instskip(NEXT) | instid1(VALU_DEP_1)
	v_div_fixup_f64 v[96:97], v[116:117], v[96:97], v[114:115]
	v_add_f64 v[96:97], v[112:113], v[96:97]
	v_cmpx_gt_i32_e64 v28, v84
	s_cbranch_execz .LBB84_90
; %bb.58:                               ;   in Loop: Header=BB84_47 Depth=2
	v_add_co_u32 v98, vcc_lo, v11, v102
	v_add_co_ci_u32_e32 v99, vcc_lo, v132, v103, vcc_lo
	s_mov_b32 s5, exec_lo
	v_mov_b32_e32 v116, 0
	v_mov_b32_e32 v117, 0
	flat_load_b64 v[112:113], v[98:99]
	v_mov_b32_e32 v98, 0
	v_mov_b32_e32 v99, 0x3ff00000
	s_waitcnt vmcnt(0) lgkmcnt(0)
	v_cmpx_neq_f64_e32 0, v[112:113]
	s_cbranch_execz .LBB84_66
; %bb.59:                               ;   in Loop: Header=BB84_47 Depth=2
	v_mov_b32_e32 v116, 0
	v_dual_mov_b32 v117, 0x3ff00000 :: v_dual_mov_b32 v98, 0
	v_mov_b32_e32 v99, 0
	s_mov_b32 s18, exec_lo
	v_cmpx_neq_f64_e32 0, v[96:97]
	s_cbranch_execz .LBB84_65
; %bb.60:                               ;   in Loop: Header=BB84_47 Depth=2
	v_cmp_ngt_f64_e64 s19, |v[112:113]|, |v[96:97]|
                                        ; implicit-def: $vgpr116_vgpr117
                                        ; implicit-def: $vgpr98_vgpr99
	s_delay_alu instid0(VALU_DEP_1) | instskip(NEXT) | instid1(SALU_CYCLE_1)
	s_and_saveexec_b32 s20, s19
	s_xor_b32 s19, exec_lo, s20
	s_cbranch_execz .LBB84_62
; %bb.61:                               ;   in Loop: Header=BB84_47 Depth=2
	v_div_scale_f64 v[98:99], null, v[96:97], v[96:97], -v[112:113]
	v_div_scale_f64 v[118:119], vcc_lo, -v[112:113], v[96:97], -v[112:113]
	s_delay_alu instid0(VALU_DEP_2) | instskip(SKIP_2) | instid1(VALU_DEP_1)
	v_rcp_f64_e32 v[114:115], v[98:99]
	s_waitcnt_depctr 0xfff
	v_fma_f64 v[116:117], -v[98:99], v[114:115], 1.0
	v_fma_f64 v[114:115], v[114:115], v[116:117], v[114:115]
	s_delay_alu instid0(VALU_DEP_1) | instskip(NEXT) | instid1(VALU_DEP_1)
	v_fma_f64 v[116:117], -v[98:99], v[114:115], 1.0
	v_fma_f64 v[114:115], v[114:115], v[116:117], v[114:115]
	s_delay_alu instid0(VALU_DEP_1) | instskip(NEXT) | instid1(VALU_DEP_1)
	v_mul_f64 v[116:117], v[118:119], v[114:115]
	v_fma_f64 v[98:99], -v[98:99], v[116:117], v[118:119]
	s_delay_alu instid0(VALU_DEP_1) | instskip(NEXT) | instid1(VALU_DEP_1)
	v_div_fmas_f64 v[98:99], v[98:99], v[114:115], v[116:117]
	v_div_fixup_f64 v[96:97], v[98:99], v[96:97], -v[112:113]
	s_delay_alu instid0(VALU_DEP_1) | instskip(NEXT) | instid1(VALU_DEP_1)
	v_fma_f64 v[98:99], v[96:97], v[96:97], 1.0
	v_cmp_gt_f64_e32 vcc_lo, 0x10000000, v[98:99]
	v_cndmask_b32_e64 v29, 0, 1, vcc_lo
	s_delay_alu instid0(VALU_DEP_1) | instskip(NEXT) | instid1(VALU_DEP_1)
	v_lshlrev_b32_e32 v29, 8, v29
	v_ldexp_f64 v[98:99], v[98:99], v29
	v_cndmask_b32_e64 v29, 0, 0xffffff80, vcc_lo
	s_delay_alu instid0(VALU_DEP_2) | instskip(SKIP_4) | instid1(VALU_DEP_1)
	v_rsq_f64_e32 v[114:115], v[98:99]
	v_cmp_class_f64_e64 vcc_lo, v[98:99], 0x260
	s_waitcnt_depctr 0xfff
	v_mul_f64 v[116:117], v[98:99], v[114:115]
	v_mul_f64 v[114:115], v[114:115], 0.5
	v_fma_f64 v[118:119], -v[114:115], v[116:117], 0.5
	s_delay_alu instid0(VALU_DEP_1) | instskip(SKIP_1) | instid1(VALU_DEP_2)
	v_fma_f64 v[116:117], v[116:117], v[118:119], v[116:117]
	v_fma_f64 v[114:115], v[114:115], v[118:119], v[114:115]
	v_fma_f64 v[118:119], -v[116:117], v[116:117], v[98:99]
	s_delay_alu instid0(VALU_DEP_1) | instskip(NEXT) | instid1(VALU_DEP_1)
	v_fma_f64 v[116:117], v[118:119], v[114:115], v[116:117]
	v_fma_f64 v[118:119], -v[116:117], v[116:117], v[98:99]
	s_delay_alu instid0(VALU_DEP_1) | instskip(NEXT) | instid1(VALU_DEP_1)
	v_fma_f64 v[114:115], v[118:119], v[114:115], v[116:117]
	v_ldexp_f64 v[114:115], v[114:115], v29
	s_delay_alu instid0(VALU_DEP_1) | instskip(NEXT) | instid1(VALU_DEP_1)
	v_dual_cndmask_b32 v98, v114, v98 :: v_dual_cndmask_b32 v99, v115, v99
	v_div_scale_f64 v[114:115], null, v[98:99], v[98:99], 1.0
	s_delay_alu instid0(VALU_DEP_1) | instskip(SKIP_2) | instid1(VALU_DEP_1)
	v_rcp_f64_e32 v[116:117], v[114:115]
	s_waitcnt_depctr 0xfff
	v_fma_f64 v[118:119], -v[114:115], v[116:117], 1.0
	v_fma_f64 v[116:117], v[116:117], v[118:119], v[116:117]
	s_delay_alu instid0(VALU_DEP_1) | instskip(NEXT) | instid1(VALU_DEP_1)
	v_fma_f64 v[118:119], -v[114:115], v[116:117], 1.0
	v_fma_f64 v[116:117], v[116:117], v[118:119], v[116:117]
	v_div_scale_f64 v[118:119], vcc_lo, 1.0, v[98:99], 1.0
	s_delay_alu instid0(VALU_DEP_1) | instskip(NEXT) | instid1(VALU_DEP_1)
	v_mul_f64 v[128:129], v[118:119], v[116:117]
	v_fma_f64 v[114:115], -v[114:115], v[128:129], v[118:119]
	s_delay_alu instid0(VALU_DEP_1) | instskip(NEXT) | instid1(VALU_DEP_1)
	v_div_fmas_f64 v[114:115], v[114:115], v[116:117], v[128:129]
	v_div_fixup_f64 v[98:99], v[114:115], v[98:99], 1.0
	s_delay_alu instid0(VALU_DEP_1)
	v_mul_f64 v[116:117], v[96:97], v[98:99]
                                        ; implicit-def: $vgpr96_vgpr97
.LBB84_62:                              ;   in Loop: Header=BB84_47 Depth=2
	s_and_not1_saveexec_b32 s19, s19
	s_cbranch_execz .LBB84_64
; %bb.63:                               ;   in Loop: Header=BB84_47 Depth=2
	v_div_scale_f64 v[98:99], null, v[112:113], v[112:113], -v[96:97]
	v_div_scale_f64 v[118:119], vcc_lo, -v[96:97], v[112:113], -v[96:97]
	s_delay_alu instid0(VALU_DEP_2) | instskip(SKIP_2) | instid1(VALU_DEP_1)
	v_rcp_f64_e32 v[114:115], v[98:99]
	s_waitcnt_depctr 0xfff
	v_fma_f64 v[116:117], -v[98:99], v[114:115], 1.0
	v_fma_f64 v[114:115], v[114:115], v[116:117], v[114:115]
	s_delay_alu instid0(VALU_DEP_1) | instskip(NEXT) | instid1(VALU_DEP_1)
	v_fma_f64 v[116:117], -v[98:99], v[114:115], 1.0
	v_fma_f64 v[114:115], v[114:115], v[116:117], v[114:115]
	s_delay_alu instid0(VALU_DEP_1) | instskip(NEXT) | instid1(VALU_DEP_1)
	v_mul_f64 v[116:117], v[118:119], v[114:115]
	v_fma_f64 v[98:99], -v[98:99], v[116:117], v[118:119]
	s_delay_alu instid0(VALU_DEP_1) | instskip(NEXT) | instid1(VALU_DEP_1)
	v_div_fmas_f64 v[98:99], v[98:99], v[114:115], v[116:117]
	v_div_fixup_f64 v[96:97], v[98:99], v[112:113], -v[96:97]
	s_delay_alu instid0(VALU_DEP_1) | instskip(NEXT) | instid1(VALU_DEP_1)
	v_fma_f64 v[98:99], v[96:97], v[96:97], 1.0
	v_cmp_gt_f64_e32 vcc_lo, 0x10000000, v[98:99]
	v_cndmask_b32_e64 v29, 0, 1, vcc_lo
	s_delay_alu instid0(VALU_DEP_1) | instskip(NEXT) | instid1(VALU_DEP_1)
	v_lshlrev_b32_e32 v29, 8, v29
	v_ldexp_f64 v[98:99], v[98:99], v29
	v_cndmask_b32_e64 v29, 0, 0xffffff80, vcc_lo
	s_delay_alu instid0(VALU_DEP_2) | instskip(SKIP_4) | instid1(VALU_DEP_1)
	v_rsq_f64_e32 v[114:115], v[98:99]
	v_cmp_class_f64_e64 vcc_lo, v[98:99], 0x260
	s_waitcnt_depctr 0xfff
	v_mul_f64 v[116:117], v[98:99], v[114:115]
	v_mul_f64 v[114:115], v[114:115], 0.5
	v_fma_f64 v[118:119], -v[114:115], v[116:117], 0.5
	s_delay_alu instid0(VALU_DEP_1) | instskip(SKIP_1) | instid1(VALU_DEP_2)
	v_fma_f64 v[116:117], v[116:117], v[118:119], v[116:117]
	v_fma_f64 v[114:115], v[114:115], v[118:119], v[114:115]
	v_fma_f64 v[118:119], -v[116:117], v[116:117], v[98:99]
	s_delay_alu instid0(VALU_DEP_1) | instskip(NEXT) | instid1(VALU_DEP_1)
	v_fma_f64 v[116:117], v[118:119], v[114:115], v[116:117]
	v_fma_f64 v[118:119], -v[116:117], v[116:117], v[98:99]
	s_delay_alu instid0(VALU_DEP_1) | instskip(NEXT) | instid1(VALU_DEP_1)
	v_fma_f64 v[114:115], v[118:119], v[114:115], v[116:117]
	v_ldexp_f64 v[114:115], v[114:115], v29
	s_delay_alu instid0(VALU_DEP_1) | instskip(NEXT) | instid1(VALU_DEP_1)
	v_dual_cndmask_b32 v98, v114, v98 :: v_dual_cndmask_b32 v99, v115, v99
	v_div_scale_f64 v[114:115], null, v[98:99], v[98:99], 1.0
	s_delay_alu instid0(VALU_DEP_1) | instskip(SKIP_2) | instid1(VALU_DEP_1)
	v_rcp_f64_e32 v[116:117], v[114:115]
	s_waitcnt_depctr 0xfff
	v_fma_f64 v[118:119], -v[114:115], v[116:117], 1.0
	v_fma_f64 v[116:117], v[116:117], v[118:119], v[116:117]
	s_delay_alu instid0(VALU_DEP_1) | instskip(NEXT) | instid1(VALU_DEP_1)
	v_fma_f64 v[118:119], -v[114:115], v[116:117], 1.0
	v_fma_f64 v[116:117], v[116:117], v[118:119], v[116:117]
	v_div_scale_f64 v[118:119], vcc_lo, 1.0, v[98:99], 1.0
	s_delay_alu instid0(VALU_DEP_1) | instskip(NEXT) | instid1(VALU_DEP_1)
	v_mul_f64 v[128:129], v[118:119], v[116:117]
	v_fma_f64 v[114:115], -v[114:115], v[128:129], v[118:119]
	s_delay_alu instid0(VALU_DEP_1) | instskip(NEXT) | instid1(VALU_DEP_1)
	v_div_fmas_f64 v[114:115], v[114:115], v[116:117], v[128:129]
	v_div_fixup_f64 v[116:117], v[114:115], v[98:99], 1.0
	s_delay_alu instid0(VALU_DEP_1)
	v_mul_f64 v[98:99], v[96:97], v[116:117]
.LBB84_64:                              ;   in Loop: Header=BB84_47 Depth=2
	s_or_b32 exec_lo, exec_lo, s19
.LBB84_65:                              ;   in Loop: Header=BB84_47 Depth=2
	s_delay_alu instid0(SALU_CYCLE_1)
	s_or_b32 exec_lo, exec_lo, s18
.LBB84_66:                              ;   in Loop: Header=BB84_47 Depth=2
	s_delay_alu instid0(SALU_CYCLE_1) | instskip(SKIP_2) | instid1(VALU_DEP_3)
	s_or_b32 exec_lo, exec_lo, s5
	v_add_co_u32 v96, vcc_lo, -8, v100
	v_add_co_ci_u32_e32 v97, vcc_lo, -1, v101, vcc_lo
	v_add_f64 v[114:115], v[98:99], v[98:99]
	s_mov_b32 s18, exec_lo
	flat_load_b128 v[163:166], v[96:97]
	s_waitcnt vmcnt(0) lgkmcnt(0)
	v_add_f64 v[96:97], v[163:164], -v[165:166]
	s_delay_alu instid0(VALU_DEP_1) | instskip(NEXT) | instid1(VALU_DEP_1)
	v_mul_f64 v[96:97], v[116:117], v[96:97]
	v_fma_f64 v[96:97], v[112:113], v[114:115], -v[96:97]
	s_delay_alu instid0(VALU_DEP_1)
	v_mul_f64 v[114:115], v[96:97], -v[116:117]
	v_fma_f64 v[118:119], v[96:97], -v[116:117], v[165:166]
	v_fma_f64 v[96:97], v[98:99], v[96:97], -v[112:113]
	v_add_co_u32 v112, vcc_lo, v133, v102
	v_add_co_ci_u32_e32 v113, vcc_lo, v134, v103, vcc_lo
	v_add_nc_u32_e32 v102, -1, v28
	s_delay_alu instid0(VALU_DEP_3) | instskip(NEXT) | instid1(VALU_DEP_3)
	v_add_co_u32 v128, vcc_lo, v112, v38
	v_add_co_ci_u32_e32 v129, vcc_lo, v113, v39, vcc_lo
	ds_store_b64 v162, v[114:115]
	flat_store_b64 v[100:101], v[118:119]
	s_clause 0x1
	flat_store_b64 v[112:113], v[98:99]
	flat_store_b64 v[128:129], v[116:117]
	v_cmpx_gt_i32_e64 v102, v84
	s_cbranch_execz .LBB84_89
; %bb.67:                               ;   in Loop: Header=BB84_47 Depth=2
	v_ashrrev_i32_e32 v103, 31, v102
	v_xor_b32_e32 v117, 0x80000000, v117
	s_mov_b32 s20, -1
	s_mov_b32 s19, 0
	s_delay_alu instid0(VALU_DEP_2) | instskip(NEXT) | instid1(VALU_DEP_1)
	v_lshlrev_b64 v[112:113], 3, v[102:103]
	v_add_co_u32 v100, vcc_lo, v133, v112
	s_delay_alu instid0(VALU_DEP_2)
	v_add_co_ci_u32_e32 v101, vcc_lo, v134, v113, vcc_lo
	v_add_co_u32 v102, vcc_lo, v135, v112
	v_add_co_ci_u32_e32 v103, vcc_lo, v144, v113, vcc_lo
	v_add_co_u32 v112, vcc_lo, v11, v112
	v_add_co_ci_u32_e32 v113, vcc_lo, v132, v113, vcc_lo
	s_branch .LBB84_69
.LBB84_68:                              ;   in Loop: Header=BB84_69 Depth=3
	flat_load_b128 v[163:166], v[102:103]
	ds_load_b64 v[96:97], v162
	v_mul_f64 v[98:99], v[98:99], v[114:115]
	v_add_f64 v[114:115], v[128:129], v[128:129]
	s_add_i32 s20, s20, -1
	s_delay_alu instid0(SALU_CYCLE_1) | instskip(SKIP_2) | instid1(VALU_DEP_1)
	v_add_nc_u32_e32 v29, s20, v28
	s_waitcnt vmcnt(0) lgkmcnt(0)
	v_add_f64 v[96:97], v[165:166], -v[96:97]
	v_add_f64 v[116:117], v[163:164], -v[96:97]
	s_delay_alu instid0(VALU_DEP_1) | instskip(NEXT) | instid1(VALU_DEP_1)
	v_mul_f64 v[116:117], v[118:119], v[116:117]
	v_fma_f64 v[114:115], v[98:99], v[114:115], -v[116:117]
	v_mov_b32_e32 v116, v118
	v_xor_b32_e32 v117, 0x80000000, v119
	s_delay_alu instid0(VALU_DEP_3)
	v_mul_f64 v[163:164], v[114:115], -v[118:119]
	v_fma_f64 v[165:166], v[114:115], -v[118:119], v[96:97]
	v_fma_f64 v[96:97], v[128:129], v[114:115], -v[98:99]
	v_add_co_u32 v114, vcc_lo, v100, v38
	v_add_co_ci_u32_e32 v115, vcc_lo, v101, v39, vcc_lo
	v_add_co_u32 v112, vcc_lo, v112, -8
	v_add_co_ci_u32_e32 v113, vcc_lo, -1, v113, vcc_lo
	v_cmp_le_i32_e32 vcc_lo, v29, v84
	v_dual_mov_b32 v98, v128 :: v_dual_mov_b32 v99, v129
	s_or_b32 s19, vcc_lo, s19
	ds_store_b64 v162, v[163:164]
	flat_store_b64 v[102:103], v[165:166] offset:8
	flat_store_b64 v[100:101], v[128:129]
	v_add_co_u32 v100, s5, v100, -8
	s_delay_alu instid0(VALU_DEP_1) | instskip(SKIP_1) | instid1(VALU_DEP_1)
	v_add_co_ci_u32_e64 v101, s5, -1, v101, s5
	v_add_co_u32 v102, s5, v102, -8
	v_add_co_ci_u32_e64 v103, s5, -1, v103, s5
	flat_store_b64 v[114:115], v[118:119]
	s_and_not1_b32 exec_lo, exec_lo, s19
	s_cbranch_execz .LBB84_88
.LBB84_69:                              ;   Parent Loop BB84_8 Depth=1
                                        ;     Parent Loop BB84_47 Depth=2
                                        ; =>    This Inner Loop Header: Depth=3
	flat_load_b64 v[114:115], v[112:113]
	v_mov_b32_e32 v128, 0
	v_dual_mov_b32 v129, 0x3ff00000 :: v_dual_mov_b32 v118, 0
	v_mov_b32_e32 v119, 0
	s_mov_b32 s5, exec_lo
	s_waitcnt vmcnt(0) lgkmcnt(0)
	v_mul_f64 v[116:117], v[116:117], v[114:115]
	s_delay_alu instid0(VALU_DEP_1)
	v_cmpx_neq_f64_e32 0, v[116:117]
	s_cbranch_execz .LBB84_79
; %bb.70:                               ;   in Loop: Header=BB84_69 Depth=3
	s_mov_b32 s21, exec_lo
                                        ; implicit-def: $vgpr118_vgpr119
                                        ; implicit-def: $vgpr128_vgpr129
	v_cmpx_neq_f64_e32 0, v[96:97]
	s_xor_b32 s21, exec_lo, s21
	s_cbranch_execz .LBB84_76
; %bb.71:                               ;   in Loop: Header=BB84_69 Depth=3
	v_cmp_ngt_f64_e64 s22, |v[116:117]|, |v[96:97]|
                                        ; implicit-def: $vgpr118_vgpr119
                                        ; implicit-def: $vgpr128_vgpr129
	s_delay_alu instid0(VALU_DEP_1) | instskip(NEXT) | instid1(SALU_CYCLE_1)
	s_and_saveexec_b32 s23, s22
	s_xor_b32 s22, exec_lo, s23
	s_cbranch_execz .LBB84_73
; %bb.72:                               ;   in Loop: Header=BB84_69 Depth=3
	v_div_scale_f64 v[118:119], null, v[96:97], v[96:97], -v[116:117]
	v_div_scale_f64 v[165:166], vcc_lo, -v[116:117], v[96:97], -v[116:117]
	s_delay_alu instid0(VALU_DEP_2) | instskip(SKIP_2) | instid1(VALU_DEP_1)
	v_rcp_f64_e32 v[128:129], v[118:119]
	s_waitcnt_depctr 0xfff
	v_fma_f64 v[163:164], -v[118:119], v[128:129], 1.0
	v_fma_f64 v[128:129], v[128:129], v[163:164], v[128:129]
	s_delay_alu instid0(VALU_DEP_1) | instskip(NEXT) | instid1(VALU_DEP_1)
	v_fma_f64 v[163:164], -v[118:119], v[128:129], 1.0
	v_fma_f64 v[128:129], v[128:129], v[163:164], v[128:129]
	s_delay_alu instid0(VALU_DEP_1) | instskip(NEXT) | instid1(VALU_DEP_1)
	v_mul_f64 v[163:164], v[165:166], v[128:129]
	v_fma_f64 v[118:119], -v[118:119], v[163:164], v[165:166]
	s_delay_alu instid0(VALU_DEP_1) | instskip(NEXT) | instid1(VALU_DEP_1)
	v_div_fmas_f64 v[118:119], v[118:119], v[128:129], v[163:164]
	v_div_fixup_f64 v[118:119], v[118:119], v[96:97], -v[116:117]
	s_delay_alu instid0(VALU_DEP_1) | instskip(NEXT) | instid1(VALU_DEP_1)
	v_fma_f64 v[128:129], v[118:119], v[118:119], 1.0
	v_cmp_gt_f64_e32 vcc_lo, 0x10000000, v[128:129]
	v_cndmask_b32_e64 v29, 0, 1, vcc_lo
	s_delay_alu instid0(VALU_DEP_1) | instskip(NEXT) | instid1(VALU_DEP_1)
	v_lshlrev_b32_e32 v29, 8, v29
	v_ldexp_f64 v[128:129], v[128:129], v29
	v_cndmask_b32_e64 v29, 0, 0xffffff80, vcc_lo
	s_delay_alu instid0(VALU_DEP_2) | instskip(SKIP_4) | instid1(VALU_DEP_1)
	v_rsq_f64_e32 v[163:164], v[128:129]
	v_cmp_class_f64_e64 vcc_lo, v[128:129], 0x260
	s_waitcnt_depctr 0xfff
	v_mul_f64 v[165:166], v[128:129], v[163:164]
	v_mul_f64 v[163:164], v[163:164], 0.5
	v_fma_f64 v[176:177], -v[163:164], v[165:166], 0.5
	s_delay_alu instid0(VALU_DEP_1) | instskip(SKIP_1) | instid1(VALU_DEP_2)
	v_fma_f64 v[165:166], v[165:166], v[176:177], v[165:166]
	v_fma_f64 v[163:164], v[163:164], v[176:177], v[163:164]
	v_fma_f64 v[176:177], -v[165:166], v[165:166], v[128:129]
	s_delay_alu instid0(VALU_DEP_1) | instskip(NEXT) | instid1(VALU_DEP_1)
	v_fma_f64 v[165:166], v[176:177], v[163:164], v[165:166]
	v_fma_f64 v[176:177], -v[165:166], v[165:166], v[128:129]
	s_delay_alu instid0(VALU_DEP_1) | instskip(NEXT) | instid1(VALU_DEP_1)
	v_fma_f64 v[163:164], v[176:177], v[163:164], v[165:166]
	v_ldexp_f64 v[163:164], v[163:164], v29
	s_delay_alu instid0(VALU_DEP_1) | instskip(NEXT) | instid1(VALU_DEP_1)
	v_dual_cndmask_b32 v128, v163, v128 :: v_dual_cndmask_b32 v129, v164, v129
	v_div_scale_f64 v[163:164], null, v[128:129], v[128:129], 1.0
	s_delay_alu instid0(VALU_DEP_1) | instskip(SKIP_2) | instid1(VALU_DEP_1)
	v_rcp_f64_e32 v[165:166], v[163:164]
	s_waitcnt_depctr 0xfff
	v_fma_f64 v[176:177], -v[163:164], v[165:166], 1.0
	v_fma_f64 v[165:166], v[165:166], v[176:177], v[165:166]
	s_delay_alu instid0(VALU_DEP_1) | instskip(NEXT) | instid1(VALU_DEP_1)
	v_fma_f64 v[176:177], -v[163:164], v[165:166], 1.0
	v_fma_f64 v[165:166], v[165:166], v[176:177], v[165:166]
	v_div_scale_f64 v[176:177], vcc_lo, 1.0, v[128:129], 1.0
	s_delay_alu instid0(VALU_DEP_1) | instskip(NEXT) | instid1(VALU_DEP_1)
	v_mul_f64 v[178:179], v[176:177], v[165:166]
	v_fma_f64 v[163:164], -v[163:164], v[178:179], v[176:177]
	s_delay_alu instid0(VALU_DEP_1) | instskip(NEXT) | instid1(VALU_DEP_1)
	v_div_fmas_f64 v[163:164], v[163:164], v[165:166], v[178:179]
	v_div_fixup_f64 v[128:129], v[163:164], v[128:129], 1.0
	s_delay_alu instid0(VALU_DEP_1)
	v_mul_f64 v[118:119], v[118:119], v[128:129]
.LBB84_73:                              ;   in Loop: Header=BB84_69 Depth=3
	s_and_not1_saveexec_b32 s22, s22
	s_cbranch_execz .LBB84_75
; %bb.74:                               ;   in Loop: Header=BB84_69 Depth=3
	v_div_scale_f64 v[118:119], null, v[116:117], v[116:117], -v[96:97]
	v_div_scale_f64 v[165:166], vcc_lo, -v[96:97], v[116:117], -v[96:97]
	s_delay_alu instid0(VALU_DEP_2) | instskip(SKIP_2) | instid1(VALU_DEP_1)
	v_rcp_f64_e32 v[128:129], v[118:119]
	s_waitcnt_depctr 0xfff
	v_fma_f64 v[163:164], -v[118:119], v[128:129], 1.0
	v_fma_f64 v[128:129], v[128:129], v[163:164], v[128:129]
	s_delay_alu instid0(VALU_DEP_1) | instskip(NEXT) | instid1(VALU_DEP_1)
	v_fma_f64 v[163:164], -v[118:119], v[128:129], 1.0
	v_fma_f64 v[128:129], v[128:129], v[163:164], v[128:129]
	s_delay_alu instid0(VALU_DEP_1) | instskip(NEXT) | instid1(VALU_DEP_1)
	v_mul_f64 v[163:164], v[165:166], v[128:129]
	v_fma_f64 v[118:119], -v[118:119], v[163:164], v[165:166]
	s_delay_alu instid0(VALU_DEP_1) | instskip(NEXT) | instid1(VALU_DEP_1)
	v_div_fmas_f64 v[118:119], v[118:119], v[128:129], v[163:164]
	v_div_fixup_f64 v[128:129], v[118:119], v[116:117], -v[96:97]
	s_delay_alu instid0(VALU_DEP_1) | instskip(NEXT) | instid1(VALU_DEP_1)
	v_fma_f64 v[118:119], v[128:129], v[128:129], 1.0
	v_cmp_gt_f64_e32 vcc_lo, 0x10000000, v[118:119]
	v_cndmask_b32_e64 v29, 0, 1, vcc_lo
	s_delay_alu instid0(VALU_DEP_1) | instskip(NEXT) | instid1(VALU_DEP_1)
	v_lshlrev_b32_e32 v29, 8, v29
	v_ldexp_f64 v[118:119], v[118:119], v29
	v_cndmask_b32_e64 v29, 0, 0xffffff80, vcc_lo
	s_delay_alu instid0(VALU_DEP_2) | instskip(SKIP_4) | instid1(VALU_DEP_1)
	v_rsq_f64_e32 v[163:164], v[118:119]
	v_cmp_class_f64_e64 vcc_lo, v[118:119], 0x260
	s_waitcnt_depctr 0xfff
	v_mul_f64 v[165:166], v[118:119], v[163:164]
	v_mul_f64 v[163:164], v[163:164], 0.5
	v_fma_f64 v[176:177], -v[163:164], v[165:166], 0.5
	s_delay_alu instid0(VALU_DEP_1) | instskip(SKIP_1) | instid1(VALU_DEP_2)
	v_fma_f64 v[165:166], v[165:166], v[176:177], v[165:166]
	v_fma_f64 v[163:164], v[163:164], v[176:177], v[163:164]
	v_fma_f64 v[176:177], -v[165:166], v[165:166], v[118:119]
	s_delay_alu instid0(VALU_DEP_1) | instskip(NEXT) | instid1(VALU_DEP_1)
	v_fma_f64 v[165:166], v[176:177], v[163:164], v[165:166]
	v_fma_f64 v[176:177], -v[165:166], v[165:166], v[118:119]
	s_delay_alu instid0(VALU_DEP_1) | instskip(NEXT) | instid1(VALU_DEP_1)
	v_fma_f64 v[163:164], v[176:177], v[163:164], v[165:166]
	v_ldexp_f64 v[163:164], v[163:164], v29
	s_delay_alu instid0(VALU_DEP_1) | instskip(NEXT) | instid1(VALU_DEP_1)
	v_dual_cndmask_b32 v118, v163, v118 :: v_dual_cndmask_b32 v119, v164, v119
	v_div_scale_f64 v[163:164], null, v[118:119], v[118:119], 1.0
	s_delay_alu instid0(VALU_DEP_1) | instskip(SKIP_2) | instid1(VALU_DEP_1)
	v_rcp_f64_e32 v[165:166], v[163:164]
	s_waitcnt_depctr 0xfff
	v_fma_f64 v[176:177], -v[163:164], v[165:166], 1.0
	v_fma_f64 v[165:166], v[165:166], v[176:177], v[165:166]
	s_delay_alu instid0(VALU_DEP_1) | instskip(NEXT) | instid1(VALU_DEP_1)
	v_fma_f64 v[176:177], -v[163:164], v[165:166], 1.0
	v_fma_f64 v[165:166], v[165:166], v[176:177], v[165:166]
	v_div_scale_f64 v[176:177], vcc_lo, 1.0, v[118:119], 1.0
	s_delay_alu instid0(VALU_DEP_1) | instskip(NEXT) | instid1(VALU_DEP_1)
	v_mul_f64 v[178:179], v[176:177], v[165:166]
	v_fma_f64 v[163:164], -v[163:164], v[178:179], v[176:177]
	s_delay_alu instid0(VALU_DEP_1) | instskip(NEXT) | instid1(VALU_DEP_1)
	v_div_fmas_f64 v[163:164], v[163:164], v[165:166], v[178:179]
	v_div_fixup_f64 v[118:119], v[163:164], v[118:119], 1.0
	s_delay_alu instid0(VALU_DEP_1)
	v_mul_f64 v[128:129], v[128:129], v[118:119]
.LBB84_75:                              ;   in Loop: Header=BB84_69 Depth=3
	s_or_b32 exec_lo, exec_lo, s22
	s_delay_alu instid0(VALU_DEP_1) | instskip(NEXT) | instid1(VALU_DEP_1)
	v_mul_f64 v[116:117], v[116:117], v[118:119]
	v_fma_f64 v[96:97], v[96:97], v[128:129], -v[116:117]
                                        ; implicit-def: $vgpr116_vgpr117
.LBB84_76:                              ;   in Loop: Header=BB84_69 Depth=3
	s_and_not1_saveexec_b32 s21, s21
; %bb.77:                               ;   in Loop: Header=BB84_69 Depth=3
	v_xor_b32_e32 v117, 0x80000000, v117
	v_mov_b32_e32 v118, 0
	v_dual_mov_b32 v119, 0x3ff00000 :: v_dual_mov_b32 v128, 0
	v_dual_mov_b32 v129, 0 :: v_dual_mov_b32 v96, v116
	s_delay_alu instid0(VALU_DEP_4)
	v_mov_b32_e32 v97, v117
; %bb.78:                               ;   in Loop: Header=BB84_69 Depth=3
	s_or_b32 exec_lo, exec_lo, s21
.LBB84_79:                              ;   in Loop: Header=BB84_69 Depth=3
	s_delay_alu instid0(SALU_CYCLE_1)
	s_or_b32 exec_lo, exec_lo, s5
	s_cmp_eq_u32 s20, 0
	s_cbranch_scc1 .LBB84_68
; %bb.80:                               ;   in Loop: Header=BB84_69 Depth=3
	flat_store_b64 v[112:113], v[96:97] offset:8
	s_branch .LBB84_68
.LBB84_81:                              ;   in Loop: Header=BB84_47 Depth=2
	v_dual_mov_b32 v29, v84 :: v_dual_mov_b32 v30, v85
	s_mov_b32 s15, exec_lo
                                        ; implicit-def: $vgpr51
	s_or_saveexec_b32 s16, s16
	v_mov_b32_e32 v28, v84
	s_xor_b32 exec_lo, exec_lo, s16
	s_cbranch_execz .LBB84_52
.LBB84_82:                              ;   in Loop: Header=BB84_47 Depth=2
	v_lshlrev_b64 v[30:31], 3, v[84:85]
	v_dual_mov_b32 v54, v84 :: v_dual_mov_b32 v55, v85
	v_mov_b32_e32 v85, v84
	s_mov_b32 s18, 0
                                        ; implicit-def: $sgpr17
                                        ; implicit-def: $sgpr20
                                        ; implicit-def: $sgpr19
	s_delay_alu instid0(VALU_DEP_3) | instskip(NEXT) | instid1(VALU_DEP_4)
	v_add_co_u32 v28, vcc_lo, v23, v30
	v_add_co_ci_u32_e32 v29, vcc_lo, v4, v31, vcc_lo
	v_add_co_u32 v30, vcc_lo, v5, v30
	v_add_co_ci_u32_e32 v31, vcc_lo, v6, v31, vcc_lo
	s_set_inst_prefetch_distance 0x1
	s_branch .LBB84_84
	.p2align	6
.LBB84_83:                              ;   in Loop: Header=BB84_84 Depth=3
	s_or_b32 exec_lo, exec_lo, s21
	s_xor_b32 s5, s19, -1
	s_and_b32 s21, exec_lo, s20
	s_delay_alu instid0(SALU_CYCLE_1) | instskip(SKIP_2) | instid1(SALU_CYCLE_1)
	s_or_b32 s18, s21, s18
	s_and_not1_b32 s17, s17, exec_lo
	s_and_b32 s5, s5, exec_lo
	s_or_b32 s17, s17, s5
	s_and_not1_b32 exec_lo, exec_lo, s18
	s_cbranch_execz .LBB84_86
.LBB84_84:                              ;   Parent Loop BB84_8 Depth=1
                                        ;     Parent Loop BB84_47 Depth=2
                                        ; =>    This Inner Loop Header: Depth=3
	flat_load_b128 v[99:102], v[28:29]
	v_dual_mov_b32 v69, v31 :: v_dual_mov_b32 v68, v30
	flat_load_b64 v[30:31], v[30:31]
	v_mov_b32_e32 v160, v85
	s_or_b32 s19, s19, exec_lo
	s_or_b32 s20, s20, exec_lo
                                        ; implicit-def: $vgpr85
	s_waitcnt vmcnt(1) lgkmcnt(1)
	v_mul_f64 v[96:97], v[99:100], v[101:102]
	s_waitcnt vmcnt(0) lgkmcnt(0)
	v_mul_f64 v[30:31], v[30:31], v[30:31]
	s_delay_alu instid0(VALU_DEP_2) | instskip(NEXT) | instid1(VALU_DEP_1)
	v_mul_f64 v[96:97], v[34:35], |v[96:97]|
	v_cmp_nle_f64_e64 s5, |v[30:31]|, v[96:97]
                                        ; implicit-def: $vgpr30_vgpr31
	s_delay_alu instid0(VALU_DEP_1)
	s_and_saveexec_b32 s21, s5
	s_cbranch_execz .LBB84_83
; %bb.85:                               ;   in Loop: Header=BB84_84 Depth=3
	v_add_nc_u32_e32 v85, 1, v160
	v_add_co_u32 v28, vcc_lo, v28, 8
	v_add_co_ci_u32_e32 v29, vcc_lo, 0, v29, vcc_lo
	s_delay_alu instid0(VALU_DEP_3) | instskip(SKIP_1) | instid1(VALU_DEP_1)
	v_cmp_ge_i32_e32 vcc_lo, v85, v51
	v_add_co_u32 v30, s5, v68, 8
	v_add_co_ci_u32_e64 v31, s5, 0, v69, s5
	s_and_not1_b32 s5, s20, exec_lo
	s_and_b32 s20, vcc_lo, exec_lo
	s_and_not1_b32 s19, s19, exec_lo
	s_or_b32 s20, s5, s20
	s_branch .LBB84_83
.LBB84_86:                              ;   in Loop: Header=BB84_47 Depth=2
	s_set_inst_prefetch_distance 0x2
	s_or_b32 exec_lo, exec_lo, s18
	v_dual_mov_b32 v28, v51 :: v_dual_mov_b32 v29, v54
	v_mov_b32_e32 v30, v55
	s_and_not1_b32 s15, s15, exec_lo
	s_and_b32 s17, s17, exec_lo
	s_mov_b32 s5, exec_lo
	s_or_b32 s15, s15, s17
	s_or_b32 exec_lo, exec_lo, s16
                                        ; implicit-def: $vgpr161
	s_and_saveexec_b32 s16, s15
	s_cbranch_execz .LBB84_53
.LBB84_87:                              ;   in Loop: Header=BB84_47 Depth=2
	s_clause 0x1
	global_load_b32 v161, v[21:22], off offset:4
	global_load_b32 v31, v[21:22], off offset:16
	s_and_not1_b32 s5, s5, exec_lo
	s_waitcnt vmcnt(1)
	ds_store_b32 v161, v28
	s_waitcnt vmcnt(0)
	ds_store_b32 v31, v84
	s_or_b32 exec_lo, exec_lo, s16
	s_and_saveexec_b32 s15, s5
	s_cbranch_execnz .LBB84_54
	s_branch .LBB84_55
.LBB84_88:                              ;   in Loop: Header=BB84_47 Depth=2
	s_or_b32 exec_lo, exec_lo, s19
.LBB84_89:                              ;   in Loop: Header=BB84_47 Depth=2
	s_delay_alu instid0(SALU_CYCLE_1)
	s_or_b32 exec_lo, exec_lo, s18
	ds_load_b64 v[98:99], v162
.LBB84_90:                              ;   in Loop: Header=BB84_47 Depth=2
	s_or_b32 exec_lo, exec_lo, s17
	flat_load_b64 v[28:29], v[85:86]
                                        ; implicit-def: $vgpr84
                                        ; implicit-def: $vgpr112_vgpr113
	s_waitcnt vmcnt(0) lgkmcnt(0)
	v_add_f64 v[28:29], v[28:29], -v[98:99]
	flat_store_b64 v[85:86], v[28:29]
	flat_store_b64 v[30:31], v[96:97]
                                        ; implicit-def: $vgpr96_vgpr97
                                        ; implicit-def: $vgpr85_vgpr86
.LBB84_91:                              ;   in Loop: Header=BB84_47 Depth=2
	s_and_not1_saveexec_b32 s16, s16
	s_cbranch_execz .LBB84_130
; %bb.92:                               ;   in Loop: Header=BB84_47 Depth=2
	v_add_co_u32 v98, vcc_lo, v5, v96
	v_add_co_ci_u32_e32 v99, vcc_lo, v6, v97, vcc_lo
                                        ; implicit-def: $vgpr116_vgpr117
	flat_load_b64 v[28:29], v[85:86] offset:8
	flat_load_b64 v[114:115], v[98:99]
	s_waitcnt vmcnt(1) lgkmcnt(1)
	v_add_f64 v[102:103], v[112:113], -v[28:29]
	s_waitcnt vmcnt(0) lgkmcnt(0)
	v_add_f64 v[100:101], v[114:115], v[114:115]
	s_delay_alu instid0(VALU_DEP_1) | instskip(NEXT) | instid1(VALU_DEP_1)
	v_cmp_ngt_f64_e64 s5, |v[102:103]|, |v[100:101]|
	s_and_saveexec_b32 s17, s5
	s_delay_alu instid0(SALU_CYCLE_1)
	s_xor_b32 s5, exec_lo, s17
	s_cbranch_execz .LBB84_98
; %bb.93:                               ;   in Loop: Header=BB84_47 Depth=2
	v_cmp_nlt_f64_e64 s17, |v[102:103]|, |v[100:101]|
                                        ; implicit-def: $vgpr116_vgpr117
	s_delay_alu instid0(VALU_DEP_1) | instskip(NEXT) | instid1(SALU_CYCLE_1)
	s_and_saveexec_b32 s18, s17
	s_xor_b32 s17, exec_lo, s18
; %bb.94:                               ;   in Loop: Header=BB84_47 Depth=2
	v_mul_f64 v[116:117], |v[100:101]|, s[8:9]
; %bb.95:                               ;   in Loop: Header=BB84_47 Depth=2
	s_and_not1_saveexec_b32 s17, s17
	s_cbranch_execz .LBB84_97
; %bb.96:                               ;   in Loop: Header=BB84_47 Depth=2
	v_dual_mov_b32 v30, v102 :: v_dual_and_b32 v31, 0x7fffffff, v103
	v_dual_mov_b32 v116, v100 :: v_dual_and_b32 v117, 0x7fffffff, v101
	s_delay_alu instid0(VALU_DEP_1) | instskip(SKIP_1) | instid1(VALU_DEP_2)
	v_div_scale_f64 v[118:119], null, v[116:117], v[116:117], v[30:31]
	v_div_scale_f64 v[30:31], vcc_lo, v[30:31], v[116:117], v[30:31]
	v_rcp_f64_e32 v[128:129], v[118:119]
	s_waitcnt_depctr 0xfff
	v_fma_f64 v[162:163], -v[118:119], v[128:129], 1.0
	s_delay_alu instid0(VALU_DEP_1) | instskip(NEXT) | instid1(VALU_DEP_1)
	v_fma_f64 v[128:129], v[128:129], v[162:163], v[128:129]
	v_fma_f64 v[162:163], -v[118:119], v[128:129], 1.0
	s_delay_alu instid0(VALU_DEP_1) | instskip(NEXT) | instid1(VALU_DEP_1)
	v_fma_f64 v[116:117], v[128:129], v[162:163], v[128:129]
	v_mul_f64 v[128:129], v[30:31], v[116:117]
	s_delay_alu instid0(VALU_DEP_1) | instskip(NEXT) | instid1(VALU_DEP_1)
	v_fma_f64 v[30:31], -v[118:119], v[128:129], v[30:31]
	v_div_fmas_f64 v[30:31], v[30:31], v[116:117], v[128:129]
	s_delay_alu instid0(VALU_DEP_1) | instskip(NEXT) | instid1(VALU_DEP_1)
	v_div_fixup_f64 v[30:31], v[30:31], |v[100:101]|, |v[102:103]|
	v_fma_f64 v[30:31], v[30:31], v[30:31], 1.0
	s_delay_alu instid0(VALU_DEP_1) | instskip(SKIP_1) | instid1(VALU_DEP_1)
	v_cmp_gt_f64_e32 vcc_lo, 0x10000000, v[30:31]
	v_cndmask_b32_e64 v51, 0, 1, vcc_lo
	v_lshlrev_b32_e32 v51, 8, v51
	s_delay_alu instid0(VALU_DEP_1) | instskip(SKIP_1) | instid1(VALU_DEP_2)
	v_ldexp_f64 v[30:31], v[30:31], v51
	v_cndmask_b32_e64 v51, 0, 0xffffff80, vcc_lo
	v_rsq_f64_e32 v[116:117], v[30:31]
	v_cmp_class_f64_e64 vcc_lo, v[30:31], 0x260
	s_waitcnt_depctr 0xfff
	v_mul_f64 v[118:119], v[30:31], v[116:117]
	v_mul_f64 v[116:117], v[116:117], 0.5
	s_delay_alu instid0(VALU_DEP_1) | instskip(NEXT) | instid1(VALU_DEP_1)
	v_fma_f64 v[128:129], -v[116:117], v[118:119], 0.5
	v_fma_f64 v[118:119], v[118:119], v[128:129], v[118:119]
	v_fma_f64 v[116:117], v[116:117], v[128:129], v[116:117]
	s_delay_alu instid0(VALU_DEP_2) | instskip(NEXT) | instid1(VALU_DEP_1)
	v_fma_f64 v[128:129], -v[118:119], v[118:119], v[30:31]
	v_fma_f64 v[118:119], v[128:129], v[116:117], v[118:119]
	s_delay_alu instid0(VALU_DEP_1) | instskip(NEXT) | instid1(VALU_DEP_1)
	v_fma_f64 v[128:129], -v[118:119], v[118:119], v[30:31]
	v_fma_f64 v[116:117], v[128:129], v[116:117], v[118:119]
	s_delay_alu instid0(VALU_DEP_1) | instskip(NEXT) | instid1(VALU_DEP_1)
	v_ldexp_f64 v[116:117], v[116:117], v51
	v_dual_cndmask_b32 v30, v116, v30 :: v_dual_cndmask_b32 v31, v117, v31
	s_delay_alu instid0(VALU_DEP_1)
	v_mul_f64 v[116:117], |v[100:101]|, v[30:31]
.LBB84_97:                              ;   in Loop: Header=BB84_47 Depth=2
	s_or_b32 exec_lo, exec_lo, s17
.LBB84_98:                              ;   in Loop: Header=BB84_47 Depth=2
	s_and_not1_saveexec_b32 s5, s5
	s_cbranch_execz .LBB84_100
; %bb.99:                               ;   in Loop: Header=BB84_47 Depth=2
	v_dual_mov_b32 v30, v100 :: v_dual_and_b32 v31, 0x7fffffff, v101
	v_dual_mov_b32 v116, v102 :: v_dual_and_b32 v117, 0x7fffffff, v103
	s_delay_alu instid0(VALU_DEP_1) | instskip(SKIP_1) | instid1(VALU_DEP_2)
	v_div_scale_f64 v[118:119], null, v[116:117], v[116:117], v[30:31]
	v_div_scale_f64 v[30:31], vcc_lo, v[30:31], v[116:117], v[30:31]
	v_rcp_f64_e32 v[128:129], v[118:119]
	s_waitcnt_depctr 0xfff
	v_fma_f64 v[162:163], -v[118:119], v[128:129], 1.0
	s_delay_alu instid0(VALU_DEP_1) | instskip(NEXT) | instid1(VALU_DEP_1)
	v_fma_f64 v[128:129], v[128:129], v[162:163], v[128:129]
	v_fma_f64 v[162:163], -v[118:119], v[128:129], 1.0
	s_delay_alu instid0(VALU_DEP_1) | instskip(NEXT) | instid1(VALU_DEP_1)
	v_fma_f64 v[116:117], v[128:129], v[162:163], v[128:129]
	v_mul_f64 v[128:129], v[30:31], v[116:117]
	s_delay_alu instid0(VALU_DEP_1) | instskip(NEXT) | instid1(VALU_DEP_1)
	v_fma_f64 v[30:31], -v[118:119], v[128:129], v[30:31]
	v_div_fmas_f64 v[30:31], v[30:31], v[116:117], v[128:129]
	s_delay_alu instid0(VALU_DEP_1) | instskip(NEXT) | instid1(VALU_DEP_1)
	v_div_fixup_f64 v[30:31], v[30:31], |v[102:103]|, |v[100:101]|
	v_fma_f64 v[30:31], v[30:31], v[30:31], 1.0
	s_delay_alu instid0(VALU_DEP_1) | instskip(SKIP_1) | instid1(VALU_DEP_1)
	v_cmp_gt_f64_e32 vcc_lo, 0x10000000, v[30:31]
	v_cndmask_b32_e64 v51, 0, 1, vcc_lo
	v_lshlrev_b32_e32 v51, 8, v51
	s_delay_alu instid0(VALU_DEP_1) | instskip(SKIP_1) | instid1(VALU_DEP_2)
	v_ldexp_f64 v[30:31], v[30:31], v51
	v_cndmask_b32_e64 v51, 0, 0xffffff80, vcc_lo
	v_rsq_f64_e32 v[116:117], v[30:31]
	v_cmp_class_f64_e64 vcc_lo, v[30:31], 0x260
	s_waitcnt_depctr 0xfff
	v_mul_f64 v[118:119], v[30:31], v[116:117]
	v_mul_f64 v[116:117], v[116:117], 0.5
	s_delay_alu instid0(VALU_DEP_1) | instskip(NEXT) | instid1(VALU_DEP_1)
	v_fma_f64 v[128:129], -v[116:117], v[118:119], 0.5
	v_fma_f64 v[118:119], v[118:119], v[128:129], v[118:119]
	v_fma_f64 v[116:117], v[116:117], v[128:129], v[116:117]
	s_delay_alu instid0(VALU_DEP_2) | instskip(NEXT) | instid1(VALU_DEP_1)
	v_fma_f64 v[128:129], -v[118:119], v[118:119], v[30:31]
	v_fma_f64 v[118:119], v[128:129], v[116:117], v[118:119]
	s_delay_alu instid0(VALU_DEP_1) | instskip(NEXT) | instid1(VALU_DEP_1)
	v_fma_f64 v[128:129], -v[118:119], v[118:119], v[30:31]
	v_fma_f64 v[116:117], v[128:129], v[116:117], v[118:119]
	s_delay_alu instid0(VALU_DEP_1) | instskip(NEXT) | instid1(VALU_DEP_1)
	v_ldexp_f64 v[116:117], v[116:117], v51
	v_dual_cndmask_b32 v30, v116, v30 :: v_dual_cndmask_b32 v31, v117, v31
	s_delay_alu instid0(VALU_DEP_1)
	v_mul_f64 v[116:117], |v[102:103]|, v[30:31]
.LBB84_100:                             ;   in Loop: Header=BB84_47 Depth=2
	s_or_b32 exec_lo, exec_lo, s5
	v_cmp_gt_f64_e64 vcc_lo, |v[112:113]|, |v[28:29]|
	v_add_f64 v[128:129], v[112:113], v[28:29]
	s_mov_b32 s17, exec_lo
                                        ; implicit-def: $vgpr51
                                        ; implicit-def: $vgpr30_vgpr31
	v_dual_cndmask_b32 v119, v113, v29 :: v_dual_cndmask_b32 v118, v112, v28
	v_dual_cndmask_b32 v113, v29, v113 :: v_dual_cndmask_b32 v112, v28, v112
	s_delay_alu instid0(VALU_DEP_3)
	v_cmpx_ngt_f64_e32 0, v[128:129]
	s_xor_b32 s17, exec_lo, s17
	s_cbranch_execz .LBB84_106
; %bb.101:                              ;   in Loop: Header=BB84_47 Depth=2
	s_mov_b32 s18, exec_lo
                                        ; implicit-def: $sgpr5
                                        ; implicit-def: $vgpr30_vgpr31
	v_cmpx_nlt_f64_e32 0, v[128:129]
	s_xor_b32 s18, exec_lo, s18
; %bb.102:                              ;   in Loop: Header=BB84_47 Depth=2
	v_mul_f64 v[28:29], v[116:117], 0.5
	v_mul_f64 v[30:31], v[116:117], -0.5
	s_mov_b32 s5, 1
                                        ; implicit-def: $vgpr128_vgpr129
                                        ; implicit-def: $vgpr112_vgpr113
                                        ; implicit-def: $vgpr114_vgpr115
                                        ; implicit-def: $vgpr118_vgpr119
; %bb.103:                              ;   in Loop: Header=BB84_47 Depth=2
	s_or_saveexec_b32 s18, s18
	v_mov_b32_e32 v51, s5
	s_xor_b32 exec_lo, exec_lo, s18
	s_cbranch_execz .LBB84_105
; %bb.104:                              ;   in Loop: Header=BB84_47 Depth=2
	v_add_f64 v[28:29], v[128:129], v[116:117]
	v_mov_b32_e32 v51, 1
	s_delay_alu instid0(VALU_DEP_2) | instskip(NEXT) | instid1(VALU_DEP_1)
	v_mul_f64 v[28:29], v[28:29], 0.5
	v_div_scale_f64 v[30:31], null, v[28:29], v[28:29], v[112:113]
	v_div_scale_f64 v[128:129], null, v[28:29], v[28:29], v[114:115]
	v_div_scale_f64 v[178:179], vcc_lo, v[112:113], v[28:29], v[112:113]
	s_delay_alu instid0(VALU_DEP_3) | instskip(NEXT) | instid1(VALU_DEP_2)
	v_rcp_f64_e32 v[162:163], v[30:31]
	v_rcp_f64_e32 v[164:165], v[128:129]
	s_waitcnt_depctr 0xfff
	v_fma_f64 v[166:167], -v[30:31], v[162:163], 1.0
	v_fma_f64 v[176:177], -v[128:129], v[164:165], 1.0
	s_delay_alu instid0(VALU_DEP_2) | instskip(NEXT) | instid1(VALU_DEP_2)
	v_fma_f64 v[162:163], v[162:163], v[166:167], v[162:163]
	v_fma_f64 v[164:165], v[164:165], v[176:177], v[164:165]
	s_delay_alu instid0(VALU_DEP_2) | instskip(NEXT) | instid1(VALU_DEP_2)
	v_fma_f64 v[166:167], -v[30:31], v[162:163], 1.0
	v_fma_f64 v[176:177], -v[128:129], v[164:165], 1.0
	s_delay_alu instid0(VALU_DEP_2) | instskip(SKIP_1) | instid1(VALU_DEP_3)
	v_fma_f64 v[162:163], v[162:163], v[166:167], v[162:163]
	v_div_scale_f64 v[166:167], s5, v[114:115], v[28:29], v[114:115]
	v_fma_f64 v[164:165], v[164:165], v[176:177], v[164:165]
	s_delay_alu instid0(VALU_DEP_3) | instskip(NEXT) | instid1(VALU_DEP_2)
	v_mul_f64 v[176:177], v[178:179], v[162:163]
	v_mul_f64 v[180:181], v[166:167], v[164:165]
	s_delay_alu instid0(VALU_DEP_2) | instskip(NEXT) | instid1(VALU_DEP_2)
	v_fma_f64 v[30:31], -v[30:31], v[176:177], v[178:179]
	v_fma_f64 v[128:129], -v[128:129], v[180:181], v[166:167]
	s_delay_alu instid0(VALU_DEP_2) | instskip(SKIP_1) | instid1(VALU_DEP_2)
	v_div_fmas_f64 v[30:31], v[30:31], v[162:163], v[176:177]
	s_mov_b32 vcc_lo, s5
	v_div_fmas_f64 v[128:129], v[128:129], v[164:165], v[180:181]
	s_delay_alu instid0(VALU_DEP_2) | instskip(NEXT) | instid1(VALU_DEP_2)
	v_div_fixup_f64 v[30:31], v[30:31], v[28:29], v[112:113]
	v_div_fixup_f64 v[128:129], v[128:129], v[28:29], v[114:115]
	s_delay_alu instid0(VALU_DEP_1) | instskip(NEXT) | instid1(VALU_DEP_1)
	v_mul_f64 v[112:113], v[114:115], v[128:129]
	v_fma_f64 v[30:31], v[118:119], v[30:31], -v[112:113]
.LBB84_105:                             ;   in Loop: Header=BB84_47 Depth=2
	s_or_b32 exec_lo, exec_lo, s18
                                        ; implicit-def: $vgpr128_vgpr129
                                        ; implicit-def: $vgpr112_vgpr113
                                        ; implicit-def: $vgpr114_vgpr115
                                        ; implicit-def: $vgpr118_vgpr119
.LBB84_106:                             ;   in Loop: Header=BB84_47 Depth=2
	s_and_not1_saveexec_b32 s17, s17
	s_cbranch_execz .LBB84_108
; %bb.107:                              ;   in Loop: Header=BB84_47 Depth=2
	v_add_f64 v[28:29], v[128:129], -v[116:117]
	v_mov_b32_e32 v51, -1
	s_delay_alu instid0(VALU_DEP_2) | instskip(NEXT) | instid1(VALU_DEP_1)
	v_mul_f64 v[28:29], v[28:29], 0.5
	v_div_scale_f64 v[30:31], null, v[28:29], v[28:29], v[112:113]
	v_div_scale_f64 v[128:129], null, v[28:29], v[28:29], v[114:115]
	v_div_scale_f64 v[178:179], vcc_lo, v[112:113], v[28:29], v[112:113]
	s_delay_alu instid0(VALU_DEP_3) | instskip(NEXT) | instid1(VALU_DEP_2)
	v_rcp_f64_e32 v[162:163], v[30:31]
	v_rcp_f64_e32 v[164:165], v[128:129]
	s_waitcnt_depctr 0xfff
	v_fma_f64 v[166:167], -v[30:31], v[162:163], 1.0
	v_fma_f64 v[176:177], -v[128:129], v[164:165], 1.0
	s_delay_alu instid0(VALU_DEP_2) | instskip(NEXT) | instid1(VALU_DEP_2)
	v_fma_f64 v[162:163], v[162:163], v[166:167], v[162:163]
	v_fma_f64 v[164:165], v[164:165], v[176:177], v[164:165]
	s_delay_alu instid0(VALU_DEP_2) | instskip(NEXT) | instid1(VALU_DEP_2)
	v_fma_f64 v[166:167], -v[30:31], v[162:163], 1.0
	v_fma_f64 v[176:177], -v[128:129], v[164:165], 1.0
	s_delay_alu instid0(VALU_DEP_2) | instskip(SKIP_1) | instid1(VALU_DEP_3)
	v_fma_f64 v[162:163], v[162:163], v[166:167], v[162:163]
	v_div_scale_f64 v[166:167], s5, v[114:115], v[28:29], v[114:115]
	v_fma_f64 v[164:165], v[164:165], v[176:177], v[164:165]
	s_delay_alu instid0(VALU_DEP_3) | instskip(NEXT) | instid1(VALU_DEP_2)
	v_mul_f64 v[176:177], v[178:179], v[162:163]
	v_mul_f64 v[180:181], v[166:167], v[164:165]
	s_delay_alu instid0(VALU_DEP_2) | instskip(NEXT) | instid1(VALU_DEP_2)
	v_fma_f64 v[30:31], -v[30:31], v[176:177], v[178:179]
	v_fma_f64 v[128:129], -v[128:129], v[180:181], v[166:167]
	s_delay_alu instid0(VALU_DEP_2) | instskip(SKIP_1) | instid1(VALU_DEP_2)
	v_div_fmas_f64 v[30:31], v[30:31], v[162:163], v[176:177]
	s_mov_b32 vcc_lo, s5
	v_div_fmas_f64 v[128:129], v[128:129], v[164:165], v[180:181]
	s_delay_alu instid0(VALU_DEP_2) | instskip(NEXT) | instid1(VALU_DEP_2)
	v_div_fixup_f64 v[30:31], v[30:31], v[28:29], v[112:113]
	v_div_fixup_f64 v[128:129], v[128:129], v[28:29], v[114:115]
	s_delay_alu instid0(VALU_DEP_1) | instskip(NEXT) | instid1(VALU_DEP_1)
	v_mul_f64 v[112:113], v[114:115], v[128:129]
	v_fma_f64 v[30:31], v[118:119], v[30:31], -v[112:113]
.LBB84_108:                             ;   in Loop: Header=BB84_47 Depth=2
	s_or_b32 exec_lo, exec_lo, s17
	s_delay_alu instid0(SALU_CYCLE_1)
	s_mov_b32 s17, exec_lo
                                        ; implicit-def: $vgpr112_vgpr113
                                        ; implicit-def: $sgpr5
	v_cmpx_le_f64_e32 0, v[102:103]
	s_xor_b32 s17, exec_lo, s17
; %bb.109:                              ;   in Loop: Header=BB84_47 Depth=2
	v_add_f64 v[112:113], v[102:103], v[116:117]
	s_mov_b32 s5, 1
                                        ; implicit-def: $vgpr102_vgpr103
                                        ; implicit-def: $vgpr116_vgpr117
; %bb.110:                              ;   in Loop: Header=BB84_47 Depth=2
	s_or_saveexec_b32 s17, s17
	v_mov_b32_e32 v118, s5
	s_xor_b32 exec_lo, exec_lo, s17
; %bb.111:                              ;   in Loop: Header=BB84_47 Depth=2
	v_add_f64 v[112:113], v[102:103], -v[116:117]
	v_mov_b32_e32 v118, -1
; %bb.112:                              ;   in Loop: Header=BB84_47 Depth=2
	s_or_b32 exec_lo, exec_lo, s17
	s_delay_alu instid0(VALU_DEP_2) | instskip(NEXT) | instid1(VALU_DEP_1)
	v_cmp_ngt_f64_e64 s5, |v[112:113]|, |v[100:101]|
                                        ; implicit-def: $vgpr102_vgpr103
                                        ; implicit-def: $vgpr114_vgpr115
	s_and_saveexec_b32 s17, s5
	s_delay_alu instid0(SALU_CYCLE_1)
	s_xor_b32 s5, exec_lo, s17
	s_cbranch_execz .LBB84_116
; %bb.113:                              ;   in Loop: Header=BB84_47 Depth=2
	v_mov_b32_e32 v102, 0
	v_dual_mov_b32 v103, 0x3ff00000 :: v_dual_mov_b32 v114, 0
	v_mov_b32_e32 v115, 0
	s_mov_b32 s17, exec_lo
	v_cmpx_neq_f64_e32 0, v[100:101]
	s_cbranch_execz .LBB84_115
; %bb.114:                              ;   in Loop: Header=BB84_47 Depth=2
	v_div_scale_f64 v[102:103], null, v[100:101], v[100:101], -v[112:113]
	v_div_scale_f64 v[128:129], vcc_lo, -v[112:113], v[100:101], -v[112:113]
	s_delay_alu instid0(VALU_DEP_2) | instskip(SKIP_2) | instid1(VALU_DEP_1)
	v_rcp_f64_e32 v[114:115], v[102:103]
	s_waitcnt_depctr 0xfff
	v_fma_f64 v[116:117], -v[102:103], v[114:115], 1.0
	v_fma_f64 v[114:115], v[114:115], v[116:117], v[114:115]
	s_delay_alu instid0(VALU_DEP_1) | instskip(NEXT) | instid1(VALU_DEP_1)
	v_fma_f64 v[116:117], -v[102:103], v[114:115], 1.0
	v_fma_f64 v[114:115], v[114:115], v[116:117], v[114:115]
	s_delay_alu instid0(VALU_DEP_1) | instskip(NEXT) | instid1(VALU_DEP_1)
	v_mul_f64 v[116:117], v[128:129], v[114:115]
	v_fma_f64 v[102:103], -v[102:103], v[116:117], v[128:129]
	s_delay_alu instid0(VALU_DEP_1) | instskip(NEXT) | instid1(VALU_DEP_1)
	v_div_fmas_f64 v[102:103], v[102:103], v[114:115], v[116:117]
	v_div_fixup_f64 v[100:101], v[102:103], v[100:101], -v[112:113]
	s_delay_alu instid0(VALU_DEP_1) | instskip(NEXT) | instid1(VALU_DEP_1)
	v_fma_f64 v[102:103], v[100:101], v[100:101], 1.0
	v_cmp_gt_f64_e32 vcc_lo, 0x10000000, v[102:103]
	v_cndmask_b32_e64 v112, 0, 1, vcc_lo
	s_delay_alu instid0(VALU_DEP_1) | instskip(NEXT) | instid1(VALU_DEP_1)
	v_lshlrev_b32_e32 v112, 8, v112
	v_ldexp_f64 v[102:103], v[102:103], v112
	s_delay_alu instid0(VALU_DEP_1) | instskip(SKIP_3) | instid1(VALU_DEP_1)
	v_rsq_f64_e32 v[112:113], v[102:103]
	s_waitcnt_depctr 0xfff
	v_mul_f64 v[114:115], v[102:103], v[112:113]
	v_mul_f64 v[112:113], v[112:113], 0.5
	v_fma_f64 v[116:117], -v[112:113], v[114:115], 0.5
	s_delay_alu instid0(VALU_DEP_1) | instskip(SKIP_1) | instid1(VALU_DEP_2)
	v_fma_f64 v[114:115], v[114:115], v[116:117], v[114:115]
	v_fma_f64 v[112:113], v[112:113], v[116:117], v[112:113]
	v_fma_f64 v[116:117], -v[114:115], v[114:115], v[102:103]
	s_delay_alu instid0(VALU_DEP_1) | instskip(NEXT) | instid1(VALU_DEP_1)
	v_fma_f64 v[114:115], v[116:117], v[112:113], v[114:115]
	v_fma_f64 v[116:117], -v[114:115], v[114:115], v[102:103]
	s_delay_alu instid0(VALU_DEP_1) | instskip(SKIP_2) | instid1(VALU_DEP_2)
	v_fma_f64 v[112:113], v[116:117], v[112:113], v[114:115]
	v_cndmask_b32_e64 v114, 0, 0xffffff80, vcc_lo
	v_cmp_class_f64_e64 vcc_lo, v[102:103], 0x260
	v_ldexp_f64 v[112:113], v[112:113], v114
	s_delay_alu instid0(VALU_DEP_1) | instskip(NEXT) | instid1(VALU_DEP_1)
	v_dual_cndmask_b32 v103, v113, v103 :: v_dual_cndmask_b32 v102, v112, v102
	v_div_scale_f64 v[112:113], null, v[102:103], v[102:103], 1.0
	s_delay_alu instid0(VALU_DEP_1) | instskip(SKIP_2) | instid1(VALU_DEP_1)
	v_rcp_f64_e32 v[114:115], v[112:113]
	s_waitcnt_depctr 0xfff
	v_fma_f64 v[116:117], -v[112:113], v[114:115], 1.0
	v_fma_f64 v[114:115], v[114:115], v[116:117], v[114:115]
	s_delay_alu instid0(VALU_DEP_1) | instskip(NEXT) | instid1(VALU_DEP_1)
	v_fma_f64 v[116:117], -v[112:113], v[114:115], 1.0
	v_fma_f64 v[114:115], v[114:115], v[116:117], v[114:115]
	v_div_scale_f64 v[116:117], vcc_lo, 1.0, v[102:103], 1.0
	s_delay_alu instid0(VALU_DEP_1) | instskip(NEXT) | instid1(VALU_DEP_1)
	v_mul_f64 v[128:129], v[116:117], v[114:115]
	v_fma_f64 v[112:113], -v[112:113], v[128:129], v[116:117]
	s_delay_alu instid0(VALU_DEP_1) | instskip(NEXT) | instid1(VALU_DEP_1)
	v_div_fmas_f64 v[112:113], v[112:113], v[114:115], v[128:129]
	v_div_fixup_f64 v[102:103], v[112:113], v[102:103], 1.0
	s_delay_alu instid0(VALU_DEP_1)
	v_mul_f64 v[114:115], v[100:101], v[102:103]
.LBB84_115:                             ;   in Loop: Header=BB84_47 Depth=2
	s_or_b32 exec_lo, exec_lo, s17
                                        ; implicit-def: $vgpr112_vgpr113
                                        ; implicit-def: $vgpr100_vgpr101
.LBB84_116:                             ;   in Loop: Header=BB84_47 Depth=2
	s_and_not1_saveexec_b32 s5, s5
	s_cbranch_execz .LBB84_118
; %bb.117:                              ;   in Loop: Header=BB84_47 Depth=2
	v_div_scale_f64 v[102:103], null, v[112:113], v[112:113], -v[100:101]
	v_div_scale_f64 v[128:129], vcc_lo, -v[100:101], v[112:113], -v[100:101]
	s_delay_alu instid0(VALU_DEP_2) | instskip(SKIP_2) | instid1(VALU_DEP_1)
	v_rcp_f64_e32 v[114:115], v[102:103]
	s_waitcnt_depctr 0xfff
	v_fma_f64 v[116:117], -v[102:103], v[114:115], 1.0
	v_fma_f64 v[114:115], v[114:115], v[116:117], v[114:115]
	s_delay_alu instid0(VALU_DEP_1) | instskip(NEXT) | instid1(VALU_DEP_1)
	v_fma_f64 v[116:117], -v[102:103], v[114:115], 1.0
	v_fma_f64 v[114:115], v[114:115], v[116:117], v[114:115]
	s_delay_alu instid0(VALU_DEP_1) | instskip(NEXT) | instid1(VALU_DEP_1)
	v_mul_f64 v[116:117], v[128:129], v[114:115]
	v_fma_f64 v[102:103], -v[102:103], v[116:117], v[128:129]
	s_delay_alu instid0(VALU_DEP_1) | instskip(NEXT) | instid1(VALU_DEP_1)
	v_div_fmas_f64 v[102:103], v[102:103], v[114:115], v[116:117]
	v_div_fixup_f64 v[100:101], v[102:103], v[112:113], -v[100:101]
	s_delay_alu instid0(VALU_DEP_1) | instskip(NEXT) | instid1(VALU_DEP_1)
	v_fma_f64 v[102:103], v[100:101], v[100:101], 1.0
	v_cmp_gt_f64_e32 vcc_lo, 0x10000000, v[102:103]
	v_cndmask_b32_e64 v112, 0, 1, vcc_lo
	s_delay_alu instid0(VALU_DEP_1) | instskip(NEXT) | instid1(VALU_DEP_1)
	v_lshlrev_b32_e32 v112, 8, v112
	v_ldexp_f64 v[102:103], v[102:103], v112
	s_delay_alu instid0(VALU_DEP_1) | instskip(SKIP_3) | instid1(VALU_DEP_1)
	v_rsq_f64_e32 v[112:113], v[102:103]
	s_waitcnt_depctr 0xfff
	v_mul_f64 v[114:115], v[102:103], v[112:113]
	v_mul_f64 v[112:113], v[112:113], 0.5
	v_fma_f64 v[116:117], -v[112:113], v[114:115], 0.5
	s_delay_alu instid0(VALU_DEP_1) | instskip(SKIP_1) | instid1(VALU_DEP_2)
	v_fma_f64 v[114:115], v[114:115], v[116:117], v[114:115]
	v_fma_f64 v[112:113], v[112:113], v[116:117], v[112:113]
	v_fma_f64 v[116:117], -v[114:115], v[114:115], v[102:103]
	s_delay_alu instid0(VALU_DEP_1) | instskip(NEXT) | instid1(VALU_DEP_1)
	v_fma_f64 v[114:115], v[116:117], v[112:113], v[114:115]
	v_fma_f64 v[116:117], -v[114:115], v[114:115], v[102:103]
	s_delay_alu instid0(VALU_DEP_1) | instskip(SKIP_2) | instid1(VALU_DEP_2)
	v_fma_f64 v[112:113], v[116:117], v[112:113], v[114:115]
	v_cndmask_b32_e64 v114, 0, 0xffffff80, vcc_lo
	v_cmp_class_f64_e64 vcc_lo, v[102:103], 0x260
	v_ldexp_f64 v[112:113], v[112:113], v114
	s_delay_alu instid0(VALU_DEP_1) | instskip(NEXT) | instid1(VALU_DEP_1)
	v_dual_cndmask_b32 v103, v113, v103 :: v_dual_cndmask_b32 v102, v112, v102
	v_div_scale_f64 v[112:113], null, v[102:103], v[102:103], 1.0
	s_delay_alu instid0(VALU_DEP_1) | instskip(SKIP_2) | instid1(VALU_DEP_1)
	v_rcp_f64_e32 v[114:115], v[112:113]
	s_waitcnt_depctr 0xfff
	v_fma_f64 v[116:117], -v[112:113], v[114:115], 1.0
	v_fma_f64 v[114:115], v[114:115], v[116:117], v[114:115]
	s_delay_alu instid0(VALU_DEP_1) | instskip(NEXT) | instid1(VALU_DEP_1)
	v_fma_f64 v[116:117], -v[112:113], v[114:115], 1.0
	v_fma_f64 v[114:115], v[114:115], v[116:117], v[114:115]
	v_div_scale_f64 v[116:117], vcc_lo, 1.0, v[102:103], 1.0
	s_delay_alu instid0(VALU_DEP_1) | instskip(NEXT) | instid1(VALU_DEP_1)
	v_mul_f64 v[128:129], v[116:117], v[114:115]
	v_fma_f64 v[112:113], -v[112:113], v[128:129], v[116:117]
	s_delay_alu instid0(VALU_DEP_1) | instskip(NEXT) | instid1(VALU_DEP_1)
	v_div_fmas_f64 v[112:113], v[112:113], v[114:115], v[128:129]
	v_div_fixup_f64 v[114:115], v[112:113], v[102:103], 1.0
	s_delay_alu instid0(VALU_DEP_1)
	v_mul_f64 v[102:103], v[100:101], v[114:115]
.LBB84_118:                             ;   in Loop: Header=BB84_47 Depth=2
	s_or_b32 exec_lo, exec_lo, s5
	v_cmp_eq_u32_e32 vcc_lo, v51, v118
	s_delay_alu instid0(VALU_DEP_2) | instskip(SKIP_1) | instid1(VALU_DEP_1)
	v_xor_b32_e32 v51, 0x80000000, v115
	v_add_co_u32 v96, s5, v12, v96
	v_add_co_ci_u32_e64 v97, s5, v13, v97, s5
	v_dual_cndmask_b32 v101, v115, v103 :: v_dual_cndmask_b32 v100, v114, v102
	s_delay_alu instid0(VALU_DEP_4) | instskip(NEXT) | instid1(VALU_DEP_4)
	v_dual_cndmask_b32 v103, v103, v51 :: v_dual_cndmask_b32 v102, v102, v114
	v_add_co_u32 v112, vcc_lo, v96, v38
	s_delay_alu instid0(VALU_DEP_4)
	v_add_co_ci_u32_e32 v113, vcc_lo, v97, v39, vcc_lo
	v_dual_mov_b32 v51, v50 :: v_dual_add_nc_u32 v84, 2, v84
	s_clause 0x1
	flat_store_b64 v[96:97], v[102:103]
	flat_store_b64 v[112:113], v[100:101]
	flat_store_b128 v[85:86], v[28:31]
	flat_store_b64 v[98:99], v[50:51]
	ds_store_b32 v87, v84
	s_or_b32 exec_lo, exec_lo, s16
                                        ; implicit-def: $vgpr85_vgpr86
                                        ; implicit-def: $vgpr112_vgpr113
                                        ; implicit-def: $vgpr29
.LBB84_119:                             ;   in Loop: Header=BB84_47 Depth=2
	s_and_not1_saveexec_b32 s5, s15
	s_cbranch_execz .LBB84_121
.LBB84_120:                             ;   in Loop: Header=BB84_47 Depth=2
	flat_store_b64 v[85:86], v[112:113]
	ds_store_b32 v87, v29
.LBB84_121:                             ;   in Loop: Header=BB84_47 Depth=2
	s_or_b32 exec_lo, exec_lo, s5
.LBB84_122:                             ;   in Loop: Header=BB84_47 Depth=2
	s_delay_alu instid0(SALU_CYCLE_1)
	s_or_b32 exec_lo, exec_lo, s6
	s_waitcnt vmcnt(0) lgkmcnt(0)
	s_waitcnt_vscnt null, 0x0
	s_barrier
	buffer_gl0_inv
	ds_load_b32 v84, v161
	ds_load_b32 v28, v87
	s_mov_b32 s15, exec_lo
	s_waitcnt lgkmcnt(0)
	v_cmpx_ne_u32_e64 v84, v28
	s_cbranch_execz .LBB84_46
; %bb.123:                              ;   in Loop: Header=BB84_47 Depth=2
	s_and_saveexec_b32 s16, s3
	s_cbranch_execz .LBB84_45
; %bb.124:                              ;   in Loop: Header=BB84_47 Depth=2
	global_load_b32 v28, v[21:22], off offset:16
	s_mov_b32 s17, 0
	s_waitcnt vmcnt(0)
	ds_load_b32 v28, v28
	s_waitcnt lgkmcnt(0)
	v_mul_lo_u32 v29, v28, v9
	v_sub_nc_u32_e32 v51, v84, v28
	v_mov_b32_e32 v31, v50
	s_delay_alu instid0(VALU_DEP_2) | instskip(NEXT) | instid1(VALU_DEP_4)
	v_mad_i64_i32 v[96:97], null, v51, v9, 0
	v_ashrrev_i32_e32 v30, 31, v29
	v_cmp_lt_i32_e32 vcc_lo, 0, v51
	s_delay_alu instid0(VALU_DEP_2) | instskip(SKIP_3) | instid1(VALU_DEP_3)
	v_lshlrev_b64 v[84:85], 3, v[29:30]
	v_add_nc_u32_e32 v30, -1, v51
	v_ashrrev_i32_e32 v29, 31, v28
	v_lshlrev_b64 v[96:97], 3, v[96:97]
	v_lshlrev_b64 v[100:101], 3, v[30:31]
	v_mad_u64_u32 v[98:99], null, v48, v30, v[84:85]
	s_delay_alu instid0(VALU_DEP_4) | instskip(NEXT) | instid1(VALU_DEP_1)
	v_lshlrev_b64 v[28:29], 3, v[28:29]
	v_add_co_u32 v28, s5, v28, v100
	s_delay_alu instid0(VALU_DEP_3) | instskip(NEXT) | instid1(VALU_DEP_3)
	v_mov_b32_e32 v31, v99
	v_add_co_ci_u32_e64 v29, s5, v29, v101, s5
	v_add_co_u32 v102, s5, v7, v84
	v_mov_b32_e32 v84, v0
	s_delay_alu instid0(VALU_DEP_4) | instskip(SKIP_2) | instid1(VALU_DEP_1)
	v_mad_u64_u32 v[99:100], null, v49, v30, v[31:32]
	v_add_co_ci_u32_e64 v103, s5, v8, v85, s5
	v_add_co_u32 v28, s5, v12, v28
	v_add_co_ci_u32_e64 v29, s5, v13, v29, s5
	s_delay_alu instid0(VALU_DEP_4) | instskip(SKIP_1) | instid1(VALU_DEP_1)
	v_mov_b32_e32 v31, v99
	v_add_co_u32 v112, s5, v102, v96
	v_add_co_ci_u32_e64 v113, s5, v103, v97, s5
	v_add_co_u32 v30, s5, v145, v98
	s_delay_alu instid0(VALU_DEP_1)
	v_add_co_ci_u32_e64 v31, s5, v146, v31, s5
	s_branch .LBB84_126
.LBB84_125:                             ;   in Loop: Header=BB84_126 Depth=3
	s_or_b32 exec_lo, exec_lo, s18
	v_add_nc_u32_e32 v84, v84, v26
	v_add_co_u32 v30, s6, v30, v36
	s_delay_alu instid0(VALU_DEP_1) | instskip(NEXT) | instid1(VALU_DEP_3)
	v_add_co_ci_u32_e64 v31, s6, v31, v37, s6
	v_cmp_ge_i32_e64 s5, v84, v2
	s_waitcnt vmcnt(0) lgkmcnt(0)
	flat_store_b64 v[96:97], v[85:86]
	s_or_b32 s17, s5, s17
	s_delay_alu instid0(SALU_CYCLE_1)
	s_and_not1_b32 exec_lo, exec_lo, s17
	s_cbranch_execz .LBB84_45
.LBB84_126:                             ;   Parent Loop BB84_8 Depth=1
                                        ;     Parent Loop BB84_47 Depth=2
                                        ; =>    This Loop Header: Depth=3
                                        ;         Child Loop BB84_128 Depth 4
	v_ashrrev_i32_e32 v85, 31, v84
	s_delay_alu instid0(VALU_DEP_1) | instskip(NEXT) | instid1(VALU_DEP_1)
	v_lshlrev_b64 v[96:97], 3, v[84:85]
	v_add_co_u32 v85, s5, v112, v96
	s_delay_alu instid0(VALU_DEP_1) | instskip(SKIP_1) | instid1(VALU_DEP_1)
	v_add_co_ci_u32_e64 v86, s5, v113, v97, s5
	v_add_co_u32 v96, s5, v102, v96
	v_add_co_ci_u32_e64 v97, s5, v103, v97, s5
	flat_load_b64 v[85:86], v[85:86]
	s_and_saveexec_b32 s18, vcc_lo
	s_cbranch_execz .LBB84_125
; %bb.127:                              ;   in Loop: Header=BB84_126 Depth=3
	v_dual_mov_b32 v99, v29 :: v_dual_mov_b32 v98, v28
	v_dual_mov_b32 v101, v31 :: v_dual_mov_b32 v100, v30
	v_mov_b32_e32 v114, v51
	s_mov_b32 s19, 0
	s_set_inst_prefetch_distance 0x1
	.p2align	6
.LBB84_128:                             ;   Parent Loop BB84_8 Depth=1
                                        ;     Parent Loop BB84_47 Depth=2
                                        ;       Parent Loop BB84_126 Depth=3
                                        ; =>      This Inner Loop Header: Depth=4
	v_add_co_u32 v115, s5, v98, v148
	s_delay_alu instid0(VALU_DEP_1)
	v_add_co_ci_u32_e64 v116, s5, v99, v149, s5
	v_mad_u64_u32 v[163:164], null, v114, v9, 0
	flat_load_b64 v[117:118], v[100:101]
	s_clause 0x1
	flat_load_b64 v[128:129], v[98:99]
	flat_load_b64 v[115:116], v[115:116]
	v_add_co_u32 v100, s5, v100, v3
	s_delay_alu instid0(VALU_DEP_1) | instskip(SKIP_1) | instid1(VALU_DEP_1)
	v_add_co_ci_u32_e64 v101, s5, v101, v147, s5
	v_add_co_u32 v98, s5, v98, -8
	v_add_co_ci_u32_e64 v99, s5, -1, v99, s5
	s_waitcnt vmcnt(0) lgkmcnt(0)
	v_mul_f64 v[161:162], v[115:116], v[117:118]
	v_mul_f64 v[117:118], v[128:129], v[117:118]
	s_delay_alu instid0(VALU_DEP_2) | instskip(NEXT) | instid1(VALU_DEP_2)
	v_fma_f64 v[128:129], v[85:86], v[128:129], -v[161:162]
	v_fma_f64 v[85:86], v[85:86], v[115:116], v[117:118]
	v_dual_mov_b32 v115, v164 :: v_dual_add_nc_u32 v118, -1, v114
	s_delay_alu instid0(VALU_DEP_1) | instskip(NEXT) | instid1(VALU_DEP_2)
	v_mad_u64_u32 v[116:117], null, v114, v10, v[115:116]
	v_cmp_eq_u32_e64 s5, 0, v118
	s_delay_alu instid0(VALU_DEP_1) | instskip(NEXT) | instid1(VALU_DEP_2)
	s_or_b32 s19, s5, s19
	v_mov_b32_e32 v164, v116
	s_delay_alu instid0(VALU_DEP_1) | instskip(NEXT) | instid1(VALU_DEP_1)
	v_lshlrev_b64 v[114:115], 3, v[163:164]
	v_add_co_u32 v116, s6, v96, v114
	s_delay_alu instid0(VALU_DEP_1)
	v_add_co_ci_u32_e64 v117, s6, v97, v115, s6
	v_mov_b32_e32 v114, v118
	flat_store_b64 v[116:117], v[128:129]
	s_and_not1_b32 exec_lo, exec_lo, s19
	s_cbranch_execnz .LBB84_128
; %bb.129:                              ;   in Loop: Header=BB84_126 Depth=3
	s_set_inst_prefetch_distance 0x2
	s_or_b32 exec_lo, exec_lo, s19
	s_branch .LBB84_125
.LBB84_130:                             ;   in Loop: Header=BB84_47 Depth=2
	s_or_b32 exec_lo, exec_lo, s16
                                        ; implicit-def: $vgpr85_vgpr86
                                        ; implicit-def: $vgpr112_vgpr113
                                        ; implicit-def: $vgpr29
	s_and_not1_saveexec_b32 s5, s15
	s_cbranch_execnz .LBB84_120
	s_branch .LBB84_121
.LBB84_131:                             ;   in Loop: Header=BB84_8 Depth=1
	v_lshlrev_b64 v[70:71], 3, v[28:29]
	v_dual_mov_b32 v65, v29 :: v_dual_mov_b32 v64, v28
	v_dual_mov_b32 v85, v29 :: v_dual_mov_b32 v84, v28
	s_mov_b32 s13, 0
	s_delay_alu instid0(VALU_DEP_3) | instskip(NEXT) | instid1(VALU_DEP_4)
	v_add_co_u32 v30, vcc_lo, v23, v70
	v_add_co_ci_u32_e32 v31, vcc_lo, v4, v71, vcc_lo
	v_add_co_u32 v86, vcc_lo, v5, v70
	s_waitcnt vmcnt(0)
	v_add_co_ci_u32_e32 v87, vcc_lo, v6, v71, vcc_lo
	flat_load_b64 v[82:83], v[30:31]
                                        ; implicit-def: $sgpr12
                                        ; implicit-def: $sgpr15
                                        ; implicit-def: $sgpr14
	s_branch .LBB84_133
.LBB84_132:                             ;   in Loop: Header=BB84_133 Depth=2
	s_or_b32 exec_lo, exec_lo, s16
	s_xor_b32 s4, s14, -1
	s_and_b32 s16, exec_lo, s15
	s_delay_alu instid0(SALU_CYCLE_1) | instskip(SKIP_2) | instid1(SALU_CYCLE_1)
	s_or_b32 s13, s16, s13
	s_and_not1_b32 s12, s12, exec_lo
	s_and_b32 s4, s4, exec_lo
	s_or_b32 s12, s12, s4
	s_and_not1_b32 exec_lo, exec_lo, s13
	s_cbranch_execz .LBB84_135
.LBB84_133:                             ;   Parent Loop BB84_8 Depth=1
                                        ; =>  This Inner Loop Header: Depth=2
	s_waitcnt vmcnt(0) lgkmcnt(0)
	v_cmp_gt_f64_e64 s4, 0x10000000, |v[82:83]|
	s_or_b32 s14, s14, exec_lo
	s_or_b32 s15, s15, exec_lo
	s_delay_alu instid0(VALU_DEP_1) | instskip(NEXT) | instid1(VALU_DEP_1)
	v_cndmask_b32_e64 v29, 0, 1, s4
	v_lshlrev_b32_e32 v29, 8, v29
	s_delay_alu instid0(VALU_DEP_1)
	v_ldexp_f64 v[80:81], |v[82:83]|, v29
	flat_load_b64 v[82:83], v[30:31] offset:8
	v_cmp_class_f64_e64 vcc_lo, v[80:81], 0x260
	v_rsq_f64_e32 v[70:71], v[80:81]
	s_waitcnt_depctr 0xfff
	v_mul_f64 v[100:101], v[80:81], v[70:71]
	v_mul_f64 v[102:103], v[70:71], 0.5
	v_dual_mov_b32 v70, v86 :: v_dual_mov_b32 v71, v87
	flat_load_b64 v[86:87], v[86:87]
	v_fma_f64 v[114:115], -v[102:103], v[100:101], 0.5
	s_delay_alu instid0(VALU_DEP_1) | instskip(SKIP_1) | instid1(VALU_DEP_2)
	v_fma_f64 v[100:101], v[100:101], v[114:115], v[100:101]
	v_fma_f64 v[102:103], v[102:103], v[114:115], v[102:103]
	v_fma_f64 v[114:115], -v[100:101], v[100:101], v[80:81]
	s_delay_alu instid0(VALU_DEP_1) | instskip(NEXT) | instid1(VALU_DEP_1)
	v_fma_f64 v[100:101], v[114:115], v[102:103], v[100:101]
	v_fma_f64 v[114:115], -v[100:101], v[100:101], v[80:81]
	s_delay_alu instid0(VALU_DEP_1) | instskip(SKIP_2) | instid1(VALU_DEP_1)
	v_fma_f64 v[100:101], v[114:115], v[102:103], v[100:101]
	s_waitcnt vmcnt(1) lgkmcnt(1)
	v_cmp_gt_f64_e64 s16, 0x10000000, |v[82:83]|
	v_cndmask_b32_e64 v29, 0, 1, s16
	v_cndmask_b32_e64 v51, 0, 0xffffff80, s16
	s_delay_alu instid0(VALU_DEP_2) | instskip(NEXT) | instid1(VALU_DEP_1)
	v_lshlrev_b32_e32 v29, 8, v29
	v_ldexp_f64 v[96:97], |v[82:83]|, v29
	v_cndmask_b32_e64 v29, 0, 0xffffff80, s4
	s_delay_alu instid0(VALU_DEP_1) | instskip(NEXT) | instid1(VALU_DEP_3)
	v_ldexp_f64 v[100:101], v[100:101], v29
	v_rsq_f64_e32 v[98:99], v[96:97]
	v_cmp_class_f64_e64 s4, v[96:97], 0x260
	s_delay_alu instid0(VALU_DEP_2) | instskip(SKIP_3) | instid1(VALU_DEP_1)
	v_dual_cndmask_b32 v80, v100, v80 :: v_dual_cndmask_b32 v81, v101, v81
	s_waitcnt_depctr 0xfff
	v_mul_f64 v[112:113], v[96:97], v[98:99]
	v_mul_f64 v[98:99], v[98:99], 0.5
	v_fma_f64 v[116:117], -v[98:99], v[112:113], 0.5
	s_delay_alu instid0(VALU_DEP_1) | instskip(SKIP_1) | instid1(VALU_DEP_2)
	v_fma_f64 v[112:113], v[112:113], v[116:117], v[112:113]
	v_fma_f64 v[98:99], v[98:99], v[116:117], v[98:99]
	v_fma_f64 v[116:117], -v[112:113], v[112:113], v[96:97]
	s_delay_alu instid0(VALU_DEP_1) | instskip(NEXT) | instid1(VALU_DEP_1)
	v_fma_f64 v[112:113], v[116:117], v[98:99], v[112:113]
	v_fma_f64 v[116:117], -v[112:113], v[112:113], v[96:97]
	s_delay_alu instid0(VALU_DEP_1) | instskip(NEXT) | instid1(VALU_DEP_1)
	v_fma_f64 v[98:99], v[116:117], v[98:99], v[112:113]
	v_ldexp_f64 v[98:99], v[98:99], v51
	s_delay_alu instid0(VALU_DEP_1) | instskip(NEXT) | instid1(VALU_DEP_2)
	v_cndmask_b32_e64 v97, v99, v97, s4
	v_cndmask_b32_e64 v96, v98, v96, s4
	s_delay_alu instid0(VALU_DEP_1) | instskip(NEXT) | instid1(VALU_DEP_1)
	v_mul_f64 v[80:81], v[80:81], v[96:97]
	v_mul_f64 v[80:81], v[80:81], v[15:16]
	s_waitcnt vmcnt(0) lgkmcnt(0)
	s_delay_alu instid0(VALU_DEP_1) | instskip(SKIP_1) | instid1(VALU_DEP_2)
	v_cmp_nle_f64_e64 s4, |v[86:87]|, v[80:81]
	v_dual_mov_b32 v80, v84 :: v_dual_mov_b32 v81, v85
                                        ; implicit-def: $vgpr84_vgpr85
                                        ; implicit-def: $vgpr86_vgpr87
	s_and_saveexec_b32 s16, s4
	s_cbranch_execz .LBB84_132
; %bb.134:                              ;   in Loop: Header=BB84_133 Depth=2
	s_delay_alu instid0(VALU_DEP_1) | instskip(SKIP_2) | instid1(VALU_DEP_3)
	v_add_co_u32 v84, vcc_lo, v80, 1
	v_add_co_u32 v30, s4, v30, 8
	v_add_co_ci_u32_e32 v85, vcc_lo, 0, v81, vcc_lo
	v_cmp_ge_i32_e32 vcc_lo, v84, v32
	v_add_co_ci_u32_e64 v31, s4, 0, v31, s4
	v_add_co_u32 v86, s4, v70, 8
	s_delay_alu instid0(VALU_DEP_1)
	v_add_co_ci_u32_e64 v87, s4, 0, v71, s4
	s_and_not1_b32 s4, s15, exec_lo
	s_and_b32 s15, vcc_lo, exec_lo
	s_and_not1_b32 s14, s14, exec_lo
	s_or_b32 s15, s4, s15
	s_branch .LBB84_132
.LBB84_135:                             ;   in Loop: Header=BB84_8 Depth=1
	s_or_b32 exec_lo, exec_lo, s13
	v_dual_mov_b32 v30, v32 :: v_dual_mov_b32 v83, v65
	v_dual_mov_b32 v98, v32 :: v_dual_mov_b32 v31, v33
	v_mov_b32_e32 v82, v64
	s_and_not1_b32 s6, s6, exec_lo
	s_and_b32 s12, s12, exec_lo
	s_mov_b32 s4, exec_lo
	s_or_b32 s6, s6, s12
	s_or_b32 exec_lo, exec_lo, s11
	s_and_saveexec_b32 s11, s6
	s_cbranch_execz .LBB84_17
.LBB84_136:                             ;   in Loop: Header=BB84_8 Depth=1
	global_load_b32 v29, v[21:22], off offset:4
	s_and_not1_b32 s4, s4, exec_lo
	s_waitcnt vmcnt(0)
	ds_store_b32 v29, v98
	s_or_b32 exec_lo, exec_lo, s11
	s_and_saveexec_b32 s6, s4
	s_cbranch_execnz .LBB84_18
	s_branch .LBB84_19
.LBB84_137:                             ;   in Loop: Header=BB84_8 Depth=1
	s_or_b32 exec_lo, exec_lo, s14
.LBB84_138:                             ;   in Loop: Header=BB84_8 Depth=1
	s_delay_alu instid0(SALU_CYCLE_1)
	s_or_b32 exec_lo, exec_lo, s13
                                        ; implicit-def: $vgpr87
                                        ; implicit-def: $vgpr51
                                        ; implicit-def: $vgpr84
                                        ; implicit-def: $vgpr98
.LBB84_139:                             ;   in Loop: Header=BB84_8 Depth=1
	s_and_not1_saveexec_b32 s6, s12
	s_cbranch_execz .LBB84_230
; %bb.140:                              ;   in Loop: Header=BB84_8 Depth=1
	s_and_saveexec_b32 s12, s4
	s_cbranch_execz .LBB84_229
; %bb.141:                              ;   in Loop: Header=BB84_8 Depth=1
	s_mov_b32 s13, 0
	s_branch .LBB84_144
.LBB84_142:                             ;   in Loop: Header=BB84_144 Depth=2
	s_or_b32 exec_lo, exec_lo, s15
	s_waitcnt lgkmcnt(0)
	s_waitcnt_vscnt null, 0x0
	s_barrier
	buffer_gl0_inv
	ds_load_b32 v84, v87
.LBB84_143:                             ;   in Loop: Header=BB84_144 Depth=2
	s_or_b32 exec_lo, exec_lo, s14
	ds_load_b32 v51, v82
	ds_load_b32 v98, v150
	s_waitcnt lgkmcnt(1)
	v_cmp_lt_i32_e32 vcc_lo, v84, v51
	s_waitcnt lgkmcnt(0)
	v_cmp_ge_i32_e64 s4, v98, v14
	s_delay_alu instid0(VALU_DEP_1) | instskip(NEXT) | instid1(SALU_CYCLE_1)
	s_or_b32 s4, vcc_lo, s4
	s_and_b32 s4, exec_lo, s4
	s_delay_alu instid0(SALU_CYCLE_1) | instskip(NEXT) | instid1(SALU_CYCLE_1)
	s_or_b32 s13, s4, s13
	s_and_not1_b32 exec_lo, exec_lo, s13
	s_cbranch_execz .LBB84_228
.LBB84_144:                             ;   Parent Loop BB84_8 Depth=1
                                        ; =>  This Loop Header: Depth=2
                                        ;       Child Loop BB84_181 Depth 3
                                        ;       Child Loop BB84_166 Depth 3
	;; [unrolled: 1-line block ×3, first 2 shown]
                                        ;         Child Loop BB84_225 Depth 4
                                        ; implicit-def: $vgpr161
	s_and_saveexec_b32 s4, s0
	s_delay_alu instid0(SALU_CYCLE_1)
	s_xor_b32 s4, exec_lo, s4
	s_cbranch_execz .LBB84_146
; %bb.145:                              ;   in Loop: Header=BB84_144 Depth=2
	global_load_b32 v161, v[21:22], off offset:4
                                        ; implicit-def: $vgpr84
                                        ; implicit-def: $vgpr51
                                        ; implicit-def: $vgpr98
.LBB84_146:                             ;   in Loop: Header=BB84_144 Depth=2
	s_and_not1_saveexec_b32 s5, s4
	s_cbranch_execz .LBB84_219
; %bb.147:                              ;   in Loop: Header=BB84_144 Depth=2
	v_ashrrev_i32_e32 v85, 31, v84
	s_mov_b32 s4, 0
	s_mov_b32 s14, 0
	s_mov_b32 s15, exec_lo
                                        ; implicit-def: $vgpr29_vgpr30
	v_cmpx_le_i32_e64 v84, v51
	s_xor_b32 s15, exec_lo, s15
	s_cbranch_execnz .LBB84_178
; %bb.148:                              ;   in Loop: Header=BB84_144 Depth=2
	s_or_saveexec_b32 s15, s15
	v_mov_b32_e32 v28, v84
	s_xor_b32 exec_lo, exec_lo, s15
	s_cbranch_execnz .LBB84_179
.LBB84_149:                             ;   in Loop: Header=BB84_144 Depth=2
	s_or_b32 exec_lo, exec_lo, s15
                                        ; implicit-def: $vgpr161
	s_and_saveexec_b32 s15, s14
	s_cbranch_execnz .LBB84_184
.LBB84_150:                             ;   in Loop: Header=BB84_144 Depth=2
	s_or_b32 exec_lo, exec_lo, s15
	s_and_saveexec_b32 s14, s4
	s_cbranch_execz .LBB84_152
.LBB84_151:                             ;   in Loop: Header=BB84_144 Depth=2
	s_clause 0x1
	global_load_b32 v161, v[21:22], off offset:4
	global_load_b32 v31, v[21:22], off offset:16
	v_dual_mov_b32 v29, v52 :: v_dual_mov_b32 v28, v151
	v_dual_mov_b32 v51, v50 :: v_dual_mov_b32 v30, v53
	s_waitcnt vmcnt(1)
	ds_store_b32 v161, v151
	s_waitcnt vmcnt(0)
	ds_store_b32 v31, v84
	flat_store_b64 v[66:67], v[50:51]
.LBB84_152:                             ;   in Loop: Header=BB84_144 Depth=2
	s_or_b32 exec_lo, exec_lo, s14
	v_lshlrev_b64 v[96:97], 3, v[29:30]
	v_add_nc_u32_e32 v29, -1, v84
	s_mov_b32 s4, exec_lo
	s_delay_alu instid0(VALU_DEP_2) | instskip(NEXT) | instid1(VALU_DEP_3)
	v_add_co_u32 v85, vcc_lo, v23, v96
	v_add_co_ci_u32_e32 v86, vcc_lo, v4, v97, vcc_lo
	flat_load_b64 v[112:113], v[85:86]
	global_load_b32 v162, v[21:22], off offset:8
	s_waitcnt vmcnt(0) lgkmcnt(0)
	ds_store_b64 v162, v[112:113]
	v_cmpx_ne_u32_e64 v28, v84
	s_xor_b32 s14, exec_lo, s4
	s_cbranch_execz .LBB84_216
; %bb.153:                              ;   in Loop: Header=BB84_144 Depth=2
	v_cmp_ne_u32_e32 vcc_lo, v28, v29
	v_ashrrev_i32_e32 v29, 31, v28
	s_and_saveexec_b32 s4, vcc_lo
	s_delay_alu instid0(SALU_CYCLE_1)
	s_xor_b32 s15, exec_lo, s4
	s_cbranch_execz .LBB84_188
; %bb.154:                              ;   in Loop: Header=BB84_144 Depth=2
	v_add_co_u32 v99, vcc_lo, -8, v85
	v_add_co_ci_u32_e32 v100, vcc_lo, -1, v86, vcc_lo
	v_add_co_u32 v30, vcc_lo, v11, v96
	v_add_co_ci_u32_e32 v31, vcc_lo, v132, v97, vcc_lo
	v_lshlrev_b64 v[102:103], 3, v[28:29]
	flat_load_b64 v[96:97], v[99:100]
	flat_load_b64 v[114:115], v[30:31]
	s_mov_b32 s16, exec_lo
	v_add_co_u32 v100, vcc_lo, v23, v102
	v_add_co_ci_u32_e32 v101, vcc_lo, v4, v103, vcc_lo
	flat_load_b64 v[116:117], v[100:101]
	s_waitcnt vmcnt(2) lgkmcnt(2)
	v_add_f64 v[96:97], v[96:97], -v[112:113]
	s_waitcnt vmcnt(1) lgkmcnt(1)
	v_add_f64 v[118:119], v[114:115], v[114:115]
	s_waitcnt vmcnt(0) lgkmcnt(0)
	v_add_f64 v[112:113], v[116:117], -v[112:113]
	s_delay_alu instid0(VALU_DEP_2) | instskip(SKIP_1) | instid1(VALU_DEP_2)
	v_div_scale_f64 v[128:129], null, v[118:119], v[118:119], v[96:97]
	v_div_scale_f64 v[176:177], vcc_lo, v[96:97], v[118:119], v[96:97]
	v_rcp_f64_e32 v[163:164], v[128:129]
	s_waitcnt_depctr 0xfff
	v_fma_f64 v[165:166], -v[128:129], v[163:164], 1.0
	s_delay_alu instid0(VALU_DEP_1) | instskip(NEXT) | instid1(VALU_DEP_1)
	v_fma_f64 v[163:164], v[163:164], v[165:166], v[163:164]
	v_fma_f64 v[165:166], -v[128:129], v[163:164], 1.0
	s_delay_alu instid0(VALU_DEP_1) | instskip(NEXT) | instid1(VALU_DEP_1)
	v_fma_f64 v[163:164], v[163:164], v[165:166], v[163:164]
	v_mul_f64 v[165:166], v[176:177], v[163:164]
	s_delay_alu instid0(VALU_DEP_1) | instskip(NEXT) | instid1(VALU_DEP_1)
	v_fma_f64 v[128:129], -v[128:129], v[165:166], v[176:177]
	v_div_fmas_f64 v[128:129], v[128:129], v[163:164], v[165:166]
	s_delay_alu instid0(VALU_DEP_1) | instskip(NEXT) | instid1(VALU_DEP_1)
	v_div_fixup_f64 v[96:97], v[128:129], v[118:119], v[96:97]
	v_fma_f64 v[118:119], v[96:97], v[96:97], 1.0
	s_delay_alu instid0(VALU_DEP_1) | instskip(SKIP_1) | instid1(VALU_DEP_1)
	v_cmp_gt_f64_e32 vcc_lo, 0x10000000, v[118:119]
	v_cndmask_b32_e64 v29, 0, 1, vcc_lo
	v_lshlrev_b32_e32 v29, 8, v29
	s_delay_alu instid0(VALU_DEP_1) | instskip(SKIP_1) | instid1(VALU_DEP_2)
	v_ldexp_f64 v[118:119], v[118:119], v29
	v_cndmask_b32_e64 v29, 0, 0xffffff80, vcc_lo
	v_rsq_f64_e32 v[128:129], v[118:119]
	v_cmp_class_f64_e64 vcc_lo, v[118:119], 0x260
	s_waitcnt_depctr 0xfff
	v_mul_f64 v[163:164], v[118:119], v[128:129]
	v_mul_f64 v[128:129], v[128:129], 0.5
	s_delay_alu instid0(VALU_DEP_1) | instskip(NEXT) | instid1(VALU_DEP_1)
	v_fma_f64 v[165:166], -v[128:129], v[163:164], 0.5
	v_fma_f64 v[163:164], v[163:164], v[165:166], v[163:164]
	v_fma_f64 v[128:129], v[128:129], v[165:166], v[128:129]
	s_delay_alu instid0(VALU_DEP_2) | instskip(NEXT) | instid1(VALU_DEP_1)
	v_fma_f64 v[165:166], -v[163:164], v[163:164], v[118:119]
	v_fma_f64 v[163:164], v[165:166], v[128:129], v[163:164]
	s_delay_alu instid0(VALU_DEP_1) | instskip(NEXT) | instid1(VALU_DEP_1)
	v_fma_f64 v[165:166], -v[163:164], v[163:164], v[118:119]
	v_fma_f64 v[128:129], v[165:166], v[128:129], v[163:164]
	s_delay_alu instid0(VALU_DEP_1) | instskip(NEXT) | instid1(VALU_DEP_1)
	v_ldexp_f64 v[128:129], v[128:129], v29
	v_dual_cndmask_b32 v118, v128, v118 :: v_dual_cndmask_b32 v29, v129, v119
	v_cmp_nle_f64_e32 vcc_lo, 0, v[96:97]
	s_delay_alu instid0(VALU_DEP_2) | instskip(SKIP_1) | instid1(VALU_DEP_1)
	v_and_b32_e32 v51, 0x7fffffff, v29
	v_or_b32_e32 v29, 0x80000000, v29
	v_cndmask_b32_e32 v119, v51, v29, vcc_lo
	v_dual_mov_b32 v98, 0 :: v_dual_add_nc_u32 v29, 1, v98
	v_mov_b32_e32 v99, 0
	v_mov_b32_e32 v51, v50
	s_delay_alu instid0(VALU_DEP_4) | instskip(SKIP_3) | instid1(VALU_DEP_1)
	v_add_f64 v[96:97], v[96:97], v[118:119]
	ds_store_b32 v150, v29
	ds_store_b64 v162, v[50:51]
	v_div_scale_f64 v[118:119], null, v[96:97], v[96:97], v[114:115]
	v_rcp_f64_e32 v[128:129], v[118:119]
	s_waitcnt_depctr 0xfff
	v_fma_f64 v[163:164], -v[118:119], v[128:129], 1.0
	s_delay_alu instid0(VALU_DEP_1) | instskip(NEXT) | instid1(VALU_DEP_1)
	v_fma_f64 v[128:129], v[128:129], v[163:164], v[128:129]
	v_fma_f64 v[163:164], -v[118:119], v[128:129], 1.0
	s_delay_alu instid0(VALU_DEP_1) | instskip(SKIP_1) | instid1(VALU_DEP_1)
	v_fma_f64 v[128:129], v[128:129], v[163:164], v[128:129]
	v_div_scale_f64 v[163:164], vcc_lo, v[114:115], v[96:97], v[114:115]
	v_mul_f64 v[165:166], v[163:164], v[128:129]
	s_delay_alu instid0(VALU_DEP_1) | instskip(NEXT) | instid1(VALU_DEP_1)
	v_fma_f64 v[118:119], -v[118:119], v[165:166], v[163:164]
	v_div_fmas_f64 v[118:119], v[118:119], v[128:129], v[165:166]
	s_delay_alu instid0(VALU_DEP_1) | instskip(NEXT) | instid1(VALU_DEP_1)
	v_div_fixup_f64 v[96:97], v[118:119], v[96:97], v[114:115]
	v_add_f64 v[96:97], v[112:113], v[96:97]
	v_cmpx_lt_i32_e64 v28, v84
	s_cbranch_execz .LBB84_187
; %bb.155:                              ;   in Loop: Header=BB84_144 Depth=2
	v_add_co_u32 v98, vcc_lo, v5, v102
	v_add_co_ci_u32_e32 v99, vcc_lo, v6, v103, vcc_lo
	s_mov_b32 s4, exec_lo
	v_mov_b32_e32 v128, 0
	v_mov_b32_e32 v129, 0
	flat_load_b64 v[112:113], v[98:99]
	v_mov_b32_e32 v98, 0
	v_mov_b32_e32 v99, 0x3ff00000
	s_waitcnt vmcnt(0) lgkmcnt(0)
	v_cmpx_neq_f64_e32 0, v[112:113]
	s_cbranch_execz .LBB84_163
; %bb.156:                              ;   in Loop: Header=BB84_144 Depth=2
	v_mov_b32_e32 v128, 0
	v_dual_mov_b32 v129, 0x3ff00000 :: v_dual_mov_b32 v98, 0
	v_mov_b32_e32 v99, 0
	s_mov_b32 s17, exec_lo
	v_cmpx_neq_f64_e32 0, v[96:97]
	s_cbranch_execz .LBB84_162
; %bb.157:                              ;   in Loop: Header=BB84_144 Depth=2
	v_cmp_ngt_f64_e64 s18, |v[112:113]|, |v[96:97]|
                                        ; implicit-def: $vgpr128_vgpr129
                                        ; implicit-def: $vgpr98_vgpr99
	s_delay_alu instid0(VALU_DEP_1) | instskip(NEXT) | instid1(SALU_CYCLE_1)
	s_and_saveexec_b32 s19, s18
	s_xor_b32 s18, exec_lo, s19
	s_cbranch_execz .LBB84_159
; %bb.158:                              ;   in Loop: Header=BB84_144 Depth=2
	v_div_scale_f64 v[98:99], null, v[96:97], v[96:97], -v[112:113]
	v_div_scale_f64 v[118:119], vcc_lo, -v[112:113], v[96:97], -v[112:113]
	s_delay_alu instid0(VALU_DEP_2) | instskip(SKIP_2) | instid1(VALU_DEP_1)
	v_rcp_f64_e32 v[114:115], v[98:99]
	s_waitcnt_depctr 0xfff
	v_fma_f64 v[116:117], -v[98:99], v[114:115], 1.0
	v_fma_f64 v[114:115], v[114:115], v[116:117], v[114:115]
	s_delay_alu instid0(VALU_DEP_1) | instskip(NEXT) | instid1(VALU_DEP_1)
	v_fma_f64 v[116:117], -v[98:99], v[114:115], 1.0
	v_fma_f64 v[114:115], v[114:115], v[116:117], v[114:115]
	s_delay_alu instid0(VALU_DEP_1) | instskip(NEXT) | instid1(VALU_DEP_1)
	v_mul_f64 v[116:117], v[118:119], v[114:115]
	v_fma_f64 v[98:99], -v[98:99], v[116:117], v[118:119]
	s_delay_alu instid0(VALU_DEP_1) | instskip(NEXT) | instid1(VALU_DEP_1)
	v_div_fmas_f64 v[98:99], v[98:99], v[114:115], v[116:117]
	v_div_fixup_f64 v[96:97], v[98:99], v[96:97], -v[112:113]
	s_delay_alu instid0(VALU_DEP_1) | instskip(NEXT) | instid1(VALU_DEP_1)
	v_fma_f64 v[98:99], v[96:97], v[96:97], 1.0
	v_cmp_gt_f64_e32 vcc_lo, 0x10000000, v[98:99]
	v_cndmask_b32_e64 v29, 0, 1, vcc_lo
	s_delay_alu instid0(VALU_DEP_1) | instskip(NEXT) | instid1(VALU_DEP_1)
	v_lshlrev_b32_e32 v29, 8, v29
	v_ldexp_f64 v[98:99], v[98:99], v29
	v_cndmask_b32_e64 v29, 0, 0xffffff80, vcc_lo
	s_delay_alu instid0(VALU_DEP_2) | instskip(SKIP_4) | instid1(VALU_DEP_1)
	v_rsq_f64_e32 v[114:115], v[98:99]
	v_cmp_class_f64_e64 vcc_lo, v[98:99], 0x260
	s_waitcnt_depctr 0xfff
	v_mul_f64 v[116:117], v[98:99], v[114:115]
	v_mul_f64 v[114:115], v[114:115], 0.5
	v_fma_f64 v[118:119], -v[114:115], v[116:117], 0.5
	s_delay_alu instid0(VALU_DEP_1) | instskip(SKIP_1) | instid1(VALU_DEP_2)
	v_fma_f64 v[116:117], v[116:117], v[118:119], v[116:117]
	v_fma_f64 v[114:115], v[114:115], v[118:119], v[114:115]
	v_fma_f64 v[118:119], -v[116:117], v[116:117], v[98:99]
	s_delay_alu instid0(VALU_DEP_1) | instskip(NEXT) | instid1(VALU_DEP_1)
	v_fma_f64 v[116:117], v[118:119], v[114:115], v[116:117]
	v_fma_f64 v[118:119], -v[116:117], v[116:117], v[98:99]
	s_delay_alu instid0(VALU_DEP_1) | instskip(NEXT) | instid1(VALU_DEP_1)
	v_fma_f64 v[114:115], v[118:119], v[114:115], v[116:117]
	v_ldexp_f64 v[114:115], v[114:115], v29
	s_delay_alu instid0(VALU_DEP_1) | instskip(NEXT) | instid1(VALU_DEP_1)
	v_dual_cndmask_b32 v98, v114, v98 :: v_dual_cndmask_b32 v99, v115, v99
	v_div_scale_f64 v[114:115], null, v[98:99], v[98:99], 1.0
	s_delay_alu instid0(VALU_DEP_1) | instskip(SKIP_2) | instid1(VALU_DEP_1)
	v_rcp_f64_e32 v[116:117], v[114:115]
	s_waitcnt_depctr 0xfff
	v_fma_f64 v[118:119], -v[114:115], v[116:117], 1.0
	v_fma_f64 v[116:117], v[116:117], v[118:119], v[116:117]
	s_delay_alu instid0(VALU_DEP_1) | instskip(NEXT) | instid1(VALU_DEP_1)
	v_fma_f64 v[118:119], -v[114:115], v[116:117], 1.0
	v_fma_f64 v[116:117], v[116:117], v[118:119], v[116:117]
	v_div_scale_f64 v[118:119], vcc_lo, 1.0, v[98:99], 1.0
	s_delay_alu instid0(VALU_DEP_1) | instskip(NEXT) | instid1(VALU_DEP_1)
	v_mul_f64 v[128:129], v[118:119], v[116:117]
	v_fma_f64 v[114:115], -v[114:115], v[128:129], v[118:119]
	s_delay_alu instid0(VALU_DEP_1) | instskip(NEXT) | instid1(VALU_DEP_1)
	v_div_fmas_f64 v[114:115], v[114:115], v[116:117], v[128:129]
	v_div_fixup_f64 v[98:99], v[114:115], v[98:99], 1.0
	s_delay_alu instid0(VALU_DEP_1)
	v_mul_f64 v[128:129], v[96:97], v[98:99]
                                        ; implicit-def: $vgpr96_vgpr97
.LBB84_159:                             ;   in Loop: Header=BB84_144 Depth=2
	s_and_not1_saveexec_b32 s18, s18
	s_cbranch_execz .LBB84_161
; %bb.160:                              ;   in Loop: Header=BB84_144 Depth=2
	v_div_scale_f64 v[98:99], null, v[112:113], v[112:113], -v[96:97]
	v_div_scale_f64 v[118:119], vcc_lo, -v[96:97], v[112:113], -v[96:97]
	s_delay_alu instid0(VALU_DEP_2) | instskip(SKIP_2) | instid1(VALU_DEP_1)
	v_rcp_f64_e32 v[114:115], v[98:99]
	s_waitcnt_depctr 0xfff
	v_fma_f64 v[116:117], -v[98:99], v[114:115], 1.0
	v_fma_f64 v[114:115], v[114:115], v[116:117], v[114:115]
	s_delay_alu instid0(VALU_DEP_1) | instskip(NEXT) | instid1(VALU_DEP_1)
	v_fma_f64 v[116:117], -v[98:99], v[114:115], 1.0
	v_fma_f64 v[114:115], v[114:115], v[116:117], v[114:115]
	s_delay_alu instid0(VALU_DEP_1) | instskip(NEXT) | instid1(VALU_DEP_1)
	v_mul_f64 v[116:117], v[118:119], v[114:115]
	v_fma_f64 v[98:99], -v[98:99], v[116:117], v[118:119]
	s_delay_alu instid0(VALU_DEP_1) | instskip(NEXT) | instid1(VALU_DEP_1)
	v_div_fmas_f64 v[98:99], v[98:99], v[114:115], v[116:117]
	v_div_fixup_f64 v[96:97], v[98:99], v[112:113], -v[96:97]
	s_delay_alu instid0(VALU_DEP_1) | instskip(NEXT) | instid1(VALU_DEP_1)
	v_fma_f64 v[98:99], v[96:97], v[96:97], 1.0
	v_cmp_gt_f64_e32 vcc_lo, 0x10000000, v[98:99]
	v_cndmask_b32_e64 v29, 0, 1, vcc_lo
	s_delay_alu instid0(VALU_DEP_1) | instskip(NEXT) | instid1(VALU_DEP_1)
	v_lshlrev_b32_e32 v29, 8, v29
	v_ldexp_f64 v[98:99], v[98:99], v29
	v_cndmask_b32_e64 v29, 0, 0xffffff80, vcc_lo
	s_delay_alu instid0(VALU_DEP_2) | instskip(SKIP_4) | instid1(VALU_DEP_1)
	v_rsq_f64_e32 v[114:115], v[98:99]
	v_cmp_class_f64_e64 vcc_lo, v[98:99], 0x260
	s_waitcnt_depctr 0xfff
	v_mul_f64 v[116:117], v[98:99], v[114:115]
	v_mul_f64 v[114:115], v[114:115], 0.5
	v_fma_f64 v[118:119], -v[114:115], v[116:117], 0.5
	s_delay_alu instid0(VALU_DEP_1) | instskip(SKIP_1) | instid1(VALU_DEP_2)
	v_fma_f64 v[116:117], v[116:117], v[118:119], v[116:117]
	v_fma_f64 v[114:115], v[114:115], v[118:119], v[114:115]
	v_fma_f64 v[118:119], -v[116:117], v[116:117], v[98:99]
	s_delay_alu instid0(VALU_DEP_1) | instskip(NEXT) | instid1(VALU_DEP_1)
	v_fma_f64 v[116:117], v[118:119], v[114:115], v[116:117]
	v_fma_f64 v[118:119], -v[116:117], v[116:117], v[98:99]
	s_delay_alu instid0(VALU_DEP_1) | instskip(NEXT) | instid1(VALU_DEP_1)
	v_fma_f64 v[114:115], v[118:119], v[114:115], v[116:117]
	v_ldexp_f64 v[114:115], v[114:115], v29
	s_delay_alu instid0(VALU_DEP_1) | instskip(NEXT) | instid1(VALU_DEP_1)
	v_dual_cndmask_b32 v98, v114, v98 :: v_dual_cndmask_b32 v99, v115, v99
	v_div_scale_f64 v[114:115], null, v[98:99], v[98:99], 1.0
	s_delay_alu instid0(VALU_DEP_1) | instskip(SKIP_2) | instid1(VALU_DEP_1)
	v_rcp_f64_e32 v[116:117], v[114:115]
	s_waitcnt_depctr 0xfff
	v_fma_f64 v[118:119], -v[114:115], v[116:117], 1.0
	v_fma_f64 v[116:117], v[116:117], v[118:119], v[116:117]
	s_delay_alu instid0(VALU_DEP_1) | instskip(NEXT) | instid1(VALU_DEP_1)
	v_fma_f64 v[118:119], -v[114:115], v[116:117], 1.0
	v_fma_f64 v[116:117], v[116:117], v[118:119], v[116:117]
	v_div_scale_f64 v[118:119], vcc_lo, 1.0, v[98:99], 1.0
	s_delay_alu instid0(VALU_DEP_1) | instskip(NEXT) | instid1(VALU_DEP_1)
	v_mul_f64 v[128:129], v[118:119], v[116:117]
	v_fma_f64 v[114:115], -v[114:115], v[128:129], v[118:119]
	s_delay_alu instid0(VALU_DEP_1) | instskip(NEXT) | instid1(VALU_DEP_1)
	v_div_fmas_f64 v[114:115], v[114:115], v[116:117], v[128:129]
	v_div_fixup_f64 v[128:129], v[114:115], v[98:99], 1.0
	s_delay_alu instid0(VALU_DEP_1)
	v_mul_f64 v[98:99], v[96:97], v[128:129]
.LBB84_161:                             ;   in Loop: Header=BB84_144 Depth=2
	s_or_b32 exec_lo, exec_lo, s18
.LBB84_162:                             ;   in Loop: Header=BB84_144 Depth=2
	s_delay_alu instid0(SALU_CYCLE_1)
	s_or_b32 exec_lo, exec_lo, s17
.LBB84_163:                             ;   in Loop: Header=BB84_144 Depth=2
	s_delay_alu instid0(SALU_CYCLE_1)
	s_or_b32 exec_lo, exec_lo, s4
	flat_load_b128 v[114:117], v[100:101]
	s_mov_b32 s17, exec_lo
	s_waitcnt vmcnt(0) lgkmcnt(0)
	v_add_f64 v[96:97], v[116:117], -v[114:115]
	v_add_f64 v[116:117], v[98:99], v[98:99]
	s_delay_alu instid0(VALU_DEP_2) | instskip(NEXT) | instid1(VALU_DEP_1)
	v_mul_f64 v[96:97], v[128:129], v[96:97]
	v_fma_f64 v[96:97], v[112:113], v[116:117], -v[96:97]
	s_delay_alu instid0(VALU_DEP_1)
	v_mul_f64 v[116:117], v[96:97], -v[128:129]
	v_fma_f64 v[114:115], v[96:97], -v[128:129], v[114:115]
	v_fma_f64 v[96:97], v[98:99], v[96:97], -v[112:113]
	v_add_co_u32 v112, vcc_lo, v12, v102
	v_add_co_ci_u32_e32 v113, vcc_lo, v13, v103, vcc_lo
	v_xor_b32_e32 v129, 0x80000000, v129
	v_add_nc_u32_e32 v102, 1, v28
	s_delay_alu instid0(VALU_DEP_4) | instskip(NEXT) | instid1(VALU_DEP_4)
	v_add_co_u32 v118, vcc_lo, v112, v38
	v_add_co_ci_u32_e32 v119, vcc_lo, v113, v39, vcc_lo
	ds_store_b64 v162, v[116:117]
	flat_store_b64 v[100:101], v[114:115]
	s_clause 0x1
	flat_store_b64 v[112:113], v[98:99]
	flat_store_b64 v[118:119], v[128:129]
	v_cmpx_lt_i32_e64 v102, v84
	s_cbranch_execz .LBB84_186
; %bb.164:                              ;   in Loop: Header=BB84_144 Depth=2
	v_ashrrev_i32_e32 v103, 31, v102
	s_mov_b32 s19, 1
	s_mov_b32 s18, 0
	s_delay_alu instid0(VALU_DEP_1) | instskip(NEXT) | instid1(VALU_DEP_1)
	v_lshlrev_b64 v[102:103], 3, v[102:103]
	v_add_co_u32 v100, vcc_lo, v12, v102
	s_delay_alu instid0(VALU_DEP_2)
	v_add_co_ci_u32_e32 v101, vcc_lo, v13, v103, vcc_lo
	v_add_co_u32 v112, vcc_lo, v23, v102
	v_add_co_ci_u32_e32 v113, vcc_lo, v4, v103, vcc_lo
	v_add_co_u32 v102, vcc_lo, v11, v102
	v_add_co_ci_u32_e32 v103, vcc_lo, v132, v103, vcc_lo
	s_branch .LBB84_166
.LBB84_165:                             ;   in Loop: Header=BB84_166 Depth=3
	flat_load_b128 v[163:166], v[112:113]
	ds_load_b64 v[96:97], v162
	v_mul_f64 v[98:99], v[98:99], v[114:115]
	v_add_f64 v[114:115], v[118:119], v[118:119]
	v_add_co_u32 v102, vcc_lo, v102, 8
	v_add_co_ci_u32_e32 v103, vcc_lo, 0, v103, vcc_lo
	s_add_i32 s19, s19, 1
	s_waitcnt vmcnt(0) lgkmcnt(0)
	v_add_f64 v[96:97], v[163:164], -v[96:97]
	s_delay_alu instid0(VALU_DEP_1) | instskip(NEXT) | instid1(VALU_DEP_1)
	v_add_f64 v[116:117], v[165:166], -v[96:97]
	v_mul_f64 v[116:117], v[128:129], v[116:117]
	s_delay_alu instid0(VALU_DEP_1) | instskip(NEXT) | instid1(VALU_DEP_1)
	v_fma_f64 v[114:115], v[98:99], v[114:115], -v[116:117]
	v_mul_f64 v[116:117], v[114:115], -v[128:129]
	v_fma_f64 v[163:164], v[114:115], -v[128:129], v[96:97]
	v_fma_f64 v[96:97], v[118:119], v[114:115], -v[98:99]
	v_add_co_u32 v98, vcc_lo, v112, 8
	v_add_co_ci_u32_e32 v99, vcc_lo, 0, v113, vcc_lo
	v_add_nc_u32_e32 v29, s19, v28
	v_add_co_u32 v114, vcc_lo, v100, v38
	v_add_co_ci_u32_e32 v115, vcc_lo, v101, v39, vcc_lo
	v_xor_b32_e32 v129, 0x80000000, v129
	ds_store_b64 v162, v[116:117]
	flat_store_b64 v[112:113], v[163:164]
	flat_store_b64 v[100:101], v[118:119]
	v_mov_b32_e32 v113, v99
	v_add_co_u32 v100, s4, v100, 8
	v_mov_b32_e32 v112, v98
	v_mov_b32_e32 v98, v118
	v_cmp_ge_i32_e32 vcc_lo, v29, v84
	v_add_co_ci_u32_e64 v101, s4, 0, v101, s4
	v_mov_b32_e32 v99, v119
	flat_store_b64 v[114:115], v[128:129]
	s_or_b32 s18, vcc_lo, s18
	s_delay_alu instid0(SALU_CYCLE_1)
	s_and_not1_b32 exec_lo, exec_lo, s18
	s_cbranch_execz .LBB84_185
.LBB84_166:                             ;   Parent Loop BB84_8 Depth=1
                                        ;     Parent Loop BB84_144 Depth=2
                                        ; =>    This Inner Loop Header: Depth=3
	flat_load_b64 v[114:115], v[102:103] offset:8
	v_mov_b32_e32 v118, 0
	v_mov_b32_e32 v119, 0x3ff00000
	s_mov_b32 s4, exec_lo
	s_waitcnt vmcnt(0) lgkmcnt(0)
	v_mul_f64 v[116:117], v[128:129], v[114:115]
	v_mov_b32_e32 v128, 0
	v_mov_b32_e32 v129, 0
	s_delay_alu instid0(VALU_DEP_3)
	v_cmpx_neq_f64_e32 0, v[116:117]
	s_cbranch_execz .LBB84_176
; %bb.167:                              ;   in Loop: Header=BB84_166 Depth=3
	s_mov_b32 s20, exec_lo
                                        ; implicit-def: $vgpr128_vgpr129
                                        ; implicit-def: $vgpr118_vgpr119
	v_cmpx_neq_f64_e32 0, v[96:97]
	s_xor_b32 s20, exec_lo, s20
	s_cbranch_execz .LBB84_173
; %bb.168:                              ;   in Loop: Header=BB84_166 Depth=3
	v_cmp_ngt_f64_e64 s21, |v[116:117]|, |v[96:97]|
                                        ; implicit-def: $vgpr128_vgpr129
                                        ; implicit-def: $vgpr118_vgpr119
	s_delay_alu instid0(VALU_DEP_1) | instskip(NEXT) | instid1(SALU_CYCLE_1)
	s_and_saveexec_b32 s22, s21
	s_xor_b32 s21, exec_lo, s22
	s_cbranch_execz .LBB84_170
; %bb.169:                              ;   in Loop: Header=BB84_166 Depth=3
	v_div_scale_f64 v[118:119], null, v[96:97], v[96:97], -v[116:117]
	v_div_scale_f64 v[165:166], vcc_lo, -v[116:117], v[96:97], -v[116:117]
	s_delay_alu instid0(VALU_DEP_2) | instskip(SKIP_2) | instid1(VALU_DEP_1)
	v_rcp_f64_e32 v[128:129], v[118:119]
	s_waitcnt_depctr 0xfff
	v_fma_f64 v[163:164], -v[118:119], v[128:129], 1.0
	v_fma_f64 v[128:129], v[128:129], v[163:164], v[128:129]
	s_delay_alu instid0(VALU_DEP_1) | instskip(NEXT) | instid1(VALU_DEP_1)
	v_fma_f64 v[163:164], -v[118:119], v[128:129], 1.0
	v_fma_f64 v[128:129], v[128:129], v[163:164], v[128:129]
	s_delay_alu instid0(VALU_DEP_1) | instskip(NEXT) | instid1(VALU_DEP_1)
	v_mul_f64 v[163:164], v[165:166], v[128:129]
	v_fma_f64 v[118:119], -v[118:119], v[163:164], v[165:166]
	s_delay_alu instid0(VALU_DEP_1) | instskip(NEXT) | instid1(VALU_DEP_1)
	v_div_fmas_f64 v[118:119], v[118:119], v[128:129], v[163:164]
	v_div_fixup_f64 v[128:129], v[118:119], v[96:97], -v[116:117]
	s_delay_alu instid0(VALU_DEP_1) | instskip(NEXT) | instid1(VALU_DEP_1)
	v_fma_f64 v[118:119], v[128:129], v[128:129], 1.0
	v_cmp_gt_f64_e32 vcc_lo, 0x10000000, v[118:119]
	v_cndmask_b32_e64 v29, 0, 1, vcc_lo
	s_delay_alu instid0(VALU_DEP_1) | instskip(NEXT) | instid1(VALU_DEP_1)
	v_lshlrev_b32_e32 v29, 8, v29
	v_ldexp_f64 v[118:119], v[118:119], v29
	v_cndmask_b32_e64 v29, 0, 0xffffff80, vcc_lo
	s_delay_alu instid0(VALU_DEP_2) | instskip(SKIP_4) | instid1(VALU_DEP_1)
	v_rsq_f64_e32 v[163:164], v[118:119]
	v_cmp_class_f64_e64 vcc_lo, v[118:119], 0x260
	s_waitcnt_depctr 0xfff
	v_mul_f64 v[165:166], v[118:119], v[163:164]
	v_mul_f64 v[163:164], v[163:164], 0.5
	v_fma_f64 v[176:177], -v[163:164], v[165:166], 0.5
	s_delay_alu instid0(VALU_DEP_1) | instskip(SKIP_1) | instid1(VALU_DEP_2)
	v_fma_f64 v[165:166], v[165:166], v[176:177], v[165:166]
	v_fma_f64 v[163:164], v[163:164], v[176:177], v[163:164]
	v_fma_f64 v[176:177], -v[165:166], v[165:166], v[118:119]
	s_delay_alu instid0(VALU_DEP_1) | instskip(NEXT) | instid1(VALU_DEP_1)
	v_fma_f64 v[165:166], v[176:177], v[163:164], v[165:166]
	v_fma_f64 v[176:177], -v[165:166], v[165:166], v[118:119]
	s_delay_alu instid0(VALU_DEP_1) | instskip(NEXT) | instid1(VALU_DEP_1)
	v_fma_f64 v[163:164], v[176:177], v[163:164], v[165:166]
	v_ldexp_f64 v[163:164], v[163:164], v29
	s_delay_alu instid0(VALU_DEP_1) | instskip(NEXT) | instid1(VALU_DEP_1)
	v_dual_cndmask_b32 v118, v163, v118 :: v_dual_cndmask_b32 v119, v164, v119
	v_div_scale_f64 v[163:164], null, v[118:119], v[118:119], 1.0
	s_delay_alu instid0(VALU_DEP_1) | instskip(SKIP_2) | instid1(VALU_DEP_1)
	v_rcp_f64_e32 v[165:166], v[163:164]
	s_waitcnt_depctr 0xfff
	v_fma_f64 v[176:177], -v[163:164], v[165:166], 1.0
	v_fma_f64 v[165:166], v[165:166], v[176:177], v[165:166]
	s_delay_alu instid0(VALU_DEP_1) | instskip(NEXT) | instid1(VALU_DEP_1)
	v_fma_f64 v[176:177], -v[163:164], v[165:166], 1.0
	v_fma_f64 v[165:166], v[165:166], v[176:177], v[165:166]
	v_div_scale_f64 v[176:177], vcc_lo, 1.0, v[118:119], 1.0
	s_delay_alu instid0(VALU_DEP_1) | instskip(NEXT) | instid1(VALU_DEP_1)
	v_mul_f64 v[178:179], v[176:177], v[165:166]
	v_fma_f64 v[163:164], -v[163:164], v[178:179], v[176:177]
	s_delay_alu instid0(VALU_DEP_1) | instskip(NEXT) | instid1(VALU_DEP_1)
	v_div_fmas_f64 v[163:164], v[163:164], v[165:166], v[178:179]
	v_div_fixup_f64 v[118:119], v[163:164], v[118:119], 1.0
	s_delay_alu instid0(VALU_DEP_1)
	v_mul_f64 v[128:129], v[128:129], v[118:119]
.LBB84_170:                             ;   in Loop: Header=BB84_166 Depth=3
	s_and_not1_saveexec_b32 s21, s21
	s_cbranch_execz .LBB84_172
; %bb.171:                              ;   in Loop: Header=BB84_166 Depth=3
	v_div_scale_f64 v[118:119], null, v[116:117], v[116:117], -v[96:97]
	v_div_scale_f64 v[165:166], vcc_lo, -v[96:97], v[116:117], -v[96:97]
	s_delay_alu instid0(VALU_DEP_2) | instskip(SKIP_2) | instid1(VALU_DEP_1)
	v_rcp_f64_e32 v[128:129], v[118:119]
	s_waitcnt_depctr 0xfff
	v_fma_f64 v[163:164], -v[118:119], v[128:129], 1.0
	v_fma_f64 v[128:129], v[128:129], v[163:164], v[128:129]
	s_delay_alu instid0(VALU_DEP_1) | instskip(NEXT) | instid1(VALU_DEP_1)
	v_fma_f64 v[163:164], -v[118:119], v[128:129], 1.0
	v_fma_f64 v[128:129], v[128:129], v[163:164], v[128:129]
	s_delay_alu instid0(VALU_DEP_1) | instskip(NEXT) | instid1(VALU_DEP_1)
	v_mul_f64 v[163:164], v[165:166], v[128:129]
	v_fma_f64 v[118:119], -v[118:119], v[163:164], v[165:166]
	s_delay_alu instid0(VALU_DEP_1) | instskip(NEXT) | instid1(VALU_DEP_1)
	v_div_fmas_f64 v[118:119], v[118:119], v[128:129], v[163:164]
	v_div_fixup_f64 v[118:119], v[118:119], v[116:117], -v[96:97]
	s_delay_alu instid0(VALU_DEP_1) | instskip(NEXT) | instid1(VALU_DEP_1)
	v_fma_f64 v[128:129], v[118:119], v[118:119], 1.0
	v_cmp_gt_f64_e32 vcc_lo, 0x10000000, v[128:129]
	v_cndmask_b32_e64 v29, 0, 1, vcc_lo
	s_delay_alu instid0(VALU_DEP_1) | instskip(NEXT) | instid1(VALU_DEP_1)
	v_lshlrev_b32_e32 v29, 8, v29
	v_ldexp_f64 v[128:129], v[128:129], v29
	v_cndmask_b32_e64 v29, 0, 0xffffff80, vcc_lo
	s_delay_alu instid0(VALU_DEP_2) | instskip(SKIP_4) | instid1(VALU_DEP_1)
	v_rsq_f64_e32 v[163:164], v[128:129]
	v_cmp_class_f64_e64 vcc_lo, v[128:129], 0x260
	s_waitcnt_depctr 0xfff
	v_mul_f64 v[165:166], v[128:129], v[163:164]
	v_mul_f64 v[163:164], v[163:164], 0.5
	v_fma_f64 v[176:177], -v[163:164], v[165:166], 0.5
	s_delay_alu instid0(VALU_DEP_1) | instskip(SKIP_1) | instid1(VALU_DEP_2)
	v_fma_f64 v[165:166], v[165:166], v[176:177], v[165:166]
	v_fma_f64 v[163:164], v[163:164], v[176:177], v[163:164]
	v_fma_f64 v[176:177], -v[165:166], v[165:166], v[128:129]
	s_delay_alu instid0(VALU_DEP_1) | instskip(NEXT) | instid1(VALU_DEP_1)
	v_fma_f64 v[165:166], v[176:177], v[163:164], v[165:166]
	v_fma_f64 v[176:177], -v[165:166], v[165:166], v[128:129]
	s_delay_alu instid0(VALU_DEP_1) | instskip(NEXT) | instid1(VALU_DEP_1)
	v_fma_f64 v[163:164], v[176:177], v[163:164], v[165:166]
	v_ldexp_f64 v[163:164], v[163:164], v29
	s_delay_alu instid0(VALU_DEP_1) | instskip(NEXT) | instid1(VALU_DEP_1)
	v_dual_cndmask_b32 v128, v163, v128 :: v_dual_cndmask_b32 v129, v164, v129
	v_div_scale_f64 v[163:164], null, v[128:129], v[128:129], 1.0
	s_delay_alu instid0(VALU_DEP_1) | instskip(SKIP_2) | instid1(VALU_DEP_1)
	v_rcp_f64_e32 v[165:166], v[163:164]
	s_waitcnt_depctr 0xfff
	v_fma_f64 v[176:177], -v[163:164], v[165:166], 1.0
	v_fma_f64 v[165:166], v[165:166], v[176:177], v[165:166]
	s_delay_alu instid0(VALU_DEP_1) | instskip(NEXT) | instid1(VALU_DEP_1)
	v_fma_f64 v[176:177], -v[163:164], v[165:166], 1.0
	v_fma_f64 v[165:166], v[165:166], v[176:177], v[165:166]
	v_div_scale_f64 v[176:177], vcc_lo, 1.0, v[128:129], 1.0
	s_delay_alu instid0(VALU_DEP_1) | instskip(NEXT) | instid1(VALU_DEP_1)
	v_mul_f64 v[178:179], v[176:177], v[165:166]
	v_fma_f64 v[163:164], -v[163:164], v[178:179], v[176:177]
	s_delay_alu instid0(VALU_DEP_1) | instskip(NEXT) | instid1(VALU_DEP_1)
	v_div_fmas_f64 v[163:164], v[163:164], v[165:166], v[178:179]
	v_div_fixup_f64 v[128:129], v[163:164], v[128:129], 1.0
	s_delay_alu instid0(VALU_DEP_1)
	v_mul_f64 v[118:119], v[118:119], v[128:129]
.LBB84_172:                             ;   in Loop: Header=BB84_166 Depth=3
	s_or_b32 exec_lo, exec_lo, s21
	s_delay_alu instid0(VALU_DEP_1) | instskip(NEXT) | instid1(VALU_DEP_1)
	v_mul_f64 v[116:117], v[116:117], v[128:129]
	v_fma_f64 v[96:97], v[96:97], v[118:119], -v[116:117]
                                        ; implicit-def: $vgpr116_vgpr117
.LBB84_173:                             ;   in Loop: Header=BB84_166 Depth=3
	s_and_not1_saveexec_b32 s20, s20
; %bb.174:                              ;   in Loop: Header=BB84_166 Depth=3
	v_xor_b32_e32 v117, 0x80000000, v117
	v_mov_b32_e32 v128, 0
	v_dual_mov_b32 v129, 0x3ff00000 :: v_dual_mov_b32 v118, 0
	v_dual_mov_b32 v119, 0 :: v_dual_mov_b32 v96, v116
	s_delay_alu instid0(VALU_DEP_4)
	v_mov_b32_e32 v97, v117
; %bb.175:                              ;   in Loop: Header=BB84_166 Depth=3
	s_or_b32 exec_lo, exec_lo, s20
.LBB84_176:                             ;   in Loop: Header=BB84_166 Depth=3
	s_delay_alu instid0(SALU_CYCLE_1)
	s_or_b32 exec_lo, exec_lo, s4
	s_cmp_eq_u32 s19, 0
	s_cbranch_scc1 .LBB84_165
; %bb.177:                              ;   in Loop: Header=BB84_166 Depth=3
	flat_store_b64 v[102:103], v[96:97]
	s_branch .LBB84_165
.LBB84_178:                             ;   in Loop: Header=BB84_144 Depth=2
	v_dual_mov_b32 v29, v84 :: v_dual_mov_b32 v30, v85
	s_mov_b32 s14, exec_lo
                                        ; implicit-def: $vgpr51
	s_or_saveexec_b32 s15, s15
	v_mov_b32_e32 v28, v84
	s_xor_b32 exec_lo, exec_lo, s15
	s_cbranch_execz .LBB84_149
.LBB84_179:                             ;   in Loop: Header=BB84_144 Depth=2
	v_lshlrev_b64 v[30:31], 3, v[84:85]
	v_dual_mov_b32 v52, v84 :: v_dual_mov_b32 v53, v85
	v_mov_b32_e32 v85, v84
	s_mov_b32 s17, 0
                                        ; implicit-def: $sgpr16
                                        ; implicit-def: $sgpr19
                                        ; implicit-def: $sgpr18
	s_delay_alu instid0(VALU_DEP_3) | instskip(NEXT) | instid1(VALU_DEP_4)
	v_add_co_u32 v28, vcc_lo, v135, v30
	v_add_co_ci_u32_e32 v29, vcc_lo, v144, v31, vcc_lo
	v_add_co_u32 v30, vcc_lo, v11, v30
	v_add_co_ci_u32_e32 v31, vcc_lo, v132, v31, vcc_lo
	s_set_inst_prefetch_distance 0x1
	s_branch .LBB84_181
	.p2align	6
.LBB84_180:                             ;   in Loop: Header=BB84_181 Depth=3
	s_or_b32 exec_lo, exec_lo, s20
	s_xor_b32 s4, s18, -1
	s_and_b32 s20, exec_lo, s19
	s_delay_alu instid0(SALU_CYCLE_1) | instskip(SKIP_2) | instid1(SALU_CYCLE_1)
	s_or_b32 s17, s20, s17
	s_and_not1_b32 s16, s16, exec_lo
	s_and_b32 s4, s4, exec_lo
	s_or_b32 s16, s16, s4
	s_and_not1_b32 exec_lo, exec_lo, s17
	s_cbranch_execz .LBB84_183
.LBB84_181:                             ;   Parent Loop BB84_8 Depth=1
                                        ;     Parent Loop BB84_144 Depth=2
                                        ; =>    This Inner Loop Header: Depth=3
	flat_load_b128 v[99:102], v[28:29]
	v_dual_mov_b32 v67, v31 :: v_dual_mov_b32 v66, v30
	flat_load_b64 v[30:31], v[30:31]
	v_mov_b32_e32 v151, v85
	s_or_b32 s18, s18, exec_lo
	s_or_b32 s19, s19, exec_lo
                                        ; implicit-def: $vgpr85
	s_waitcnt vmcnt(1) lgkmcnt(1)
	v_mul_f64 v[96:97], v[101:102], v[99:100]
	s_waitcnt vmcnt(0) lgkmcnt(0)
	v_mul_f64 v[30:31], v[30:31], v[30:31]
	s_delay_alu instid0(VALU_DEP_2) | instskip(NEXT) | instid1(VALU_DEP_1)
	v_mul_f64 v[96:97], v[34:35], |v[96:97]|
	v_cmp_nle_f64_e64 s4, |v[30:31]|, v[96:97]
                                        ; implicit-def: $vgpr30_vgpr31
	s_delay_alu instid0(VALU_DEP_1)
	s_and_saveexec_b32 s20, s4
	s_cbranch_execz .LBB84_180
; %bb.182:                              ;   in Loop: Header=BB84_181 Depth=3
	v_add_nc_u32_e32 v85, -1, v151
	v_add_co_u32 v28, vcc_lo, v28, -8
	v_add_co_ci_u32_e32 v29, vcc_lo, -1, v29, vcc_lo
	s_delay_alu instid0(VALU_DEP_3) | instskip(SKIP_1) | instid1(VALU_DEP_1)
	v_cmp_le_i32_e32 vcc_lo, v85, v51
	v_add_co_u32 v30, s4, v66, -8
	v_add_co_ci_u32_e64 v31, s4, -1, v67, s4
	s_and_not1_b32 s4, s19, exec_lo
	s_and_b32 s19, vcc_lo, exec_lo
	s_and_not1_b32 s18, s18, exec_lo
	s_or_b32 s19, s4, s19
	s_branch .LBB84_180
.LBB84_183:                             ;   in Loop: Header=BB84_144 Depth=2
	s_set_inst_prefetch_distance 0x2
	s_or_b32 exec_lo, exec_lo, s17
	v_dual_mov_b32 v28, v51 :: v_dual_mov_b32 v29, v52
	v_mov_b32_e32 v30, v53
	s_and_not1_b32 s14, s14, exec_lo
	s_and_b32 s16, s16, exec_lo
	s_mov_b32 s4, exec_lo
	s_or_b32 s14, s14, s16
	s_or_b32 exec_lo, exec_lo, s15
                                        ; implicit-def: $vgpr161
	s_and_saveexec_b32 s15, s14
	s_cbranch_execz .LBB84_150
.LBB84_184:                             ;   in Loop: Header=BB84_144 Depth=2
	s_clause 0x1
	global_load_b32 v161, v[21:22], off offset:4
	global_load_b32 v31, v[21:22], off offset:16
	s_and_not1_b32 s4, s4, exec_lo
	s_waitcnt vmcnt(1)
	ds_store_b32 v161, v28
	s_waitcnt vmcnt(0)
	ds_store_b32 v31, v84
	s_or_b32 exec_lo, exec_lo, s15
	s_and_saveexec_b32 s14, s4
	s_cbranch_execnz .LBB84_151
	s_branch .LBB84_152
.LBB84_185:                             ;   in Loop: Header=BB84_144 Depth=2
	s_or_b32 exec_lo, exec_lo, s18
.LBB84_186:                             ;   in Loop: Header=BB84_144 Depth=2
	s_delay_alu instid0(SALU_CYCLE_1)
	s_or_b32 exec_lo, exec_lo, s17
	ds_load_b64 v[98:99], v162
.LBB84_187:                             ;   in Loop: Header=BB84_144 Depth=2
	s_or_b32 exec_lo, exec_lo, s16
	flat_load_b64 v[28:29], v[85:86]
                                        ; implicit-def: $vgpr112_vgpr113
                                        ; implicit-def: $vgpr84
	s_waitcnt vmcnt(0) lgkmcnt(0)
	v_add_f64 v[28:29], v[28:29], -v[98:99]
	flat_store_b64 v[85:86], v[28:29]
	flat_store_b64 v[30:31], v[96:97]
                                        ; implicit-def: $vgpr28
                                        ; implicit-def: $vgpr96_vgpr97
                                        ; implicit-def: $vgpr85
.LBB84_188:                             ;   in Loop: Header=BB84_144 Depth=2
	s_and_not1_saveexec_b32 s15, s15
	s_cbranch_execz .LBB84_227
; %bb.189:                              ;   in Loop: Header=BB84_144 Depth=2
	v_lshlrev_b64 v[98:99], 3, v[28:29]
                                        ; implicit-def: $vgpr116_vgpr117
	s_delay_alu instid0(VALU_DEP_1) | instskip(NEXT) | instid1(VALU_DEP_2)
	v_add_co_u32 v28, vcc_lo, v23, v98
	v_add_co_ci_u32_e32 v29, vcc_lo, v4, v99, vcc_lo
	v_add_co_u32 v30, vcc_lo, v5, v98
	v_add_co_ci_u32_e32 v31, vcc_lo, v6, v99, vcc_lo
	flat_load_b64 v[28:29], v[28:29]
	flat_load_b64 v[114:115], v[30:31]
	s_waitcnt vmcnt(1) lgkmcnt(1)
	v_add_f64 v[102:103], v[28:29], -v[112:113]
	s_waitcnt vmcnt(0) lgkmcnt(0)
	v_add_f64 v[100:101], v[114:115], v[114:115]
	s_delay_alu instid0(VALU_DEP_1) | instskip(NEXT) | instid1(VALU_DEP_1)
	v_cmp_ngt_f64_e64 s4, |v[102:103]|, |v[100:101]|
	s_and_saveexec_b32 s16, s4
	s_delay_alu instid0(SALU_CYCLE_1)
	s_xor_b32 s4, exec_lo, s16
	s_cbranch_execz .LBB84_195
; %bb.190:                              ;   in Loop: Header=BB84_144 Depth=2
	v_cmp_nlt_f64_e64 s16, |v[102:103]|, |v[100:101]|
                                        ; implicit-def: $vgpr116_vgpr117
	s_delay_alu instid0(VALU_DEP_1) | instskip(NEXT) | instid1(SALU_CYCLE_1)
	s_and_saveexec_b32 s17, s16
	s_xor_b32 s16, exec_lo, s17
; %bb.191:                              ;   in Loop: Header=BB84_144 Depth=2
	v_mul_f64 v[116:117], |v[100:101]|, s[8:9]
; %bb.192:                              ;   in Loop: Header=BB84_144 Depth=2
	s_and_not1_saveexec_b32 s16, s16
	s_cbranch_execz .LBB84_194
; %bb.193:                              ;   in Loop: Header=BB84_144 Depth=2
	v_dual_mov_b32 v30, v102 :: v_dual_and_b32 v31, 0x7fffffff, v103
	v_dual_mov_b32 v116, v100 :: v_dual_and_b32 v117, 0x7fffffff, v101
	s_delay_alu instid0(VALU_DEP_1) | instskip(SKIP_1) | instid1(VALU_DEP_2)
	v_div_scale_f64 v[118:119], null, v[116:117], v[116:117], v[30:31]
	v_div_scale_f64 v[30:31], vcc_lo, v[30:31], v[116:117], v[30:31]
	v_rcp_f64_e32 v[128:129], v[118:119]
	s_waitcnt_depctr 0xfff
	v_fma_f64 v[162:163], -v[118:119], v[128:129], 1.0
	s_delay_alu instid0(VALU_DEP_1) | instskip(NEXT) | instid1(VALU_DEP_1)
	v_fma_f64 v[128:129], v[128:129], v[162:163], v[128:129]
	v_fma_f64 v[162:163], -v[118:119], v[128:129], 1.0
	s_delay_alu instid0(VALU_DEP_1) | instskip(NEXT) | instid1(VALU_DEP_1)
	v_fma_f64 v[116:117], v[128:129], v[162:163], v[128:129]
	v_mul_f64 v[128:129], v[30:31], v[116:117]
	s_delay_alu instid0(VALU_DEP_1) | instskip(NEXT) | instid1(VALU_DEP_1)
	v_fma_f64 v[30:31], -v[118:119], v[128:129], v[30:31]
	v_div_fmas_f64 v[30:31], v[30:31], v[116:117], v[128:129]
	s_delay_alu instid0(VALU_DEP_1) | instskip(NEXT) | instid1(VALU_DEP_1)
	v_div_fixup_f64 v[30:31], v[30:31], |v[100:101]|, |v[102:103]|
	v_fma_f64 v[30:31], v[30:31], v[30:31], 1.0
	s_delay_alu instid0(VALU_DEP_1) | instskip(SKIP_1) | instid1(VALU_DEP_1)
	v_cmp_gt_f64_e32 vcc_lo, 0x10000000, v[30:31]
	v_cndmask_b32_e64 v51, 0, 1, vcc_lo
	v_lshlrev_b32_e32 v51, 8, v51
	s_delay_alu instid0(VALU_DEP_1) | instskip(SKIP_1) | instid1(VALU_DEP_2)
	v_ldexp_f64 v[30:31], v[30:31], v51
	v_cndmask_b32_e64 v51, 0, 0xffffff80, vcc_lo
	v_rsq_f64_e32 v[116:117], v[30:31]
	v_cmp_class_f64_e64 vcc_lo, v[30:31], 0x260
	s_waitcnt_depctr 0xfff
	v_mul_f64 v[118:119], v[30:31], v[116:117]
	v_mul_f64 v[116:117], v[116:117], 0.5
	s_delay_alu instid0(VALU_DEP_1) | instskip(NEXT) | instid1(VALU_DEP_1)
	v_fma_f64 v[128:129], -v[116:117], v[118:119], 0.5
	v_fma_f64 v[118:119], v[118:119], v[128:129], v[118:119]
	v_fma_f64 v[116:117], v[116:117], v[128:129], v[116:117]
	s_delay_alu instid0(VALU_DEP_2) | instskip(NEXT) | instid1(VALU_DEP_1)
	v_fma_f64 v[128:129], -v[118:119], v[118:119], v[30:31]
	v_fma_f64 v[118:119], v[128:129], v[116:117], v[118:119]
	s_delay_alu instid0(VALU_DEP_1) | instskip(NEXT) | instid1(VALU_DEP_1)
	v_fma_f64 v[128:129], -v[118:119], v[118:119], v[30:31]
	v_fma_f64 v[116:117], v[128:129], v[116:117], v[118:119]
	s_delay_alu instid0(VALU_DEP_1) | instskip(NEXT) | instid1(VALU_DEP_1)
	v_ldexp_f64 v[116:117], v[116:117], v51
	v_dual_cndmask_b32 v30, v116, v30 :: v_dual_cndmask_b32 v31, v117, v31
	s_delay_alu instid0(VALU_DEP_1)
	v_mul_f64 v[116:117], |v[100:101]|, v[30:31]
.LBB84_194:                             ;   in Loop: Header=BB84_144 Depth=2
	s_or_b32 exec_lo, exec_lo, s16
.LBB84_195:                             ;   in Loop: Header=BB84_144 Depth=2
	s_and_not1_saveexec_b32 s4, s4
	s_cbranch_execz .LBB84_197
; %bb.196:                              ;   in Loop: Header=BB84_144 Depth=2
	v_dual_mov_b32 v30, v100 :: v_dual_and_b32 v31, 0x7fffffff, v101
	v_dual_mov_b32 v116, v102 :: v_dual_and_b32 v117, 0x7fffffff, v103
	s_delay_alu instid0(VALU_DEP_1) | instskip(SKIP_1) | instid1(VALU_DEP_2)
	v_div_scale_f64 v[118:119], null, v[116:117], v[116:117], v[30:31]
	v_div_scale_f64 v[30:31], vcc_lo, v[30:31], v[116:117], v[30:31]
	v_rcp_f64_e32 v[128:129], v[118:119]
	s_waitcnt_depctr 0xfff
	v_fma_f64 v[162:163], -v[118:119], v[128:129], 1.0
	s_delay_alu instid0(VALU_DEP_1) | instskip(NEXT) | instid1(VALU_DEP_1)
	v_fma_f64 v[128:129], v[128:129], v[162:163], v[128:129]
	v_fma_f64 v[162:163], -v[118:119], v[128:129], 1.0
	s_delay_alu instid0(VALU_DEP_1) | instskip(NEXT) | instid1(VALU_DEP_1)
	v_fma_f64 v[116:117], v[128:129], v[162:163], v[128:129]
	v_mul_f64 v[128:129], v[30:31], v[116:117]
	s_delay_alu instid0(VALU_DEP_1) | instskip(NEXT) | instid1(VALU_DEP_1)
	v_fma_f64 v[30:31], -v[118:119], v[128:129], v[30:31]
	v_div_fmas_f64 v[30:31], v[30:31], v[116:117], v[128:129]
	s_delay_alu instid0(VALU_DEP_1) | instskip(NEXT) | instid1(VALU_DEP_1)
	v_div_fixup_f64 v[30:31], v[30:31], |v[102:103]|, |v[100:101]|
	v_fma_f64 v[30:31], v[30:31], v[30:31], 1.0
	s_delay_alu instid0(VALU_DEP_1) | instskip(SKIP_1) | instid1(VALU_DEP_1)
	v_cmp_gt_f64_e32 vcc_lo, 0x10000000, v[30:31]
	v_cndmask_b32_e64 v51, 0, 1, vcc_lo
	v_lshlrev_b32_e32 v51, 8, v51
	s_delay_alu instid0(VALU_DEP_1) | instskip(SKIP_1) | instid1(VALU_DEP_2)
	v_ldexp_f64 v[30:31], v[30:31], v51
	v_cndmask_b32_e64 v51, 0, 0xffffff80, vcc_lo
	v_rsq_f64_e32 v[116:117], v[30:31]
	v_cmp_class_f64_e64 vcc_lo, v[30:31], 0x260
	s_waitcnt_depctr 0xfff
	v_mul_f64 v[118:119], v[30:31], v[116:117]
	v_mul_f64 v[116:117], v[116:117], 0.5
	s_delay_alu instid0(VALU_DEP_1) | instskip(NEXT) | instid1(VALU_DEP_1)
	v_fma_f64 v[128:129], -v[116:117], v[118:119], 0.5
	v_fma_f64 v[118:119], v[118:119], v[128:129], v[118:119]
	v_fma_f64 v[116:117], v[116:117], v[128:129], v[116:117]
	s_delay_alu instid0(VALU_DEP_2) | instskip(NEXT) | instid1(VALU_DEP_1)
	v_fma_f64 v[128:129], -v[118:119], v[118:119], v[30:31]
	v_fma_f64 v[118:119], v[128:129], v[116:117], v[118:119]
	s_delay_alu instid0(VALU_DEP_1) | instskip(NEXT) | instid1(VALU_DEP_1)
	v_fma_f64 v[128:129], -v[118:119], v[118:119], v[30:31]
	v_fma_f64 v[116:117], v[128:129], v[116:117], v[118:119]
	s_delay_alu instid0(VALU_DEP_1) | instskip(NEXT) | instid1(VALU_DEP_1)
	v_ldexp_f64 v[116:117], v[116:117], v51
	v_dual_cndmask_b32 v30, v116, v30 :: v_dual_cndmask_b32 v31, v117, v31
	s_delay_alu instid0(VALU_DEP_1)
	v_mul_f64 v[116:117], |v[102:103]|, v[30:31]
.LBB84_197:                             ;   in Loop: Header=BB84_144 Depth=2
	s_or_b32 exec_lo, exec_lo, s4
	v_cmp_gt_f64_e64 vcc_lo, |v[28:29]|, |v[112:113]|
	v_add_f64 v[128:129], v[28:29], v[112:113]
	s_mov_b32 s16, exec_lo
                                        ; implicit-def: $vgpr51
                                        ; implicit-def: $vgpr30_vgpr31
	v_dual_cndmask_b32 v119, v29, v113 :: v_dual_cndmask_b32 v118, v28, v112
	v_dual_cndmask_b32 v113, v113, v29 :: v_dual_cndmask_b32 v112, v112, v28
	s_delay_alu instid0(VALU_DEP_3)
	v_cmpx_ngt_f64_e32 0, v[128:129]
	s_xor_b32 s16, exec_lo, s16
	s_cbranch_execz .LBB84_203
; %bb.198:                              ;   in Loop: Header=BB84_144 Depth=2
	s_mov_b32 s17, exec_lo
                                        ; implicit-def: $sgpr4
                                        ; implicit-def: $vgpr30_vgpr31
	v_cmpx_nlt_f64_e32 0, v[128:129]
	s_xor_b32 s17, exec_lo, s17
; %bb.199:                              ;   in Loop: Header=BB84_144 Depth=2
	v_mul_f64 v[28:29], v[116:117], 0.5
	v_mul_f64 v[30:31], v[116:117], -0.5
	s_mov_b32 s4, 1
                                        ; implicit-def: $vgpr128_vgpr129
                                        ; implicit-def: $vgpr112_vgpr113
                                        ; implicit-def: $vgpr114_vgpr115
                                        ; implicit-def: $vgpr118_vgpr119
; %bb.200:                              ;   in Loop: Header=BB84_144 Depth=2
	s_or_saveexec_b32 s17, s17
	v_mov_b32_e32 v51, s4
	s_xor_b32 exec_lo, exec_lo, s17
	s_cbranch_execz .LBB84_202
; %bb.201:                              ;   in Loop: Header=BB84_144 Depth=2
	v_add_f64 v[28:29], v[128:129], v[116:117]
	v_mov_b32_e32 v51, 1
	s_delay_alu instid0(VALU_DEP_2) | instskip(NEXT) | instid1(VALU_DEP_1)
	v_mul_f64 v[28:29], v[28:29], 0.5
	v_div_scale_f64 v[30:31], null, v[28:29], v[28:29], v[112:113]
	v_div_scale_f64 v[128:129], null, v[28:29], v[28:29], v[114:115]
	v_div_scale_f64 v[178:179], vcc_lo, v[112:113], v[28:29], v[112:113]
	s_delay_alu instid0(VALU_DEP_3) | instskip(NEXT) | instid1(VALU_DEP_2)
	v_rcp_f64_e32 v[162:163], v[30:31]
	v_rcp_f64_e32 v[164:165], v[128:129]
	s_waitcnt_depctr 0xfff
	v_fma_f64 v[166:167], -v[30:31], v[162:163], 1.0
	v_fma_f64 v[176:177], -v[128:129], v[164:165], 1.0
	s_delay_alu instid0(VALU_DEP_2) | instskip(NEXT) | instid1(VALU_DEP_2)
	v_fma_f64 v[162:163], v[162:163], v[166:167], v[162:163]
	v_fma_f64 v[164:165], v[164:165], v[176:177], v[164:165]
	s_delay_alu instid0(VALU_DEP_2) | instskip(NEXT) | instid1(VALU_DEP_2)
	v_fma_f64 v[166:167], -v[30:31], v[162:163], 1.0
	v_fma_f64 v[176:177], -v[128:129], v[164:165], 1.0
	s_delay_alu instid0(VALU_DEP_2) | instskip(SKIP_1) | instid1(VALU_DEP_3)
	v_fma_f64 v[162:163], v[162:163], v[166:167], v[162:163]
	v_div_scale_f64 v[166:167], s4, v[114:115], v[28:29], v[114:115]
	v_fma_f64 v[164:165], v[164:165], v[176:177], v[164:165]
	s_delay_alu instid0(VALU_DEP_3) | instskip(NEXT) | instid1(VALU_DEP_2)
	v_mul_f64 v[176:177], v[178:179], v[162:163]
	v_mul_f64 v[180:181], v[166:167], v[164:165]
	s_delay_alu instid0(VALU_DEP_2) | instskip(NEXT) | instid1(VALU_DEP_2)
	v_fma_f64 v[30:31], -v[30:31], v[176:177], v[178:179]
	v_fma_f64 v[128:129], -v[128:129], v[180:181], v[166:167]
	s_delay_alu instid0(VALU_DEP_2) | instskip(SKIP_1) | instid1(VALU_DEP_2)
	v_div_fmas_f64 v[30:31], v[30:31], v[162:163], v[176:177]
	s_mov_b32 vcc_lo, s4
	v_div_fmas_f64 v[128:129], v[128:129], v[164:165], v[180:181]
	s_delay_alu instid0(VALU_DEP_2) | instskip(NEXT) | instid1(VALU_DEP_2)
	v_div_fixup_f64 v[30:31], v[30:31], v[28:29], v[112:113]
	v_div_fixup_f64 v[128:129], v[128:129], v[28:29], v[114:115]
	s_delay_alu instid0(VALU_DEP_1) | instskip(NEXT) | instid1(VALU_DEP_1)
	v_mul_f64 v[112:113], v[114:115], v[128:129]
	v_fma_f64 v[30:31], v[118:119], v[30:31], -v[112:113]
.LBB84_202:                             ;   in Loop: Header=BB84_144 Depth=2
	s_or_b32 exec_lo, exec_lo, s17
                                        ; implicit-def: $vgpr128_vgpr129
                                        ; implicit-def: $vgpr112_vgpr113
                                        ; implicit-def: $vgpr114_vgpr115
                                        ; implicit-def: $vgpr118_vgpr119
.LBB84_203:                             ;   in Loop: Header=BB84_144 Depth=2
	s_and_not1_saveexec_b32 s16, s16
	s_cbranch_execz .LBB84_205
; %bb.204:                              ;   in Loop: Header=BB84_144 Depth=2
	v_add_f64 v[28:29], v[128:129], -v[116:117]
	v_mov_b32_e32 v51, -1
	s_delay_alu instid0(VALU_DEP_2) | instskip(NEXT) | instid1(VALU_DEP_1)
	v_mul_f64 v[28:29], v[28:29], 0.5
	v_div_scale_f64 v[30:31], null, v[28:29], v[28:29], v[112:113]
	v_div_scale_f64 v[128:129], null, v[28:29], v[28:29], v[114:115]
	v_div_scale_f64 v[178:179], vcc_lo, v[112:113], v[28:29], v[112:113]
	s_delay_alu instid0(VALU_DEP_3) | instskip(NEXT) | instid1(VALU_DEP_2)
	v_rcp_f64_e32 v[162:163], v[30:31]
	v_rcp_f64_e32 v[164:165], v[128:129]
	s_waitcnt_depctr 0xfff
	v_fma_f64 v[166:167], -v[30:31], v[162:163], 1.0
	v_fma_f64 v[176:177], -v[128:129], v[164:165], 1.0
	s_delay_alu instid0(VALU_DEP_2) | instskip(NEXT) | instid1(VALU_DEP_2)
	v_fma_f64 v[162:163], v[162:163], v[166:167], v[162:163]
	v_fma_f64 v[164:165], v[164:165], v[176:177], v[164:165]
	s_delay_alu instid0(VALU_DEP_2) | instskip(NEXT) | instid1(VALU_DEP_2)
	v_fma_f64 v[166:167], -v[30:31], v[162:163], 1.0
	v_fma_f64 v[176:177], -v[128:129], v[164:165], 1.0
	s_delay_alu instid0(VALU_DEP_2) | instskip(SKIP_1) | instid1(VALU_DEP_3)
	v_fma_f64 v[162:163], v[162:163], v[166:167], v[162:163]
	v_div_scale_f64 v[166:167], s4, v[114:115], v[28:29], v[114:115]
	v_fma_f64 v[164:165], v[164:165], v[176:177], v[164:165]
	s_delay_alu instid0(VALU_DEP_3) | instskip(NEXT) | instid1(VALU_DEP_2)
	v_mul_f64 v[176:177], v[178:179], v[162:163]
	v_mul_f64 v[180:181], v[166:167], v[164:165]
	s_delay_alu instid0(VALU_DEP_2) | instskip(NEXT) | instid1(VALU_DEP_2)
	v_fma_f64 v[30:31], -v[30:31], v[176:177], v[178:179]
	v_fma_f64 v[128:129], -v[128:129], v[180:181], v[166:167]
	s_delay_alu instid0(VALU_DEP_2) | instskip(SKIP_1) | instid1(VALU_DEP_2)
	v_div_fmas_f64 v[30:31], v[30:31], v[162:163], v[176:177]
	s_mov_b32 vcc_lo, s4
	v_div_fmas_f64 v[128:129], v[128:129], v[164:165], v[180:181]
	s_delay_alu instid0(VALU_DEP_2) | instskip(NEXT) | instid1(VALU_DEP_2)
	v_div_fixup_f64 v[30:31], v[30:31], v[28:29], v[112:113]
	v_div_fixup_f64 v[128:129], v[128:129], v[28:29], v[114:115]
	s_delay_alu instid0(VALU_DEP_1) | instskip(NEXT) | instid1(VALU_DEP_1)
	v_mul_f64 v[112:113], v[114:115], v[128:129]
	v_fma_f64 v[30:31], v[118:119], v[30:31], -v[112:113]
.LBB84_205:                             ;   in Loop: Header=BB84_144 Depth=2
	s_or_b32 exec_lo, exec_lo, s16
	s_delay_alu instid0(SALU_CYCLE_1)
	s_mov_b32 s16, exec_lo
                                        ; implicit-def: $vgpr112_vgpr113
                                        ; implicit-def: $sgpr4
	v_cmpx_le_f64_e32 0, v[102:103]
	s_xor_b32 s16, exec_lo, s16
; %bb.206:                              ;   in Loop: Header=BB84_144 Depth=2
	v_add_f64 v[112:113], v[102:103], v[116:117]
	s_mov_b32 s4, 1
                                        ; implicit-def: $vgpr102_vgpr103
                                        ; implicit-def: $vgpr116_vgpr117
; %bb.207:                              ;   in Loop: Header=BB84_144 Depth=2
	s_or_saveexec_b32 s16, s16
	v_mov_b32_e32 v118, s4
	s_xor_b32 exec_lo, exec_lo, s16
; %bb.208:                              ;   in Loop: Header=BB84_144 Depth=2
	v_add_f64 v[112:113], v[102:103], -v[116:117]
	v_mov_b32_e32 v118, -1
; %bb.209:                              ;   in Loop: Header=BB84_144 Depth=2
	s_or_b32 exec_lo, exec_lo, s16
	s_delay_alu instid0(VALU_DEP_2) | instskip(NEXT) | instid1(VALU_DEP_1)
	v_cmp_ngt_f64_e64 s4, |v[112:113]|, |v[100:101]|
                                        ; implicit-def: $vgpr102_vgpr103
                                        ; implicit-def: $vgpr114_vgpr115
	s_and_saveexec_b32 s16, s4
	s_delay_alu instid0(SALU_CYCLE_1)
	s_xor_b32 s4, exec_lo, s16
	s_cbranch_execz .LBB84_213
; %bb.210:                              ;   in Loop: Header=BB84_144 Depth=2
	v_mov_b32_e32 v102, 0
	v_dual_mov_b32 v103, 0 :: v_dual_mov_b32 v114, 0
	v_mov_b32_e32 v115, 0x3ff00000
	s_mov_b32 s16, exec_lo
	v_cmpx_neq_f64_e32 0, v[100:101]
	s_cbranch_execz .LBB84_212
; %bb.211:                              ;   in Loop: Header=BB84_144 Depth=2
	v_div_scale_f64 v[102:103], null, v[100:101], v[100:101], -v[112:113]
	v_div_scale_f64 v[128:129], vcc_lo, -v[112:113], v[100:101], -v[112:113]
	s_delay_alu instid0(VALU_DEP_2) | instskip(SKIP_2) | instid1(VALU_DEP_1)
	v_rcp_f64_e32 v[114:115], v[102:103]
	s_waitcnt_depctr 0xfff
	v_fma_f64 v[116:117], -v[102:103], v[114:115], 1.0
	v_fma_f64 v[114:115], v[114:115], v[116:117], v[114:115]
	s_delay_alu instid0(VALU_DEP_1) | instskip(NEXT) | instid1(VALU_DEP_1)
	v_fma_f64 v[116:117], -v[102:103], v[114:115], 1.0
	v_fma_f64 v[114:115], v[114:115], v[116:117], v[114:115]
	s_delay_alu instid0(VALU_DEP_1) | instskip(NEXT) | instid1(VALU_DEP_1)
	v_mul_f64 v[116:117], v[128:129], v[114:115]
	v_fma_f64 v[102:103], -v[102:103], v[116:117], v[128:129]
	s_delay_alu instid0(VALU_DEP_1) | instskip(NEXT) | instid1(VALU_DEP_1)
	v_div_fmas_f64 v[102:103], v[102:103], v[114:115], v[116:117]
	v_div_fixup_f64 v[100:101], v[102:103], v[100:101], -v[112:113]
	s_delay_alu instid0(VALU_DEP_1) | instskip(NEXT) | instid1(VALU_DEP_1)
	v_fma_f64 v[102:103], v[100:101], v[100:101], 1.0
	v_cmp_gt_f64_e32 vcc_lo, 0x10000000, v[102:103]
	v_cndmask_b32_e64 v112, 0, 1, vcc_lo
	s_delay_alu instid0(VALU_DEP_1) | instskip(NEXT) | instid1(VALU_DEP_1)
	v_lshlrev_b32_e32 v112, 8, v112
	v_ldexp_f64 v[102:103], v[102:103], v112
	s_delay_alu instid0(VALU_DEP_1) | instskip(SKIP_3) | instid1(VALU_DEP_1)
	v_rsq_f64_e32 v[112:113], v[102:103]
	s_waitcnt_depctr 0xfff
	v_mul_f64 v[114:115], v[102:103], v[112:113]
	v_mul_f64 v[112:113], v[112:113], 0.5
	v_fma_f64 v[116:117], -v[112:113], v[114:115], 0.5
	s_delay_alu instid0(VALU_DEP_1) | instskip(SKIP_1) | instid1(VALU_DEP_2)
	v_fma_f64 v[114:115], v[114:115], v[116:117], v[114:115]
	v_fma_f64 v[112:113], v[112:113], v[116:117], v[112:113]
	v_fma_f64 v[116:117], -v[114:115], v[114:115], v[102:103]
	s_delay_alu instid0(VALU_DEP_1) | instskip(NEXT) | instid1(VALU_DEP_1)
	v_fma_f64 v[114:115], v[116:117], v[112:113], v[114:115]
	v_fma_f64 v[116:117], -v[114:115], v[114:115], v[102:103]
	s_delay_alu instid0(VALU_DEP_1) | instskip(SKIP_2) | instid1(VALU_DEP_2)
	v_fma_f64 v[112:113], v[116:117], v[112:113], v[114:115]
	v_cndmask_b32_e64 v114, 0, 0xffffff80, vcc_lo
	v_cmp_class_f64_e64 vcc_lo, v[102:103], 0x260
	v_ldexp_f64 v[112:113], v[112:113], v114
	s_delay_alu instid0(VALU_DEP_1) | instskip(NEXT) | instid1(VALU_DEP_1)
	v_dual_cndmask_b32 v103, v113, v103 :: v_dual_cndmask_b32 v102, v112, v102
	v_div_scale_f64 v[112:113], null, v[102:103], v[102:103], 1.0
	s_delay_alu instid0(VALU_DEP_1) | instskip(SKIP_2) | instid1(VALU_DEP_1)
	v_rcp_f64_e32 v[114:115], v[112:113]
	s_waitcnt_depctr 0xfff
	v_fma_f64 v[116:117], -v[112:113], v[114:115], 1.0
	v_fma_f64 v[114:115], v[114:115], v[116:117], v[114:115]
	s_delay_alu instid0(VALU_DEP_1) | instskip(NEXT) | instid1(VALU_DEP_1)
	v_fma_f64 v[116:117], -v[112:113], v[114:115], 1.0
	v_fma_f64 v[114:115], v[114:115], v[116:117], v[114:115]
	v_div_scale_f64 v[116:117], vcc_lo, 1.0, v[102:103], 1.0
	s_delay_alu instid0(VALU_DEP_1) | instskip(NEXT) | instid1(VALU_DEP_1)
	v_mul_f64 v[128:129], v[116:117], v[114:115]
	v_fma_f64 v[112:113], -v[112:113], v[128:129], v[116:117]
	s_delay_alu instid0(VALU_DEP_1) | instskip(NEXT) | instid1(VALU_DEP_1)
	v_div_fmas_f64 v[112:113], v[112:113], v[114:115], v[128:129]
	v_div_fixup_f64 v[114:115], v[112:113], v[102:103], 1.0
	s_delay_alu instid0(VALU_DEP_1)
	v_mul_f64 v[102:103], v[100:101], v[114:115]
.LBB84_212:                             ;   in Loop: Header=BB84_144 Depth=2
	s_or_b32 exec_lo, exec_lo, s16
                                        ; implicit-def: $vgpr112_vgpr113
                                        ; implicit-def: $vgpr100_vgpr101
.LBB84_213:                             ;   in Loop: Header=BB84_144 Depth=2
	s_and_not1_saveexec_b32 s4, s4
	s_cbranch_execz .LBB84_215
; %bb.214:                              ;   in Loop: Header=BB84_144 Depth=2
	v_div_scale_f64 v[102:103], null, v[112:113], v[112:113], -v[100:101]
	v_div_scale_f64 v[128:129], vcc_lo, -v[100:101], v[112:113], -v[100:101]
	s_delay_alu instid0(VALU_DEP_2) | instskip(SKIP_2) | instid1(VALU_DEP_1)
	v_rcp_f64_e32 v[114:115], v[102:103]
	s_waitcnt_depctr 0xfff
	v_fma_f64 v[116:117], -v[102:103], v[114:115], 1.0
	v_fma_f64 v[114:115], v[114:115], v[116:117], v[114:115]
	s_delay_alu instid0(VALU_DEP_1) | instskip(NEXT) | instid1(VALU_DEP_1)
	v_fma_f64 v[116:117], -v[102:103], v[114:115], 1.0
	v_fma_f64 v[114:115], v[114:115], v[116:117], v[114:115]
	s_delay_alu instid0(VALU_DEP_1) | instskip(NEXT) | instid1(VALU_DEP_1)
	v_mul_f64 v[116:117], v[128:129], v[114:115]
	v_fma_f64 v[102:103], -v[102:103], v[116:117], v[128:129]
	s_delay_alu instid0(VALU_DEP_1) | instskip(NEXT) | instid1(VALU_DEP_1)
	v_div_fmas_f64 v[102:103], v[102:103], v[114:115], v[116:117]
	v_div_fixup_f64 v[100:101], v[102:103], v[112:113], -v[100:101]
	s_delay_alu instid0(VALU_DEP_1) | instskip(NEXT) | instid1(VALU_DEP_1)
	v_fma_f64 v[102:103], v[100:101], v[100:101], 1.0
	v_cmp_gt_f64_e32 vcc_lo, 0x10000000, v[102:103]
	v_cndmask_b32_e64 v112, 0, 1, vcc_lo
	s_delay_alu instid0(VALU_DEP_1) | instskip(NEXT) | instid1(VALU_DEP_1)
	v_lshlrev_b32_e32 v112, 8, v112
	v_ldexp_f64 v[102:103], v[102:103], v112
	s_delay_alu instid0(VALU_DEP_1) | instskip(SKIP_3) | instid1(VALU_DEP_1)
	v_rsq_f64_e32 v[112:113], v[102:103]
	s_waitcnt_depctr 0xfff
	v_mul_f64 v[114:115], v[102:103], v[112:113]
	v_mul_f64 v[112:113], v[112:113], 0.5
	v_fma_f64 v[116:117], -v[112:113], v[114:115], 0.5
	s_delay_alu instid0(VALU_DEP_1) | instskip(SKIP_1) | instid1(VALU_DEP_2)
	v_fma_f64 v[114:115], v[114:115], v[116:117], v[114:115]
	v_fma_f64 v[112:113], v[112:113], v[116:117], v[112:113]
	v_fma_f64 v[116:117], -v[114:115], v[114:115], v[102:103]
	s_delay_alu instid0(VALU_DEP_1) | instskip(NEXT) | instid1(VALU_DEP_1)
	v_fma_f64 v[114:115], v[116:117], v[112:113], v[114:115]
	v_fma_f64 v[116:117], -v[114:115], v[114:115], v[102:103]
	s_delay_alu instid0(VALU_DEP_1) | instskip(SKIP_2) | instid1(VALU_DEP_2)
	v_fma_f64 v[112:113], v[116:117], v[112:113], v[114:115]
	v_cndmask_b32_e64 v114, 0, 0xffffff80, vcc_lo
	v_cmp_class_f64_e64 vcc_lo, v[102:103], 0x260
	v_ldexp_f64 v[112:113], v[112:113], v114
	s_delay_alu instid0(VALU_DEP_1) | instskip(NEXT) | instid1(VALU_DEP_1)
	v_dual_cndmask_b32 v103, v113, v103 :: v_dual_cndmask_b32 v102, v112, v102
	v_div_scale_f64 v[112:113], null, v[102:103], v[102:103], 1.0
	s_delay_alu instid0(VALU_DEP_1) | instskip(SKIP_2) | instid1(VALU_DEP_1)
	v_rcp_f64_e32 v[114:115], v[112:113]
	s_waitcnt_depctr 0xfff
	v_fma_f64 v[116:117], -v[112:113], v[114:115], 1.0
	v_fma_f64 v[114:115], v[114:115], v[116:117], v[114:115]
	s_delay_alu instid0(VALU_DEP_1) | instskip(NEXT) | instid1(VALU_DEP_1)
	v_fma_f64 v[116:117], -v[112:113], v[114:115], 1.0
	v_fma_f64 v[114:115], v[114:115], v[116:117], v[114:115]
	v_div_scale_f64 v[116:117], vcc_lo, 1.0, v[102:103], 1.0
	s_delay_alu instid0(VALU_DEP_1) | instskip(NEXT) | instid1(VALU_DEP_1)
	v_mul_f64 v[128:129], v[116:117], v[114:115]
	v_fma_f64 v[112:113], -v[112:113], v[128:129], v[116:117]
	s_delay_alu instid0(VALU_DEP_1) | instskip(NEXT) | instid1(VALU_DEP_1)
	v_div_fmas_f64 v[112:113], v[112:113], v[114:115], v[128:129]
	v_div_fixup_f64 v[102:103], v[112:113], v[102:103], 1.0
	s_delay_alu instid0(VALU_DEP_1)
	v_mul_f64 v[114:115], v[100:101], v[102:103]
.LBB84_215:                             ;   in Loop: Header=BB84_144 Depth=2
	s_or_b32 exec_lo, exec_lo, s4
	s_delay_alu instid0(VALU_DEP_1) | instskip(SKIP_2) | instid1(VALU_DEP_1)
	v_xor_b32_e32 v100, 0x80000000, v103
	v_cmp_eq_u32_e32 vcc_lo, v51, v118
	v_add_co_u32 v98, s4, v12, v98
	v_add_co_ci_u32_e64 v99, s4, v13, v99, s4
	s_delay_alu instid0(VALU_DEP_4) | instskip(SKIP_1) | instid1(VALU_DEP_4)
	v_dual_cndmask_b32 v101, v115, v100 :: v_dual_cndmask_b32 v100, v114, v102
	v_dual_cndmask_b32 v103, v103, v115 :: v_dual_cndmask_b32 v102, v102, v114
	v_add_co_u32 v112, vcc_lo, v98, v38
	s_delay_alu instid0(VALU_DEP_4)
	v_add_co_ci_u32_e32 v113, vcc_lo, v99, v39, vcc_lo
	v_add_co_u32 v85, vcc_lo, -8, v85
	v_add_co_ci_u32_e32 v86, vcc_lo, -1, v86, vcc_lo
	v_dual_mov_b32 v51, v50 :: v_dual_add_nc_u32 v84, -2, v84
	v_add_co_u32 v96, vcc_lo, v11, v96
	v_add_co_ci_u32_e32 v97, vcc_lo, v132, v97, vcc_lo
	s_clause 0x1
	flat_store_b64 v[98:99], v[100:101]
	flat_store_b64 v[112:113], v[102:103]
	flat_store_b128 v[85:86], v[28:31]
	flat_store_b64 v[96:97], v[50:51]
	ds_store_b32 v87, v84
	s_or_b32 exec_lo, exec_lo, s15
                                        ; implicit-def: $vgpr85_vgpr86
                                        ; implicit-def: $vgpr112_vgpr113
                                        ; implicit-def: $vgpr29
.LBB84_216:                             ;   in Loop: Header=BB84_144 Depth=2
	s_and_not1_saveexec_b32 s4, s14
	s_cbranch_execz .LBB84_218
.LBB84_217:                             ;   in Loop: Header=BB84_144 Depth=2
	flat_store_b64 v[85:86], v[112:113]
	ds_store_b32 v87, v29
.LBB84_218:                             ;   in Loop: Header=BB84_144 Depth=2
	s_or_b32 exec_lo, exec_lo, s4
.LBB84_219:                             ;   in Loop: Header=BB84_144 Depth=2
	s_delay_alu instid0(SALU_CYCLE_1)
	s_or_b32 exec_lo, exec_lo, s5
	s_waitcnt vmcnt(0) lgkmcnt(0)
	s_waitcnt_vscnt null, 0x0
	s_barrier
	buffer_gl0_inv
	ds_load_b32 v84, v161
	ds_load_b32 v28, v87
	s_mov_b32 s14, exec_lo
	s_waitcnt lgkmcnt(0)
	v_cmpx_ne_u32_e64 v84, v28
	s_cbranch_execz .LBB84_143
; %bb.220:                              ;   in Loop: Header=BB84_144 Depth=2
	s_and_saveexec_b32 s15, s3
	s_cbranch_execz .LBB84_142
; %bb.221:                              ;   in Loop: Header=BB84_144 Depth=2
	global_load_b32 v28, v[21:22], off offset:16
	v_ashrrev_i32_e32 v85, 31, v84
	s_mov_b32 s16, 0
	s_waitcnt vmcnt(0)
	ds_load_b32 v30, v28
	v_mul_lo_u32 v28, v84, v9
	s_delay_alu instid0(VALU_DEP_1) | instskip(SKIP_3) | instid1(VALU_DEP_3)
	v_ashrrev_i32_e32 v29, 31, v28
	s_waitcnt lgkmcnt(0)
	v_sub_nc_u32_e32 v51, v30, v84
	v_lshlrev_b64 v[30:31], 3, v[84:85]
	v_lshlrev_b64 v[84:85], 3, v[28:29]
	s_delay_alu instid0(VALU_DEP_3) | instskip(NEXT) | instid1(VALU_DEP_3)
	v_mad_i64_i32 v[96:97], null, v51, v9, 0
	v_add_co_u32 v28, vcc_lo, v12, v30
	s_delay_alu instid0(VALU_DEP_4) | instskip(NEXT) | instid1(VALU_DEP_4)
	v_add_co_ci_u32_e32 v29, vcc_lo, v13, v31, vcc_lo
	v_add_co_u32 v102, vcc_lo, v7, v84
	s_delay_alu instid0(VALU_DEP_4) | instskip(SKIP_3) | instid1(VALU_DEP_4)
	v_lshlrev_b64 v[96:97], 3, v[96:97]
	v_add_co_ci_u32_e32 v103, vcc_lo, v8, v85, vcc_lo
	v_add_co_u32 v30, vcc_lo, v145, v84
	v_add_co_ci_u32_e32 v31, vcc_lo, v146, v85, vcc_lo
	v_add_co_u32 v112, s4, v102, v96
	v_cmp_lt_i32_e32 vcc_lo, 0, v51
	v_add_co_ci_u32_e64 v113, s4, v103, v97, s4
	v_mov_b32_e32 v84, v0
	s_branch .LBB84_223
.LBB84_222:                             ;   in Loop: Header=BB84_223 Depth=3
	s_or_b32 exec_lo, exec_lo, s17
	v_add_nc_u32_e32 v84, v84, v26
	v_add_co_u32 v96, s4, v112, v96
	s_delay_alu instid0(VALU_DEP_1) | instskip(NEXT) | instid1(VALU_DEP_3)
	v_add_co_ci_u32_e64 v97, s4, v113, v97, s4
	v_cmp_ge_i32_e64 s4, v84, v2
	v_add_co_u32 v30, s5, v30, v36
	s_delay_alu instid0(VALU_DEP_1) | instskip(NEXT) | instid1(VALU_DEP_3)
	v_add_co_ci_u32_e64 v31, s5, v31, v37, s5
	s_or_b32 s16, s4, s16
	s_waitcnt vmcnt(0) lgkmcnt(0)
	flat_store_b64 v[96:97], v[85:86]
	s_and_not1_b32 exec_lo, exec_lo, s16
	s_cbranch_execz .LBB84_142
.LBB84_223:                             ;   Parent Loop BB84_8 Depth=1
                                        ;     Parent Loop BB84_144 Depth=2
                                        ; =>    This Loop Header: Depth=3
                                        ;         Child Loop BB84_225 Depth 4
	s_delay_alu instid0(VALU_DEP_1) | instskip(NEXT) | instid1(VALU_DEP_1)
	v_ashrrev_i32_e32 v85, 31, v84
	v_lshlrev_b64 v[96:97], 3, v[84:85]
	s_delay_alu instid0(VALU_DEP_1) | instskip(NEXT) | instid1(VALU_DEP_1)
	v_add_co_u32 v85, s4, v102, v96
	v_add_co_ci_u32_e64 v86, s4, v103, v97, s4
	flat_load_b64 v[85:86], v[85:86]
	s_and_saveexec_b32 s17, vcc_lo
	s_cbranch_execz .LBB84_222
; %bb.224:                              ;   in Loop: Header=BB84_223 Depth=3
	v_dual_mov_b32 v99, v29 :: v_dual_mov_b32 v98, v28
	v_dual_mov_b32 v101, v31 :: v_dual_mov_b32 v100, v30
	v_mov_b32_e32 v114, v51
	s_mov_b32 s18, 0
	s_set_inst_prefetch_distance 0x1
	.p2align	6
.LBB84_225:                             ;   Parent Loop BB84_8 Depth=1
                                        ;     Parent Loop BB84_144 Depth=2
                                        ;       Parent Loop BB84_223 Depth=3
                                        ; =>      This Inner Loop Header: Depth=4
	v_add_co_u32 v115, s4, v98, v148
	s_delay_alu instid0(VALU_DEP_1) | instskip(SKIP_1) | instid1(VALU_DEP_1)
	v_add_co_ci_u32_e64 v116, s4, v99, v149, s4
	v_add_co_u32 v117, s4, v100, v48
	v_add_co_ci_u32_e64 v118, s4, v101, v49, s4
	v_add_nc_u32_e32 v114, -1, v114
	flat_load_b64 v[115:116], v[115:116]
	flat_load_b64 v[128:129], v[117:118]
	;; [unrolled: 1-line block ×3, first 2 shown]
	v_add_co_u32 v98, s5, v98, 8
	s_delay_alu instid0(VALU_DEP_1) | instskip(SKIP_4) | instid1(VALU_DEP_2)
	v_add_co_ci_u32_e64 v99, s5, 0, v99, s5
	s_waitcnt vmcnt(1) lgkmcnt(1)
	v_mul_f64 v[163:164], v[115:116], v[128:129]
	v_mul_f64 v[115:116], v[85:86], v[115:116]
	s_waitcnt vmcnt(0) lgkmcnt(0)
	v_fma_f64 v[163:164], v[85:86], v[161:162], v[163:164]
	s_delay_alu instid0(VALU_DEP_2) | instskip(SKIP_3) | instid1(VALU_DEP_1)
	v_fma_f64 v[85:86], v[161:162], v[128:129], -v[115:116]
	flat_store_b64 v[100:101], v[163:164]
	v_dual_mov_b32 v100, v117 :: v_dual_mov_b32 v101, v118
	v_cmp_eq_u32_e64 s4, 0, v114
	s_or_b32 s18, s4, s18
	s_delay_alu instid0(SALU_CYCLE_1)
	s_and_not1_b32 exec_lo, exec_lo, s18
	s_cbranch_execnz .LBB84_225
; %bb.226:                              ;   in Loop: Header=BB84_223 Depth=3
	s_set_inst_prefetch_distance 0x2
	s_or_b32 exec_lo, exec_lo, s18
	s_branch .LBB84_222
.LBB84_227:                             ;   in Loop: Header=BB84_144 Depth=2
	s_or_b32 exec_lo, exec_lo, s15
                                        ; implicit-def: $vgpr85_vgpr86
                                        ; implicit-def: $vgpr112_vgpr113
                                        ; implicit-def: $vgpr29
	s_and_not1_saveexec_b32 s4, s14
	s_cbranch_execnz .LBB84_217
	s_branch .LBB84_218
.LBB84_228:                             ;   in Loop: Header=BB84_8 Depth=1
	s_or_b32 exec_lo, exec_lo, s13
.LBB84_229:                             ;   in Loop: Header=BB84_8 Depth=1
	s_delay_alu instid0(SALU_CYCLE_1)
	s_or_b32 exec_lo, exec_lo, s12
.LBB84_230:                             ;   in Loop: Header=BB84_8 Depth=1
	s_delay_alu instid0(SALU_CYCLE_1)
	s_or_b32 exec_lo, exec_lo, s6
	s_barrier
	buffer_gl0_inv
	ds_load_b64 v[28:29], v83
	s_mov_b32 s5, exec_lo
	s_waitcnt lgkmcnt(0)
	v_cmpx_gt_f64_e32 v[28:29], v[19:20]
	s_cbranch_execz .LBB84_236
; %bb.231:                              ;   in Loop: Header=BB84_8 Depth=1
	v_div_scale_f64 v[30:31], null, v[28:29], v[28:29], v[19:20]
	s_clause 0x1
	global_load_b32 v51, v[21:22], off offset:16
	global_load_b32 v82, v[21:22], off offset:32
	v_rcp_f64_e32 v[84:85], v[30:31]
	s_waitcnt_depctr 0xfff
	v_fma_f64 v[86:87], -v[30:31], v[84:85], 1.0
	s_delay_alu instid0(VALU_DEP_1) | instskip(NEXT) | instid1(VALU_DEP_1)
	v_fma_f64 v[84:85], v[84:85], v[86:87], v[84:85]
	v_fma_f64 v[86:87], -v[30:31], v[84:85], 1.0
	s_delay_alu instid0(VALU_DEP_1) | instskip(SKIP_1) | instid1(VALU_DEP_1)
	v_fma_f64 v[84:85], v[84:85], v[86:87], v[84:85]
	v_div_scale_f64 v[86:87], vcc_lo, v[19:20], v[28:29], v[19:20]
	v_mul_f64 v[96:97], v[86:87], v[84:85]
	s_delay_alu instid0(VALU_DEP_1) | instskip(NEXT) | instid1(VALU_DEP_1)
	v_fma_f64 v[30:31], -v[30:31], v[96:97], v[86:87]
	v_div_fmas_f64 v[30:31], v[30:31], v[84:85], v[96:97]
	s_delay_alu instid0(VALU_DEP_1)
	v_div_fixup_f64 v[28:29], v[30:31], v[28:29], v[19:20]
	s_waitcnt vmcnt(1)
	ds_load_b32 v51, v51
	s_waitcnt vmcnt(0)
	ds_load_b32 v30, v82
	s_and_saveexec_b32 s4, s2
	s_cbranch_execz .LBB84_233
; %bb.232:                              ;   in Loop: Header=BB84_8 Depth=1
	s_waitcnt lgkmcnt(0)
	v_ashrrev_i32_e32 v31, 31, v30
	s_delay_alu instid0(VALU_DEP_1) | instskip(NEXT) | instid1(VALU_DEP_1)
	v_lshlrev_b64 v[84:85], 3, v[30:31]
	v_add_co_u32 v84, vcc_lo, v23, v84
	s_delay_alu instid0(VALU_DEP_2)
	v_add_co_ci_u32_e32 v85, vcc_lo, v4, v85, vcc_lo
	flat_load_b64 v[86:87], v[84:85]
	s_waitcnt vmcnt(0) lgkmcnt(0)
	v_mul_f64 v[86:87], v[28:29], v[86:87]
	flat_store_b64 v[84:85], v[86:87]
.LBB84_233:                             ;   in Loop: Header=BB84_8 Depth=1
	s_or_b32 exec_lo, exec_lo, s4
	s_waitcnt lgkmcnt(1)
	v_add_nc_u32_e32 v84, v51, v0
	s_waitcnt lgkmcnt(0)
	s_delay_alu instid0(VALU_DEP_1)
	v_cmp_lt_i32_e32 vcc_lo, v84, v30
	s_and_b32 exec_lo, exec_lo, vcc_lo
	s_cbranch_execz .LBB84_236
; %bb.234:                              ;   in Loop: Header=BB84_8 Depth=1
	v_ashrrev_i32_e32 v85, 31, v84
	s_mov_b32 s6, 0
	s_delay_alu instid0(VALU_DEP_1)
	v_lshlrev_b64 v[85:86], 3, v[84:85]
	.p2align	6
.LBB84_235:                             ;   Parent Loop BB84_8 Depth=1
                                        ; =>  This Inner Loop Header: Depth=2
	s_delay_alu instid0(VALU_DEP_1) | instskip(NEXT) | instid1(VALU_DEP_2)
	v_add_co_u32 v96, vcc_lo, v23, v85
	v_add_co_ci_u32_e32 v97, vcc_lo, v4, v86, vcc_lo
	v_add_co_u32 v100, vcc_lo, v5, v85
	v_add_co_ci_u32_e32 v101, vcc_lo, v6, v86, vcc_lo
	flat_load_b64 v[98:99], v[96:97]
	v_add_nc_u32_e32 v84, v84, v26
	v_add_co_u32 v85, s4, v85, v36
	s_delay_alu instid0(VALU_DEP_1) | instskip(NEXT) | instid1(VALU_DEP_3)
	v_add_co_ci_u32_e64 v86, s4, v86, v37, s4
	v_cmp_ge_i32_e32 vcc_lo, v84, v30
	s_or_b32 s6, vcc_lo, s6
	s_waitcnt vmcnt(0) lgkmcnt(0)
	v_mul_f64 v[98:99], v[28:29], v[98:99]
	flat_store_b64 v[96:97], v[98:99]
	flat_load_b64 v[96:97], v[100:101]
	s_waitcnt vmcnt(0) lgkmcnt(0)
	v_mul_f64 v[96:97], v[28:29], v[96:97]
	flat_store_b64 v[100:101], v[96:97]
	s_and_not1_b32 exec_lo, exec_lo, s6
	s_cbranch_execnz .LBB84_235
.LBB84_236:                             ;   in Loop: Header=BB84_8 Depth=1
	s_or_b32 exec_lo, exec_lo, s5
	ds_load_b64 v[28:29], v83
	s_mov_b32 s5, exec_lo
	s_waitcnt lgkmcnt(0)
	v_cmpx_lt_f64_e32 v[28:29], v[17:18]
	s_cbranch_execz .LBB84_6
; %bb.237:                              ;   in Loop: Header=BB84_8 Depth=1
	v_div_scale_f64 v[30:31], null, v[28:29], v[28:29], v[17:18]
	s_clause 0x1
	global_load_b32 v51, v[21:22], off offset:16
	global_load_b32 v96, v[21:22], off offset:32
	v_rcp_f64_e32 v[82:83], v[30:31]
	s_waitcnt_depctr 0xfff
	v_fma_f64 v[84:85], -v[30:31], v[82:83], 1.0
	s_delay_alu instid0(VALU_DEP_1) | instskip(NEXT) | instid1(VALU_DEP_1)
	v_fma_f64 v[82:83], v[82:83], v[84:85], v[82:83]
	v_fma_f64 v[84:85], -v[30:31], v[82:83], 1.0
	s_delay_alu instid0(VALU_DEP_1) | instskip(SKIP_1) | instid1(VALU_DEP_1)
	v_fma_f64 v[82:83], v[82:83], v[84:85], v[82:83]
	v_div_scale_f64 v[84:85], vcc_lo, v[17:18], v[28:29], v[17:18]
	v_mul_f64 v[86:87], v[84:85], v[82:83]
	s_delay_alu instid0(VALU_DEP_1) | instskip(NEXT) | instid1(VALU_DEP_1)
	v_fma_f64 v[30:31], -v[30:31], v[86:87], v[84:85]
	v_div_fmas_f64 v[30:31], v[30:31], v[82:83], v[86:87]
	s_delay_alu instid0(VALU_DEP_1)
	v_div_fixup_f64 v[28:29], v[30:31], v[28:29], v[17:18]
	s_waitcnt vmcnt(1)
	ds_load_b32 v51, v51
	s_waitcnt vmcnt(0)
	ds_load_b32 v30, v96
	s_and_saveexec_b32 s4, s2
	s_cbranch_execz .LBB84_239
; %bb.238:                              ;   in Loop: Header=BB84_8 Depth=1
	s_waitcnt lgkmcnt(0)
	v_ashrrev_i32_e32 v31, 31, v30
	s_delay_alu instid0(VALU_DEP_1) | instskip(NEXT) | instid1(VALU_DEP_1)
	v_lshlrev_b64 v[82:83], 3, v[30:31]
	v_add_co_u32 v82, vcc_lo, v23, v82
	s_delay_alu instid0(VALU_DEP_2)
	v_add_co_ci_u32_e32 v83, vcc_lo, v4, v83, vcc_lo
	flat_load_b64 v[84:85], v[82:83]
	s_waitcnt vmcnt(0) lgkmcnt(0)
	v_mul_f64 v[84:85], v[28:29], v[84:85]
	flat_store_b64 v[82:83], v[84:85]
.LBB84_239:                             ;   in Loop: Header=BB84_8 Depth=1
	s_or_b32 exec_lo, exec_lo, s4
	s_waitcnt lgkmcnt(1)
	v_add_nc_u32_e32 v82, v51, v0
	s_waitcnt lgkmcnt(0)
	s_delay_alu instid0(VALU_DEP_1)
	v_cmp_lt_i32_e32 vcc_lo, v82, v30
	s_and_b32 exec_lo, exec_lo, vcc_lo
	s_cbranch_execz .LBB84_6
; %bb.240:                              ;   in Loop: Header=BB84_8 Depth=1
	v_ashrrev_i32_e32 v83, 31, v82
	s_mov_b32 s6, 0
	s_delay_alu instid0(VALU_DEP_1)
	v_lshlrev_b64 v[83:84], 3, v[82:83]
	.p2align	6
.LBB84_241:                             ;   Parent Loop BB84_8 Depth=1
                                        ; =>  This Inner Loop Header: Depth=2
	s_delay_alu instid0(VALU_DEP_1) | instskip(NEXT) | instid1(VALU_DEP_2)
	v_add_co_u32 v85, vcc_lo, v23, v83
	v_add_co_ci_u32_e32 v86, vcc_lo, v4, v84, vcc_lo
	v_add_co_u32 v98, vcc_lo, v5, v83
	v_add_co_ci_u32_e32 v99, vcc_lo, v6, v84, vcc_lo
	flat_load_b64 v[96:97], v[85:86]
	v_add_nc_u32_e32 v82, v82, v26
	v_add_co_u32 v83, s4, v83, v36
	s_delay_alu instid0(VALU_DEP_1) | instskip(NEXT) | instid1(VALU_DEP_3)
	v_add_co_ci_u32_e64 v84, s4, v84, v37, s4
	v_cmp_ge_i32_e32 vcc_lo, v82, v30
	s_or_b32 s6, vcc_lo, s6
	s_waitcnt vmcnt(0) lgkmcnt(0)
	v_mul_f64 v[96:97], v[28:29], v[96:97]
	flat_store_b64 v[85:86], v[96:97]
	flat_load_b64 v[85:86], v[98:99]
	s_waitcnt vmcnt(0) lgkmcnt(0)
	v_mul_f64 v[85:86], v[28:29], v[85:86]
	flat_store_b64 v[98:99], v[85:86]
	s_and_not1_b32 exec_lo, exec_lo, s6
	s_cbranch_execnz .LBB84_241
	s_branch .LBB84_6
.LBB84_242:
	s_or_b32 exec_lo, exec_lo, s7
	s_delay_alu instid0(SALU_CYCLE_1)
	s_mov_b32 s3, exec_lo
	v_cmpx_gt_i32_e64 v32, v0
	s_cbranch_execz .LBB84_247
; %bb.243:
	v_lshlrev_b64 v[12:13], 3, v[0:1]
	v_lshlrev_b64 v[10:11], 3, v[26:27]
	v_mov_b32_e32 v1, 1
	s_mov_b32 s4, 0
	s_delay_alu instid0(VALU_DEP_3) | instskip(NEXT) | instid1(VALU_DEP_4)
	v_add_co_u32 v5, vcc_lo, v5, v12
	v_add_co_ci_u32_e32 v6, vcc_lo, v6, v13, vcc_lo
	s_branch .LBB84_245
	.p2align	6
.LBB84_244:                             ;   in Loop: Header=BB84_245 Depth=1
	s_or_b32 exec_lo, exec_lo, s2
	v_add_nc_u32_e32 v0, v0, v26
	v_add_co_u32 v5, s2, v5, v10
	s_delay_alu instid0(VALU_DEP_1) | instskip(NEXT) | instid1(VALU_DEP_3)
	v_add_co_ci_u32_e64 v6, s2, v6, v11, s2
	v_cmp_ge_i32_e32 vcc_lo, v0, v32
	s_or_b32 s4, vcc_lo, s4
	s_delay_alu instid0(SALU_CYCLE_1)
	s_and_not1_b32 exec_lo, exec_lo, s4
	s_cbranch_execz .LBB84_247
.LBB84_245:                             ; =>This Inner Loop Header: Depth=1
	flat_load_b64 v[12:13], v[5:6]
	s_mov_b32 s2, exec_lo
	s_waitcnt vmcnt(0) lgkmcnt(0)
	v_cmpx_neq_f64_e32 0, v[12:13]
	s_cbranch_execz .LBB84_244
; %bb.246:                              ;   in Loop: Header=BB84_245 Depth=1
	flat_atomic_add_u32 v[24:25], v1
	s_branch .LBB84_244
.LBB84_247:
	s_or_b32 exec_lo, exec_lo, s3
	v_cmp_lt_i32_e32 vcc_lo, 1, v2
	s_mov_b32 s4, 1
	s_and_b32 s1, vcc_lo, s1
	s_delay_alu instid0(SALU_CYCLE_1)
	s_and_saveexec_b32 s5, s1
	s_cbranch_execz .LBB84_263
; %bb.248:
	v_add_co_u32 v0, vcc_lo, v23, 8
	v_add_co_ci_u32_e32 v1, vcc_lo, 0, v4, vcc_lo
	s_mov_b32 s6, 0
	s_branch .LBB84_250
.LBB84_249:                             ;   in Loop: Header=BB84_250 Depth=1
	s_or_b32 exec_lo, exec_lo, s2
	s_add_i32 s4, s4, 1
	v_add_co_u32 v0, s1, v0, 8
	v_cmp_eq_u32_e32 vcc_lo, s4, v2
	v_add_co_ci_u32_e64 v1, s1, 0, v1, s1
	s_waitcnt lgkmcnt(0)
	s_waitcnt_vscnt null, 0x0
	s_barrier
	s_or_b32 s6, vcc_lo, s6
	buffer_gl0_inv
	s_and_not1_b32 exec_lo, exec_lo, s6
	s_cbranch_execz .LBB84_263
.LBB84_250:                             ; =>This Loop Header: Depth=1
                                        ;     Child Loop BB84_255 Depth 2
                                        ;     Child Loop BB84_262 Depth 2
                                        ; implicit-def: $vgpr11
	s_and_saveexec_b32 s1, s0
	s_delay_alu instid0(SALU_CYCLE_1)
	s_xor_b32 s1, exec_lo, s1
	s_cbranch_execz .LBB84_252
; %bb.251:                              ;   in Loop: Header=BB84_250 Depth=1
	global_load_b64 v[10:11], v[21:22], off
.LBB84_252:                             ;   in Loop: Header=BB84_250 Depth=1
	s_and_not1_saveexec_b32 s7, s1
	s_cbranch_execz .LBB84_260
; %bb.253:                              ;   in Loop: Header=BB84_250 Depth=1
	s_add_i32 s2, s4, -1
	global_load_b96 v[10:12], v[21:22], off
	s_ashr_i32 s3, s2, 31
	v_mov_b32_e32 v17, v1
	s_lshl_b64 s[8:9], s[2:3], 3
	v_dual_mov_b32 v13, s2 :: v_dual_mov_b32 v16, v0
	v_add_co_u32 v5, vcc_lo, v23, s8
	v_add_co_ci_u32_e32 v6, vcc_lo, s9, v4, vcc_lo
	s_mov_b32 s3, 0
	s_mov_b32 s8, s4
	flat_load_b64 v[14:15], v[5:6]
	s_waitcnt vmcnt(1)
	ds_store_b32 v10, v13
	ds_store_b32 v11, v13
	s_waitcnt vmcnt(0) lgkmcnt(2)
	ds_store_b64 v12, v[14:15]
	s_branch .LBB84_255
	.p2align	6
.LBB84_254:                             ;   in Loop: Header=BB84_255 Depth=2
	s_or_b32 exec_lo, exec_lo, s1
	s_add_i32 s8, s8, 1
	v_add_co_u32 v16, s1, v16, 8
	v_cmp_ge_i32_e32 vcc_lo, s8, v2
	v_add_co_ci_u32_e64 v17, s1, 0, v17, s1
	s_or_b32 s3, vcc_lo, s3
	s_delay_alu instid0(SALU_CYCLE_1)
	s_and_not1_b32 exec_lo, exec_lo, s3
	s_cbranch_execz .LBB84_257
.LBB84_255:                             ;   Parent Loop BB84_250 Depth=1
                                        ; =>  This Inner Loop Header: Depth=2
	flat_load_b64 v[18:19], v[16:17]
	s_mov_b32 s1, exec_lo
	s_waitcnt vmcnt(0) lgkmcnt(0)
	v_cmpx_lt_f64_e32 v[18:19], v[14:15]
	s_cbranch_execz .LBB84_254
; %bb.256:                              ;   in Loop: Header=BB84_255 Depth=2
	v_dual_mov_b32 v13, s8 :: v_dual_mov_b32 v14, v18
	v_mov_b32_e32 v15, v19
	ds_store_b32 v11, v13
	ds_store_b64 v12, v[18:19]
	s_branch .LBB84_254
.LBB84_257:                             ;   in Loop: Header=BB84_250 Depth=1
	s_or_b32 exec_lo, exec_lo, s3
	s_delay_alu instid0(SALU_CYCLE_1)
	s_mov_b32 s1, exec_lo
	v_cmpx_ne_u32_e64 s2, v13
	s_cbranch_execz .LBB84_259
; %bb.258:                              ;   in Loop: Header=BB84_250 Depth=1
	flat_load_b64 v[15:16], v[5:6]
	v_ashrrev_i32_e32 v14, 31, v13
	s_delay_alu instid0(VALU_DEP_1) | instskip(NEXT) | instid1(VALU_DEP_1)
	v_lshlrev_b64 v[13:14], 3, v[13:14]
	v_add_co_u32 v13, vcc_lo, v23, v13
	s_delay_alu instid0(VALU_DEP_2)
	v_add_co_ci_u32_e32 v14, vcc_lo, v4, v14, vcc_lo
	s_waitcnt vmcnt(0) lgkmcnt(0)
	flat_store_b64 v[13:14], v[15:16]
	ds_load_b64 v[12:13], v12
	s_waitcnt lgkmcnt(0)
	flat_store_b64 v[5:6], v[12:13]
.LBB84_259:                             ;   in Loop: Header=BB84_250 Depth=1
	s_or_b32 exec_lo, exec_lo, s1
.LBB84_260:                             ;   in Loop: Header=BB84_250 Depth=1
	s_delay_alu instid0(SALU_CYCLE_1)
	s_or_b32 exec_lo, exec_lo, s7
	s_waitcnt vmcnt(0) lgkmcnt(0)
	s_waitcnt_vscnt null, 0x0
	s_barrier
	buffer_gl0_inv
	ds_load_b32 v3, v11
	ds_load_b32 v5, v10
	s_mov_b32 s2, exec_lo
	s_waitcnt lgkmcnt(0)
	v_cmpx_ne_u32_e64 v3, v5
	s_cbranch_execz .LBB84_249
; %bb.261:                              ;   in Loop: Header=BB84_250 Depth=1
	v_mul_lo_u32 v10, v3, v9
	v_mul_lo_u32 v5, v5, v9
	v_mov_b32_e32 v3, v2
	s_mov_b32 s3, 0
	s_delay_alu instid0(VALU_DEP_3) | instskip(NEXT) | instid1(VALU_DEP_3)
	v_ashrrev_i32_e32 v11, 31, v10
	v_ashrrev_i32_e32 v6, 31, v5
	s_delay_alu instid0(VALU_DEP_2) | instskip(NEXT) | instid1(VALU_DEP_2)
	v_lshlrev_b64 v[10:11], 3, v[10:11]
	v_lshlrev_b64 v[12:13], 3, v[5:6]
	s_delay_alu instid0(VALU_DEP_2) | instskip(NEXT) | instid1(VALU_DEP_3)
	v_add_co_u32 v5, vcc_lo, v7, v10
	v_add_co_ci_u32_e32 v6, vcc_lo, v8, v11, vcc_lo
	s_delay_alu instid0(VALU_DEP_3) | instskip(NEXT) | instid1(VALU_DEP_4)
	v_add_co_u32 v10, vcc_lo, v7, v12
	v_add_co_ci_u32_e32 v11, vcc_lo, v8, v13, vcc_lo
	.p2align	6
.LBB84_262:                             ;   Parent Loop BB84_250 Depth=1
                                        ; =>  This Inner Loop Header: Depth=2
	flat_load_b64 v[12:13], v[5:6]
	flat_load_b64 v[14:15], v[10:11]
	v_add_nc_u32_e32 v3, -1, v3
	s_waitcnt vmcnt(1) lgkmcnt(1)
	flat_store_b64 v[10:11], v[12:13]
	s_waitcnt vmcnt(0) lgkmcnt(1)
	flat_store_b64 v[5:6], v[14:15]
	v_add_co_u32 v5, s1, v5, 8
	s_delay_alu instid0(VALU_DEP_1) | instskip(SKIP_2) | instid1(VALU_DEP_1)
	v_add_co_ci_u32_e64 v6, s1, 0, v6, s1
	v_cmp_eq_u32_e32 vcc_lo, 0, v3
	v_add_co_u32 v10, s1, v10, 8
	v_add_co_ci_u32_e64 v11, s1, 0, v11, s1
	s_or_b32 s3, vcc_lo, s3
	s_delay_alu instid0(SALU_CYCLE_1)
	s_and_not1_b32 exec_lo, exec_lo, s3
	s_cbranch_execnz .LBB84_262
	s_branch .LBB84_249
.LBB84_263:
	s_or_b32 exec_lo, exec_lo, s5
	s_waitcnt lgkmcnt(0)
	s_setpc_b64 s[30:31]
.Lfunc_end84:
	.size	_ZN9rocsolver6v331009run_steqrIddEEviiiPT0_S3_PT_iPiS3_iS2_S2_S2_b, .Lfunc_end84-_ZN9rocsolver6v331009run_steqrIddEEviiiPT0_S3_PT_iPiS3_iS2_S2_S2_b
                                        ; -- End function
	.section	.AMDGPU.csdata,"",@progbits
; Function info:
; codeLenInByte = 18988
; NumSgprs: 34
; NumVgprs: 182
; ScratchSize: 0
; MemoryBound: 0
	.section	.text._ZN9rocsolver6v33100L12steqr_kernelIddPdEEviPT0_lS4_lT1_iilPiS4_iS3_S3_S3_,"axG",@progbits,_ZN9rocsolver6v33100L12steqr_kernelIddPdEEviPT0_lS4_lT1_iilPiS4_iS3_S3_S3_,comdat
	.globl	_ZN9rocsolver6v33100L12steqr_kernelIddPdEEviPT0_lS4_lT1_iilPiS4_iS3_S3_S3_ ; -- Begin function _ZN9rocsolver6v33100L12steqr_kernelIddPdEEviPT0_lS4_lT1_iilPiS4_iS3_S3_S3_
	.p2align	8
	.type	_ZN9rocsolver6v33100L12steqr_kernelIddPdEEviPT0_lS4_lT1_iilPiS4_iS3_S3_S3_,@function
_ZN9rocsolver6v33100L12steqr_kernelIddPdEEviPT0_lS4_lT1_iilPiS4_iS3_S3_S3_: ; @_ZN9rocsolver6v33100L12steqr_kernelIddPdEEviPT0_lS4_lT1_iilPiS4_iS3_S3_S3_
; %bb.0:
	s_mov_b32 s12, s15
	s_clause 0x8
	s_load_b32 s15, s[0:1], 0x7c
	s_load_b32 s30, s[0:1], 0x0
	s_load_b256 s[16:23], s[0:1], 0x8
	s_load_b32 s31, s[0:1], 0x70
	s_load_b256 s[4:11], s[0:1], 0x28
	s_load_b64 s[28:29], s[0:1], 0x48
	s_load_b32 s33, s[0:1], 0x50
	s_load_b128 s[24:27], s[0:1], 0x58
	s_load_b64 s[2:3], s[0:1], 0x68
	s_ashr_i32 s13, s12, 31
	s_mov_b32 s32, 0
	v_mov_b32_e32 v21, 1
	s_waitcnt lgkmcnt(0)
	s_and_b32 s15, s15, 0xffff
	s_lshl_b32 s34, s30, 1
	s_mul_i32 s19, s12, s19
	s_mul_hi_u32 s35, s12, s18
	s_mul_i32 s36, s13, s18
	s_add_i32 s19, s35, s19
	s_mul_i32 s18, s12, s18
	s_add_i32 s19, s19, s36
	s_mul_i32 s23, s12, s23
	s_lshl_b64 s[18:19], s[18:19], 3
	s_mul_hi_u32 s35, s12, s22
	s_add_u32 s18, s16, s18
	s_mul_i32 s36, s13, s22
	s_addc_u32 s19, s17, s19
	s_add_i32 s16, s35, s23
	s_mul_i32 s22, s12, s22
	s_add_i32 s23, s16, s36
	s_mul_i32 s9, s12, s9
	s_lshl_b64 s[16:17], s[22:23], 3
	s_mul_hi_u32 s35, s12, s8
	s_add_u32 s20, s20, s16
	s_mul_i32 s22, s13, s8
	s_addc_u32 s21, s21, s17
	s_add_i32 s9, s35, s9
	s_mul_i32 s8, s12, s8
	s_add_i32 s9, s9, s22
	s_mov_b32 s16, s6
	s_lshl_b64 s[8:9], s[8:9], 3
	s_ashr_i32 s17, s6, 31
	s_add_u32 s6, s4, s8
	s_addc_u32 s22, s5, s9
	s_lshl_b64 s[4:5], s[16:17], 3
	s_mul_hi_i32 s9, s34, s12
	s_mul_i32 s8, s34, s12
	s_add_u32 s6, s6, s4
	s_addc_u32 s16, s22, s5
	s_lshl_b64 s[4:5], s[8:9], 3
	v_mad_u64_u32 v[1:2], null, s14, s15, v[0:1]
	s_add_u32 s14, s28, s4
	s_addc_u32 s17, s29, s5
	s_lshl_b64 s[4:5], s[12:13], 2
	s_mul_i32 s31, s31, s15
	s_add_u32 s4, s10, s4
	s_addc_u32 s5, s11, s5
	s_delay_alu instid0(VALU_DEP_1)
	v_dual_mov_b32 v0, v1 :: v_dual_mov_b32 v1, s31
	v_dual_mov_b32 v2, s30 :: v_dual_mov_b32 v3, s18
	;; [unrolled: 1-line block ×10, first 2 shown]
	v_mov_b32_e32 v20, s3
	s_add_u32 s8, s0, 0x70
	s_addc_u32 s9, s1, 0
	s_mov_b32 s15, 0
	s_getpc_b64 s[0:1]
	s_add_u32 s0, s0, _ZN9rocsolver6v331009run_steqrIddEEviiiPT0_S3_PT_iPiS3_iS2_S2_S2_b@rel32@lo+4
	s_addc_u32 s1, s1, _ZN9rocsolver6v331009run_steqrIddEEviiiPT0_S3_PT_iPiS3_iS2_S2_S2_b@rel32@hi+12
	s_delay_alu instid0(SALU_CYCLE_1)
	s_swappc_b64 s[30:31], s[0:1]
	s_endpgm
	.section	.rodata,"a",@progbits
	.p2align	6, 0x0
	.amdhsa_kernel _ZN9rocsolver6v33100L12steqr_kernelIddPdEEviPT0_lS4_lT1_iilPiS4_iS3_S3_S3_
		.amdhsa_group_segment_fixed_size 48
		.amdhsa_private_segment_fixed_size 0
		.amdhsa_kernarg_size 368
		.amdhsa_user_sgpr_count 14
		.amdhsa_user_sgpr_dispatch_ptr 0
		.amdhsa_user_sgpr_queue_ptr 0
		.amdhsa_user_sgpr_kernarg_segment_ptr 1
		.amdhsa_user_sgpr_dispatch_id 0
		.amdhsa_user_sgpr_private_segment_size 0
		.amdhsa_wavefront_size32 1
		.amdhsa_uses_dynamic_stack 0
		.amdhsa_enable_private_segment 0
		.amdhsa_system_sgpr_workgroup_id_x 1
		.amdhsa_system_sgpr_workgroup_id_y 1
		.amdhsa_system_sgpr_workgroup_id_z 0
		.amdhsa_system_sgpr_workgroup_info 0
		.amdhsa_system_vgpr_workitem_id 0
		.amdhsa_next_free_vgpr 182
		.amdhsa_next_free_sgpr 37
		.amdhsa_reserve_vcc 1
		.amdhsa_float_round_mode_32 0
		.amdhsa_float_round_mode_16_64 0
		.amdhsa_float_denorm_mode_32 3
		.amdhsa_float_denorm_mode_16_64 3
		.amdhsa_dx10_clamp 1
		.amdhsa_ieee_mode 1
		.amdhsa_fp16_overflow 0
		.amdhsa_workgroup_processor_mode 1
		.amdhsa_memory_ordered 1
		.amdhsa_forward_progress 0
		.amdhsa_shared_vgpr_count 0
		.amdhsa_exception_fp_ieee_invalid_op 0
		.amdhsa_exception_fp_denorm_src 0
		.amdhsa_exception_fp_ieee_div_zero 0
		.amdhsa_exception_fp_ieee_overflow 0
		.amdhsa_exception_fp_ieee_underflow 0
		.amdhsa_exception_fp_ieee_inexact 0
		.amdhsa_exception_int_div_zero 0
	.end_amdhsa_kernel
	.section	.text._ZN9rocsolver6v33100L12steqr_kernelIddPdEEviPT0_lS4_lT1_iilPiS4_iS3_S3_S3_,"axG",@progbits,_ZN9rocsolver6v33100L12steqr_kernelIddPdEEviPT0_lS4_lT1_iilPiS4_iS3_S3_S3_,comdat
.Lfunc_end85:
	.size	_ZN9rocsolver6v33100L12steqr_kernelIddPdEEviPT0_lS4_lT1_iilPiS4_iS3_S3_S3_, .Lfunc_end85-_ZN9rocsolver6v33100L12steqr_kernelIddPdEEviPT0_lS4_lT1_iilPiS4_iS3_S3_S3_
                                        ; -- End function
	.section	.AMDGPU.csdata,"",@progbits
; Kernel info:
; codeLenInByte = 416
; NumSgprs: 39
; NumVgprs: 182
; ScratchSize: 0
; MemoryBound: 0
; FloatMode: 240
; IeeeMode: 1
; LDSByteSize: 48 bytes/workgroup (compile time only)
; SGPRBlocks: 4
; VGPRBlocks: 22
; NumSGPRsForWavesPerEU: 39
; NumVGPRsForWavesPerEU: 182
; Occupancy: 8
; WaveLimiterHint : 0
; COMPUTE_PGM_RSRC2:SCRATCH_EN: 0
; COMPUTE_PGM_RSRC2:USER_SGPR: 14
; COMPUTE_PGM_RSRC2:TRAP_HANDLER: 0
; COMPUTE_PGM_RSRC2:TGID_X_EN: 1
; COMPUTE_PGM_RSRC2:TGID_Y_EN: 1
; COMPUTE_PGM_RSRC2:TGID_Z_EN: 0
; COMPUTE_PGM_RSRC2:TIDIG_COMP_CNT: 0
	.section	.text._ZN9rocsolver6v33100L10init_identIdPdEEviiT0_iil,"axG",@progbits,_ZN9rocsolver6v33100L10init_identIdPdEEviiT0_iil,comdat
	.globl	_ZN9rocsolver6v33100L10init_identIdPdEEviiT0_iil ; -- Begin function _ZN9rocsolver6v33100L10init_identIdPdEEviiT0_iil
	.p2align	8
	.type	_ZN9rocsolver6v33100L10init_identIdPdEEviiT0_iil,@function
_ZN9rocsolver6v33100L10init_identIdPdEEviiT0_iil: ; @_ZN9rocsolver6v33100L10init_identIdPdEEviiT0_iil
; %bb.0:
	s_clause 0x1
	s_load_b32 s4, s[0:1], 0x2c
	s_load_b64 s[2:3], s[0:1], 0x0
	v_and_b32_e32 v1, 0x3ff, v0
	v_bfe_u32 v0, v0, 10, 10
	s_waitcnt lgkmcnt(0)
	s_lshr_b32 s5, s4, 16
	s_and_b32 s4, s4, 0xffff
	s_delay_alu instid0(SALU_CYCLE_1) | instskip(SKIP_1) | instid1(VALU_DEP_2)
	v_mad_u64_u32 v[4:5], null, s13, s4, v[1:2]
	v_mad_u64_u32 v[2:3], null, s14, s5, v[0:1]
	v_cmp_gt_u32_e32 vcc_lo, s2, v4
	s_delay_alu instid0(VALU_DEP_2) | instskip(NEXT) | instid1(VALU_DEP_1)
	v_cmp_gt_u32_e64 s2, s3, v2
	s_and_b32 s2, vcc_lo, s2
	s_delay_alu instid0(SALU_CYCLE_1)
	s_and_saveexec_b32 s3, s2
	s_cbranch_execz .LBB86_6
; %bb.1:
	s_load_b64 s[2:3], s[0:1], 0x10
	s_mov_b32 s6, exec_lo
                                        ; implicit-def: $sgpr4_sgpr5
                                        ; implicit-def: $vgpr0
	v_cmpx_ne_u32_e64 v4, v2
	s_xor_b32 s6, exec_lo, s6
	s_cbranch_execz .LBB86_3
; %bb.2:
	s_waitcnt lgkmcnt(0)
	v_mad_u64_u32 v[0:1], null, v2, s3, v[4:5]
	s_mov_b64 s[4:5], 0
                                        ; implicit-def: $vgpr4_vgpr5
.LBB86_3:
	s_or_saveexec_b32 s6, s6
	v_dual_mov_b32 v2, s4 :: v_dual_mov_b32 v3, s5
	s_xor_b32 exec_lo, exec_lo, s6
	s_cbranch_execz .LBB86_5
; %bb.4:
	s_waitcnt lgkmcnt(0)
	v_mad_u64_u32 v[0:1], null, v4, s3, v[4:5]
	v_mov_b32_e32 v2, 0
	v_mov_b32_e32 v3, 0x3ff00000
.LBB86_5:
	s_or_b32 exec_lo, exec_lo, s6
	s_clause 0x1
	s_load_b64 s[4:5], s[0:1], 0x18
	s_load_b64 s[0:1], s[0:1], 0x8
	v_mov_b32_e32 v1, 0
	s_delay_alu instid0(VALU_DEP_1)
	v_lshlrev_b64 v[0:1], 3, v[0:1]
	s_waitcnt lgkmcnt(0)
	s_mul_i32 s3, s15, s5
	s_mul_hi_u32 s5, s15, s4
	s_mul_i32 s4, s15, s4
	s_add_i32 s5, s5, s3
	s_ashr_i32 s3, s2, 31
	s_lshl_b64 s[4:5], s[4:5], 3
	s_delay_alu instid0(SALU_CYCLE_1) | instskip(SKIP_2) | instid1(SALU_CYCLE_1)
	s_add_u32 s4, s0, s4
	s_addc_u32 s5, s1, s5
	s_lshl_b64 s[0:1], s[2:3], 3
	s_add_u32 s0, s4, s0
	s_addc_u32 s1, s5, s1
	v_add_co_u32 v0, vcc_lo, s0, v0
	v_add_co_ci_u32_e32 v1, vcc_lo, s1, v1, vcc_lo
	global_store_b64 v[0:1], v[2:3], off
.LBB86_6:
	s_nop 0
	s_sendmsg sendmsg(MSG_DEALLOC_VGPRS)
	s_endpgm
	.section	.rodata,"a",@progbits
	.p2align	6, 0x0
	.amdhsa_kernel _ZN9rocsolver6v33100L10init_identIdPdEEviiT0_iil
		.amdhsa_group_segment_fixed_size 0
		.amdhsa_private_segment_fixed_size 0
		.amdhsa_kernarg_size 288
		.amdhsa_user_sgpr_count 13
		.amdhsa_user_sgpr_dispatch_ptr 0
		.amdhsa_user_sgpr_queue_ptr 0
		.amdhsa_user_sgpr_kernarg_segment_ptr 1
		.amdhsa_user_sgpr_dispatch_id 0
		.amdhsa_user_sgpr_private_segment_size 0
		.amdhsa_wavefront_size32 1
		.amdhsa_uses_dynamic_stack 0
		.amdhsa_enable_private_segment 0
		.amdhsa_system_sgpr_workgroup_id_x 1
		.amdhsa_system_sgpr_workgroup_id_y 1
		.amdhsa_system_sgpr_workgroup_id_z 1
		.amdhsa_system_sgpr_workgroup_info 0
		.amdhsa_system_vgpr_workitem_id 1
		.amdhsa_next_free_vgpr 6
		.amdhsa_next_free_sgpr 16
		.amdhsa_reserve_vcc 1
		.amdhsa_float_round_mode_32 0
		.amdhsa_float_round_mode_16_64 0
		.amdhsa_float_denorm_mode_32 3
		.amdhsa_float_denorm_mode_16_64 3
		.amdhsa_dx10_clamp 1
		.amdhsa_ieee_mode 1
		.amdhsa_fp16_overflow 0
		.amdhsa_workgroup_processor_mode 1
		.amdhsa_memory_ordered 1
		.amdhsa_forward_progress 0
		.amdhsa_shared_vgpr_count 0
		.amdhsa_exception_fp_ieee_invalid_op 0
		.amdhsa_exception_fp_denorm_src 0
		.amdhsa_exception_fp_ieee_div_zero 0
		.amdhsa_exception_fp_ieee_overflow 0
		.amdhsa_exception_fp_ieee_underflow 0
		.amdhsa_exception_fp_ieee_inexact 0
		.amdhsa_exception_int_div_zero 0
	.end_amdhsa_kernel
	.section	.text._ZN9rocsolver6v33100L10init_identIdPdEEviiT0_iil,"axG",@progbits,_ZN9rocsolver6v33100L10init_identIdPdEEviiT0_iil,comdat
.Lfunc_end86:
	.size	_ZN9rocsolver6v33100L10init_identIdPdEEviiT0_iil, .Lfunc_end86-_ZN9rocsolver6v33100L10init_identIdPdEEviiT0_iil
                                        ; -- End function
	.section	.AMDGPU.csdata,"",@progbits
; Kernel info:
; codeLenInByte = 316
; NumSgprs: 18
; NumVgprs: 6
; ScratchSize: 0
; MemoryBound: 0
; FloatMode: 240
; IeeeMode: 1
; LDSByteSize: 0 bytes/workgroup (compile time only)
; SGPRBlocks: 2
; VGPRBlocks: 0
; NumSGPRsForWavesPerEU: 18
; NumVGPRsForWavesPerEU: 6
; Occupancy: 16
; WaveLimiterHint : 0
; COMPUTE_PGM_RSRC2:SCRATCH_EN: 0
; COMPUTE_PGM_RSRC2:USER_SGPR: 13
; COMPUTE_PGM_RSRC2:TRAP_HANDLER: 0
; COMPUTE_PGM_RSRC2:TGID_X_EN: 1
; COMPUTE_PGM_RSRC2:TGID_Y_EN: 1
; COMPUTE_PGM_RSRC2:TGID_Z_EN: 1
; COMPUTE_PGM_RSRC2:TIDIG_COMP_CNT: 1
	.section	.text._ZN9rocsolver6v33100L19stedc_divide_kernelIdEEviiiPT_lS3_liPi,"axG",@progbits,_ZN9rocsolver6v33100L19stedc_divide_kernelIdEEviiiPT_lS3_liPi,comdat
	.globl	_ZN9rocsolver6v33100L19stedc_divide_kernelIdEEviiiPT_lS3_liPi ; -- Begin function _ZN9rocsolver6v33100L19stedc_divide_kernelIdEEviiiPT_lS3_liPi
	.p2align	8
	.type	_ZN9rocsolver6v33100L19stedc_divide_kernelIdEEviiiPT_lS3_liPi,@function
_ZN9rocsolver6v33100L19stedc_divide_kernelIdEEviiiPT_lS3_liPi: ; @_ZN9rocsolver6v33100L19stedc_divide_kernelIdEEviiiPT_lS3_liPi
; %bb.0:
	s_clause 0x1
	s_load_b32 s2, s[0:1], 0x4c
	s_load_b32 s3, s[0:1], 0x30
	s_waitcnt lgkmcnt(0)
	s_and_b32 s2, s2, 0xffff
	s_delay_alu instid0(SALU_CYCLE_1) | instskip(SKIP_1) | instid1(VALU_DEP_1)
	v_mad_u64_u32 v[2:3], null, s15, s2, v[0:1]
	s_mov_b32 s2, exec_lo
	v_cmpx_gt_i32_e64 s3, v2
	s_cbranch_execz .LBB87_10
; %bb.1:
	s_clause 0x1
	s_load_b128 s[4:7], s[0:1], 0x0
	s_load_b64 s[2:3], s[0:1], 0x38
	s_waitcnt lgkmcnt(0)
	s_mul_i32 s7, s6, 13
	v_mov_b32_e32 v3, s6
	v_mul_lo_u32 v0, s7, v2
	s_cmp_lt_i32 s4, 1
	s_delay_alu instid0(VALU_DEP_1) | instskip(NEXT) | instid1(VALU_DEP_1)
	v_ashrrev_i32_e32 v1, 31, v0
	v_lshlrev_b64 v[0:1], 2, v[0:1]
	s_delay_alu instid0(VALU_DEP_1) | instskip(NEXT) | instid1(VALU_DEP_2)
	v_add_co_u32 v0, vcc_lo, s2, v0
	v_add_co_ci_u32_e32 v1, vcc_lo, s3, v1, vcc_lo
	global_store_b32 v[0:1], v3, off
	s_cbranch_scc1 .LBB87_7
; %bb.2:
	v_add_co_u32 v5, vcc_lo, v0, -4
	v_add_co_ci_u32_e32 v6, vcc_lo, -1, v1, vcc_lo
	s_mov_b32 s9, 0
	s_mov_b32 s3, 0
	s_set_inst_prefetch_distance 0x1
	s_branch .LBB87_4
	.p2align	6
.LBB87_3:                               ;   in Loop: Header=BB87_4 Depth=1
	s_add_i32 s3, s3, 1
	s_delay_alu instid0(SALU_CYCLE_1)
	s_cmp_eq_u32 s3, s4
	s_cbranch_scc1 .LBB87_7
.LBB87_4:                               ; =>This Loop Header: Depth=1
                                        ;     Child Loop BB87_6 Depth 2
	s_cmp_eq_u32 s3, 31
	s_cbranch_scc1 .LBB87_3
; %bb.5:                                ;   in Loop: Header=BB87_4 Depth=1
	s_lshl_b32 s8, 1, s3
	s_delay_alu instid0(SALU_CYCLE_1)
	s_lshl_b64 s[10:11], s[8:9], 2
	s_add_i32 s7, s8, 1
	v_add_co_u32 v3, vcc_lo, v5, s10
	v_add_co_ci_u32_e32 v4, vcc_lo, s11, v6, vcc_lo
	s_lshl_b32 s8, s8, 1
	.p2align	6
.LBB87_6:                               ;   Parent Loop BB87_4 Depth=1
                                        ; =>  This Inner Loop Header: Depth=2
	global_load_b32 v7, v[3:4], off
	s_lshl_b64 s[10:11], s[8:9], 2
	v_add_co_u32 v3, vcc_lo, v3, -4
	v_add_co_u32 v9, s2, v0, s10
	s_delay_alu instid0(VALU_DEP_1)
	v_add_co_ci_u32_e64 v10, s2, s11, v1, s2
	v_add_co_ci_u32_e32 v4, vcc_lo, -1, v4, vcc_lo
	s_add_i32 s7, s7, -1
	s_add_i32 s8, s8, -2
	s_cmp_lt_i32 s7, 2
	s_waitcnt vmcnt(0)
	v_lshrrev_b32_e32 v8, 31, v7
	v_and_b32_e32 v11, 1, v7
	s_delay_alu instid0(VALU_DEP_2) | instskip(NEXT) | instid1(VALU_DEP_1)
	v_add_nc_u32_e32 v8, v7, v8
	v_ashrrev_i32_e32 v7, 1, v8
	s_delay_alu instid0(VALU_DEP_1)
	v_add_nc_u32_e32 v8, v7, v11
	global_store_b64 v[9:10], v[7:8], off offset:-8
	s_cbranch_scc0 .LBB87_6
	s_branch .LBB87_3
.LBB87_7:
	s_set_inst_prefetch_distance 0x2
	s_ashr_i32 s7, s6, 31
	v_mov_b32_e32 v3, 0
	s_lshl_b64 s[2:3], s[6:7], 2
	s_cmp_lt_i32 s5, 2
	v_add_co_u32 v4, vcc_lo, v0, s2
	v_add_co_ci_u32_e32 v5, vcc_lo, s3, v1, vcc_lo
	global_store_b32 v[4:5], v3, off
	s_cbranch_scc1 .LBB87_10
; %bb.8:
	s_load_b256 s[8:15], s[0:1], 0x10
	v_ashrrev_i32_e32 v6, 31, v2
	s_add_i32 s0, s5, -1
	s_add_u32 s1, s2, 4
	s_addc_u32 s2, s3, 0
	s_waitcnt lgkmcnt(0)
	v_mul_lo_u32 v8, v2, s15
	v_mul_lo_u32 v9, v6, s14
	v_mad_u64_u32 v[4:5], null, v2, s14, 0
	v_mul_lo_u32 v10, v2, s11
	v_mul_lo_u32 v11, v6, s10
	v_mad_u64_u32 v[6:7], null, v2, s10, 0
	s_delay_alu instid0(VALU_DEP_4) | instskip(NEXT) | instid1(VALU_DEP_2)
	v_add3_u32 v5, v5, v8, v9
	v_add3_u32 v7, v7, v10, v11
	s_delay_alu instid0(VALU_DEP_2) | instskip(NEXT) | instid1(VALU_DEP_2)
	v_lshlrev_b64 v[4:5], 3, v[4:5]
	v_lshlrev_b64 v[6:7], 3, v[6:7]
	s_delay_alu instid0(VALU_DEP_2) | instskip(NEXT) | instid1(VALU_DEP_3)
	v_add_co_u32 v4, vcc_lo, s12, v4
	v_add_co_ci_u32_e32 v8, vcc_lo, s13, v5, vcc_lo
	s_delay_alu instid0(VALU_DEP_3) | instskip(NEXT) | instid1(VALU_DEP_4)
	v_add_co_u32 v2, vcc_lo, s8, v6
	v_add_co_ci_u32_e32 v5, vcc_lo, s9, v7, vcc_lo
	s_delay_alu instid0(VALU_DEP_4) | instskip(NEXT) | instid1(VALU_DEP_4)
	v_add_co_u32 v6, vcc_lo, v4, -8
	v_add_co_ci_u32_e32 v7, vcc_lo, -1, v8, vcc_lo
	s_set_inst_prefetch_distance 0x1
	.p2align	6
.LBB87_9:                               ; =>This Inner Loop Header: Depth=1
	global_load_b32 v4, v[0:1], off
	s_add_i32 s0, s0, -1
	s_delay_alu instid0(SALU_CYCLE_1) | instskip(SKIP_2) | instid1(VALU_DEP_1)
	s_cmp_lg_u32 s0, 0
	s_waitcnt vmcnt(0)
	v_add_nc_u32_e32 v3, v4, v3
	v_ashrrev_i32_e32 v4, 31, v3
	s_delay_alu instid0(VALU_DEP_1) | instskip(NEXT) | instid1(VALU_DEP_1)
	v_lshlrev_b64 v[8:9], 3, v[3:4]
	v_add_co_u32 v10, vcc_lo, v6, v8
	s_delay_alu instid0(VALU_DEP_2)
	v_add_co_ci_u32_e32 v11, vcc_lo, v7, v9, vcc_lo
	v_add_co_u32 v12, vcc_lo, v2, v8
	v_add_co_ci_u32_e32 v13, vcc_lo, v5, v9, vcc_lo
	global_load_b64 v[14:15], v[10:11], off
	global_load_b128 v[8:11], v[12:13], off offset:-8
	s_waitcnt vmcnt(0)
	v_add_f64 v[10:11], v[10:11], -v[14:15]
	v_add_f64 v[8:9], v[8:9], -v[14:15]
	v_add_co_u32 v14, vcc_lo, v0, s1
	v_add_co_ci_u32_e32 v15, vcc_lo, s2, v1, vcc_lo
	v_add_co_u32 v0, vcc_lo, v0, 4
	v_add_co_ci_u32_e32 v1, vcc_lo, 0, v1, vcc_lo
	global_store_b32 v[14:15], v3, off
	global_store_b128 v[12:13], v[8:11], off offset:-8
	s_cbranch_scc1 .LBB87_9
.LBB87_10:
	s_set_inst_prefetch_distance 0x2
	s_nop 0
	s_sendmsg sendmsg(MSG_DEALLOC_VGPRS)
	s_endpgm
	.section	.rodata,"a",@progbits
	.p2align	6, 0x0
	.amdhsa_kernel _ZN9rocsolver6v33100L19stedc_divide_kernelIdEEviiiPT_lS3_liPi
		.amdhsa_group_segment_fixed_size 0
		.amdhsa_private_segment_fixed_size 0
		.amdhsa_kernarg_size 320
		.amdhsa_user_sgpr_count 15
		.amdhsa_user_sgpr_dispatch_ptr 0
		.amdhsa_user_sgpr_queue_ptr 0
		.amdhsa_user_sgpr_kernarg_segment_ptr 1
		.amdhsa_user_sgpr_dispatch_id 0
		.amdhsa_user_sgpr_private_segment_size 0
		.amdhsa_wavefront_size32 1
		.amdhsa_uses_dynamic_stack 0
		.amdhsa_enable_private_segment 0
		.amdhsa_system_sgpr_workgroup_id_x 1
		.amdhsa_system_sgpr_workgroup_id_y 0
		.amdhsa_system_sgpr_workgroup_id_z 0
		.amdhsa_system_sgpr_workgroup_info 0
		.amdhsa_system_vgpr_workitem_id 0
		.amdhsa_next_free_vgpr 16
		.amdhsa_next_free_sgpr 16
		.amdhsa_reserve_vcc 1
		.amdhsa_float_round_mode_32 0
		.amdhsa_float_round_mode_16_64 0
		.amdhsa_float_denorm_mode_32 3
		.amdhsa_float_denorm_mode_16_64 3
		.amdhsa_dx10_clamp 1
		.amdhsa_ieee_mode 1
		.amdhsa_fp16_overflow 0
		.amdhsa_workgroup_processor_mode 1
		.amdhsa_memory_ordered 1
		.amdhsa_forward_progress 0
		.amdhsa_shared_vgpr_count 0
		.amdhsa_exception_fp_ieee_invalid_op 0
		.amdhsa_exception_fp_denorm_src 0
		.amdhsa_exception_fp_ieee_div_zero 0
		.amdhsa_exception_fp_ieee_overflow 0
		.amdhsa_exception_fp_ieee_underflow 0
		.amdhsa_exception_fp_ieee_inexact 0
		.amdhsa_exception_int_div_zero 0
	.end_amdhsa_kernel
	.section	.text._ZN9rocsolver6v33100L19stedc_divide_kernelIdEEviiiPT_lS3_liPi,"axG",@progbits,_ZN9rocsolver6v33100L19stedc_divide_kernelIdEEviiiPT_lS3_liPi,comdat
.Lfunc_end87:
	.size	_ZN9rocsolver6v33100L19stedc_divide_kernelIdEEviiiPT_lS3_liPi, .Lfunc_end87-_ZN9rocsolver6v33100L19stedc_divide_kernelIdEEviiiPT_lS3_liPi
                                        ; -- End function
	.section	.AMDGPU.csdata,"",@progbits
; Kernel info:
; codeLenInByte = 716
; NumSgprs: 18
; NumVgprs: 16
; ScratchSize: 0
; MemoryBound: 0
; FloatMode: 240
; IeeeMode: 1
; LDSByteSize: 0 bytes/workgroup (compile time only)
; SGPRBlocks: 2
; VGPRBlocks: 1
; NumSGPRsForWavesPerEU: 18
; NumVGPRsForWavesPerEU: 16
; Occupancy: 16
; WaveLimiterHint : 1
; COMPUTE_PGM_RSRC2:SCRATCH_EN: 0
; COMPUTE_PGM_RSRC2:USER_SGPR: 15
; COMPUTE_PGM_RSRC2:TRAP_HANDLER: 0
; COMPUTE_PGM_RSRC2:TGID_X_EN: 1
; COMPUTE_PGM_RSRC2:TGID_Y_EN: 0
; COMPUTE_PGM_RSRC2:TGID_Z_EN: 0
; COMPUTE_PGM_RSRC2:TIDIG_COMP_CNT: 0
	.section	.text._ZN9rocsolver6v33100L18stedc_solve_kernelIdEEviiPT_lS3_lS3_iilPiS3_S4_S2_S2_S2_,"axG",@progbits,_ZN9rocsolver6v33100L18stedc_solve_kernelIdEEviiPT_lS3_lS3_iilPiS3_S4_S2_S2_S2_,comdat
	.globl	_ZN9rocsolver6v33100L18stedc_solve_kernelIdEEviiPT_lS3_lS3_iilPiS3_S4_S2_S2_S2_ ; -- Begin function _ZN9rocsolver6v33100L18stedc_solve_kernelIdEEviiPT_lS3_lS3_iilPiS3_S4_S2_S2_S2_
	.p2align	8
	.type	_ZN9rocsolver6v33100L18stedc_solve_kernelIdEEviiPT_lS3_lS3_iilPiS3_S4_S2_S2_S2_,@function
_ZN9rocsolver6v33100L18stedc_solve_kernelIdEEviiPT_lS3_lS3_iilPiS3_S4_S2_S2_S2_: ; @_ZN9rocsolver6v33100L18stedc_solve_kernelIdEEviiPT_lS3_lS3_iilPiS3_S4_S2_S2_S2_
; %bb.0:
	s_mov_b32 s12, s15
	s_clause 0x4
	s_load_b32 s2, s[0:1], 0x4
	s_load_b32 s15, s[0:1], 0x7c
	s_load_b128 s[24:27], s[0:1], 0x28
	s_load_b256 s[4:11], s[0:1], 0x38
	s_load_b256 s[16:23], s[0:1], 0x8
	s_ashr_i32 s13, s12, 31
	v_mov_b32_e32 v21, 0
	s_mov_b32 s32, 0
	s_waitcnt lgkmcnt(0)
	s_ashr_i32 s3, s2, 31
	s_and_b32 s30, s15, 0xffff
	s_ashr_i32 s29, s26, 31
	s_mul_i32 s5, s12, s5
	s_mul_hi_u32 s15, s12, s4
	s_mov_b32 s28, s26
	s_mul_i32 s26, s13, s4
	s_add_i32 s5, s15, s5
	s_mul_i32 s4, s12, s4
	s_add_i32 s5, s5, s26
	s_mul_i32 s15, s12, s19
	s_lshl_b64 s[4:5], s[4:5], 3
	s_mul_hi_u32 s19, s12, s18
	s_add_u32 s24, s24, s4
	s_addc_u32 s25, s25, s5
	s_lshl_b64 s[4:5], s[28:29], 3
	s_mul_i32 s26, s13, s18
	s_add_u32 s24, s24, s4
	s_addc_u32 s25, s25, s5
	s_add_i32 s4, s19, s15
	s_mul_i32 s18, s12, s18
	s_add_i32 s19, s4, s26
	s_mul_i32 s15, s12, s23
	s_lshl_b64 s[4:5], s[18:19], 3
	s_mul_hi_u32 s23, s12, s22
	s_add_u32 s16, s16, s4
	s_mul_i32 s18, s13, s22
	s_addc_u32 s17, s17, s5
	s_add_i32 s5, s23, s15
	s_mul_i32 s4, s12, s22
	s_add_i32 s5, s5, s18
	s_mul_i32 s15, s12, s2
	s_lshl_b64 s[4:5], s[4:5], 3
	s_delay_alu instid0(SALU_CYCLE_1)
	s_add_u32 s18, s20, s4
	s_addc_u32 s19, s21, s5
	s_lshl_b64 s[4:5], s[12:13], 2
	s_mul_i32 s12, s15, 13
	s_add_u32 s20, s6, s4
	s_addc_u32 s21, s7, s5
	s_ashr_i32 s13, s12, 31
	v_mov_b32_e32 v10, s20
	s_lshl_b64 s[4:5], s[12:13], 2
	s_delay_alu instid0(SALU_CYCLE_1) | instskip(SKIP_4) | instid1(SALU_CYCLE_1)
	s_add_u32 s6, s10, s4
	s_addc_u32 s7, s11, s5
	s_lshl_b32 s4, s15, 1
	s_lshl_b64 s[2:3], s[2:3], 2
	s_ashr_i32 s5, s4, 31
	s_lshl_b64 s[4:5], s[4:5], 3
	s_delay_alu instid0(SALU_CYCLE_1) | instskip(SKIP_2) | instid1(SALU_CYCLE_1)
	s_add_u32 s12, s8, s4
	s_addc_u32 s13, s9, s5
	s_ashr_i32 s15, s14, 31
	s_lshl_b64 s[4:5], s[14:15], 2
	s_delay_alu instid0(SALU_CYCLE_1)
	s_add_u32 s4, s6, s4
	s_addc_u32 s5, s7, s5
	s_add_u32 s2, s4, s2
	s_addc_u32 s3, s5, s3
	s_clause 0x1
	s_load_b32 s2, s[2:3], 0x0
	s_load_b32 s14, s[4:5], 0x0
	s_load_b128 s[4:7], s[0:1], 0x58
	v_mov_b32_e32 v1, s30
	s_waitcnt lgkmcnt(0)
	s_ashr_i32 s3, s2, 31
	v_mov_b32_e32 v2, s14
	s_lshl_b64 s[8:9], s[2:3], 3
	s_mul_i32 s10, s2, s27
	s_add_u32 s15, s16, s8
	s_addc_u32 s16, s17, s9
	s_add_u32 s17, s18, s8
	s_addc_u32 s18, s19, s9
	;; [unrolled: 2-line block ×3, first 2 shown]
	s_ashr_i32 s11, s10, 31
	s_mul_i32 s23, s14, 30
	s_lshl_b64 s[8:9], s[10:11], 3
	s_load_b64 s[10:11], s[0:1], 0x68
	s_add_u32 s22, s3, s8
	s_addc_u32 s19, s19, s9
	s_lshl_b32 s2, s2, 1
	v_dual_mov_b32 v9, s27 :: v_dual_mov_b32 v16, s5
	s_ashr_i32 s3, s2, 31
	v_dual_mov_b32 v15, s4 :: v_dual_mov_b32 v18, s7
	s_lshl_b64 s[2:3], s[2:3], 3
	v_mov_b32_e32 v17, s6
	s_add_u32 s2, s12, s2
	s_addc_u32 s3, s13, s3
	v_dual_mov_b32 v11, s21 :: v_dual_mov_b32 v14, s23
	v_dual_mov_b32 v3, s15 :: v_dual_mov_b32 v4, s16
	;; [unrolled: 1-line block ×4, first 2 shown]
	s_waitcnt lgkmcnt(0)
	v_dual_mov_b32 v19, s10 :: v_dual_mov_b32 v20, s11
	v_dual_mov_b32 v12, s2 :: v_dual_mov_b32 v13, s3
	s_add_u32 s8, s0, 0x70
	s_addc_u32 s9, s1, 0
	s_mov_b32 s15, 1
	s_getpc_b64 s[0:1]
	s_add_u32 s0, s0, _ZN9rocsolver6v331009run_steqrIddEEviiiPT0_S3_PT_iPiS3_iS2_S2_S2_b@rel32@lo+4
	s_addc_u32 s1, s1, _ZN9rocsolver6v331009run_steqrIddEEviiiPT0_S3_PT_iPiS3_iS2_S2_S2_b@rel32@hi+12
	s_delay_alu instid0(SALU_CYCLE_1)
	s_swappc_b64 s[30:31], s[0:1]
	s_endpgm
	.section	.rodata,"a",@progbits
	.p2align	6, 0x0
	.amdhsa_kernel _ZN9rocsolver6v33100L18stedc_solve_kernelIdEEviiPT_lS3_lS3_iilPiS3_S4_S2_S2_S2_
		.amdhsa_group_segment_fixed_size 48
		.amdhsa_private_segment_fixed_size 0
		.amdhsa_kernarg_size 368
		.amdhsa_user_sgpr_count 14
		.amdhsa_user_sgpr_dispatch_ptr 0
		.amdhsa_user_sgpr_queue_ptr 0
		.amdhsa_user_sgpr_kernarg_segment_ptr 1
		.amdhsa_user_sgpr_dispatch_id 0
		.amdhsa_user_sgpr_private_segment_size 0
		.amdhsa_wavefront_size32 1
		.amdhsa_uses_dynamic_stack 0
		.amdhsa_enable_private_segment 0
		.amdhsa_system_sgpr_workgroup_id_x 1
		.amdhsa_system_sgpr_workgroup_id_y 1
		.amdhsa_system_sgpr_workgroup_id_z 0
		.amdhsa_system_sgpr_workgroup_info 0
		.amdhsa_system_vgpr_workitem_id 0
		.amdhsa_next_free_vgpr 182
		.amdhsa_next_free_sgpr 33
		.amdhsa_reserve_vcc 1
		.amdhsa_float_round_mode_32 0
		.amdhsa_float_round_mode_16_64 0
		.amdhsa_float_denorm_mode_32 3
		.amdhsa_float_denorm_mode_16_64 3
		.amdhsa_dx10_clamp 1
		.amdhsa_ieee_mode 1
		.amdhsa_fp16_overflow 0
		.amdhsa_workgroup_processor_mode 1
		.amdhsa_memory_ordered 1
		.amdhsa_forward_progress 0
		.amdhsa_shared_vgpr_count 0
		.amdhsa_exception_fp_ieee_invalid_op 0
		.amdhsa_exception_fp_denorm_src 0
		.amdhsa_exception_fp_ieee_div_zero 0
		.amdhsa_exception_fp_ieee_overflow 0
		.amdhsa_exception_fp_ieee_underflow 0
		.amdhsa_exception_fp_ieee_inexact 0
		.amdhsa_exception_int_div_zero 0
	.end_amdhsa_kernel
	.section	.text._ZN9rocsolver6v33100L18stedc_solve_kernelIdEEviiPT_lS3_lS3_iilPiS3_S4_S2_S2_S2_,"axG",@progbits,_ZN9rocsolver6v33100L18stedc_solve_kernelIdEEviiPT_lS3_lS3_iilPiS3_S4_S2_S2_S2_,comdat
.Lfunc_end88:
	.size	_ZN9rocsolver6v33100L18stedc_solve_kernelIdEEviiPT_lS3_lS3_iilPiS3_S4_S2_S2_S2_, .Lfunc_end88-_ZN9rocsolver6v33100L18stedc_solve_kernelIdEEviiPT_lS3_lS3_iilPiS3_S4_S2_S2_S2_
                                        ; -- End function
	.section	.AMDGPU.csdata,"",@progbits
; Kernel info:
; codeLenInByte = 552
; NumSgprs: 35
; NumVgprs: 182
; ScratchSize: 0
; MemoryBound: 0
; FloatMode: 240
; IeeeMode: 1
; LDSByteSize: 48 bytes/workgroup (compile time only)
; SGPRBlocks: 4
; VGPRBlocks: 22
; NumSGPRsForWavesPerEU: 35
; NumVGPRsForWavesPerEU: 182
; Occupancy: 8
; WaveLimiterHint : 0
; COMPUTE_PGM_RSRC2:SCRATCH_EN: 0
; COMPUTE_PGM_RSRC2:USER_SGPR: 14
; COMPUTE_PGM_RSRC2:TRAP_HANDLER: 0
; COMPUTE_PGM_RSRC2:TGID_X_EN: 1
; COMPUTE_PGM_RSRC2:TGID_Y_EN: 1
; COMPUTE_PGM_RSRC2:TGID_Z_EN: 0
; COMPUTE_PGM_RSRC2:TIDIG_COMP_CNT: 0
	.section	.text._ZN9rocsolver6v33100L37stedc_mergePrepare_DeflateZero_kernelIdEEviiPT_lS3_lS3_iilS3_PiS2_,"axG",@progbits,_ZN9rocsolver6v33100L37stedc_mergePrepare_DeflateZero_kernelIdEEviiPT_lS3_lS3_iilS3_PiS2_,comdat
	.globl	_ZN9rocsolver6v33100L37stedc_mergePrepare_DeflateZero_kernelIdEEviiPT_lS3_lS3_iilS3_PiS2_ ; -- Begin function _ZN9rocsolver6v33100L37stedc_mergePrepare_DeflateZero_kernelIdEEviiPT_lS3_lS3_iilS3_PiS2_
	.p2align	8
	.type	_ZN9rocsolver6v33100L37stedc_mergePrepare_DeflateZero_kernelIdEEviiPT_lS3_lS3_iilS3_PiS2_,@function
_ZN9rocsolver6v33100L37stedc_mergePrepare_DeflateZero_kernelIdEEviiPT_lS3_lS3_iilS3_PiS2_: ; @_ZN9rocsolver6v33100L37stedc_mergePrepare_DeflateZero_kernelIdEEviiPT_lS3_lS3_iilS3_PiS2_
; %bb.0:
	s_clause 0x2
	s_load_b32 s8, s[0:1], 0x4
	s_load_b256 s[24:31], s[0:1], 0x8
	s_load_b256 s[16:23], s[0:1], 0x38
	s_ashr_i32 s35, s15, 31
	s_waitcnt lgkmcnt(0)
	s_mul_i32 s6, s15, s8
	s_mul_i32 s2, s15, s31
	s_mul_hi_u32 s3, s15, s30
	s_mul_i32 s4, s35, s30
	s_add_i32 s3, s3, s2
	s_mul_i32 s2, s15, s30
	s_add_i32 s3, s3, s4
	s_ashr_i32 s9, s8, 31
	s_lshl_b64 s[2:3], s[2:3], 3
	s_mul_i32 s4, s6, 13
	s_add_u32 s12, s28, s2
	s_addc_u32 s13, s29, s3
	s_ashr_i32 s5, s4, 31
	s_mul_i32 s11, s8, 0xffffffe8
	s_lshl_b64 s[2:3], s[4:5], 2
	s_mul_hi_i32 s10, s8, 0xffffffe8
	s_add_u32 s5, s20, s2
	s_addc_u32 s7, s21, s3
	s_lshl_b32 s2, s8, 3
	s_mul_i32 s4, s6, 10
	s_ashr_i32 s3, s2, 31
	s_delay_alu instid0(SALU_CYCLE_1) | instskip(NEXT) | instid1(SALU_CYCLE_1)
	s_lshl_b64 s[2:3], s[2:3], 2
	s_add_u32 s28, s5, s2
	s_addc_u32 s29, s7, s3
	s_add_u32 s11, s28, s11
	s_addc_u32 s10, s29, s10
	s_ashr_i32 s5, s4, 31
	s_mul_i32 s2, s8, 9
	s_lshl_b64 s[4:5], s[4:5], 3
	s_lshl_b64 s[6:7], s[8:9], 2
	s_add_u32 s30, s18, s4
	s_addc_u32 s31, s19, s5
	s_ashr_i32 s3, s2, 31
	s_delay_alu instid0(SALU_CYCLE_1) | instskip(NEXT) | instid1(SALU_CYCLE_1)
	s_lshl_b64 s[2:3], s[2:3], 3
	s_add_u32 s33, s30, s2
	s_addc_u32 s34, s31, s3
	s_lshl_b32 s2, s14, 1
	s_delay_alu instid0(SALU_CYCLE_1) | instskip(NEXT) | instid1(SALU_CYCLE_1)
	s_ashr_i32 s3, s2, 31
	s_lshl_b64 s[2:3], s[2:3], 2
	s_delay_alu instid0(SALU_CYCLE_1)
	s_add_u32 s2, s11, s2
	s_addc_u32 s3, s10, s3
	s_add_u32 s4, s2, s6
	s_addc_u32 s5, s3, s7
	s_load_b64 s[6:7], s[4:5], 0x0
	s_waitcnt lgkmcnt(0)
	s_ashr_i32 s11, s7, 31
	s_mov_b32 s10, s7
	s_delay_alu instid0(SALU_CYCLE_1) | instskip(NEXT) | instid1(SALU_CYCLE_1)
	s_lshl_b64 s[4:5], s[10:11], 3
	s_add_u32 s4, s12, s4
	s_addc_u32 s5, s13, s5
	s_add_u32 s4, s4, -8
	s_addc_u32 s5, s5, -1
	s_load_b64 s[4:5], s[4:5], 0x0
	s_load_b64 s[12:13], s[2:3], 0x0
	;; [unrolled: 1-line block ×3, first 2 shown]
	s_waitcnt lgkmcnt(0)
	s_add_i32 s7, s13, s12
	v_add_f64 v[1:2], s[4:5], s[4:5]
	v_cmp_le_i32_e64 s3, s7, v0
	v_cmp_gt_i32_e64 s2, s7, v0
	s_delay_alu instid0(VALU_DEP_1)
	s_and_saveexec_b32 s5, s2
	s_cbranch_execz .LBB89_3
; %bb.1:
	s_load_b32 s4, s[0:1], 0x64
	v_mov_b32_e32 v3, v0
	s_mov_b32 s18, 0
	s_waitcnt lgkmcnt(0)
	s_and_b32 s14, s4, 0xffff
.LBB89_2:                               ; =>This Inner Loop Header: Depth=1
	s_delay_alu instid0(VALU_DEP_1) | instskip(SKIP_1) | instid1(VALU_DEP_2)
	v_add_nc_u32_e32 v4, s6, v3
	v_add_nc_u32_e32 v3, s14, v3
	v_ashrrev_i32_e32 v5, 31, v4
	s_delay_alu instid0(VALU_DEP_2) | instskip(NEXT) | instid1(VALU_DEP_2)
	v_cmp_le_i32_e32 vcc_lo, s7, v3
	v_lshlrev_b64 v[4:5], 3, v[4:5]
	s_or_b32 s18, vcc_lo, s18
	s_delay_alu instid0(VALU_DEP_1) | instskip(NEXT) | instid1(VALU_DEP_1)
	v_add_co_u32 v4, s4, s33, v4
	v_add_co_ci_u32_e64 v5, s4, s34, v5, s4
	global_store_b64 v[4:5], v[1:2], off
	s_and_not1_b32 exec_lo, exec_lo, s18
	s_cbranch_execnz .LBB89_2
.LBB89_3:
	s_or_b32 exec_lo, exec_lo, s5
	s_load_b64 s[18:19], s[0:1], 0x30
	s_mul_i32 s4, s15, s17
	s_mul_hi_u32 s5, s15, s16
	s_mul_i32 s14, s35, s16
	s_add_i32 s5, s5, s4
	s_mul_i32 s4, s15, s16
	s_add_i32 s5, s5, s14
	v_mov_b32_e32 v3, 0
	s_lshl_b64 s[4:5], s[4:5], 3
	v_mov_b32_e32 v4, 0
	s_waitcnt lgkmcnt(0)
	s_ashr_i32 s17, s18, 31
	s_mov_b32 s16, s18
	s_add_u32 s14, s20, s4
	s_addc_u32 s18, s21, s5
	s_lshl_b64 s[4:5], s[16:17], 3
	s_mov_b32 s20, exec_lo
	s_add_u32 s14, s14, s4
	s_addc_u32 s18, s18, s5
	v_cmpx_gt_i32_e64 s12, v0
	s_cbranch_execz .LBB89_7
; %bb.4:
	s_load_b32 s4, s[0:1], 0x64
	v_add_nc_u32_e32 v5, s6, v0
	v_dual_mov_b32 v3, 0 :: v_dual_mov_b32 v6, v0
	v_mov_b32_e32 v4, 0
	s_mov_b32 s16, 0x667f3bcd
	s_delay_alu instid0(VALU_DEP_3)
	v_mul_lo_u32 v5, s19, v5
	s_mov_b32 s17, 0x3ff6a09e
	s_mov_b32 s38, 0
	s_waitcnt lgkmcnt(0)
	s_and_b32 s21, s4, 0xffff
	s_add_u32 s36, s14, -8
	s_addc_u32 s37, s18, -1
	s_mul_i32 s39, s19, s21
.LBB89_5:                               ; =>This Inner Loop Header: Depth=1
	v_ashrrev_i32_e32 v8, 31, v5
	v_add_co_u32 v7, vcc_lo, v5, s10
	v_add_nc_u32_e32 v5, s39, v5
	s_delay_alu instid0(VALU_DEP_3) | instskip(NEXT) | instid1(VALU_DEP_1)
	v_add_co_ci_u32_e32 v8, vcc_lo, s11, v8, vcc_lo
	v_lshlrev_b64 v[7:8], 3, v[7:8]
	s_delay_alu instid0(VALU_DEP_1) | instskip(NEXT) | instid1(VALU_DEP_2)
	v_add_co_u32 v7, vcc_lo, s36, v7
	v_add_co_ci_u32_e32 v8, vcc_lo, s37, v8, vcc_lo
	global_load_b64 v[7:8], v[7:8], off
	s_waitcnt vmcnt(0)
	v_div_scale_f64 v[9:10], null, s[16:17], s[16:17], v[7:8]
	v_div_scale_f64 v[15:16], vcc_lo, v[7:8], s[16:17], v[7:8]
	s_delay_alu instid0(VALU_DEP_2) | instskip(SKIP_2) | instid1(VALU_DEP_1)
	v_rcp_f64_e32 v[11:12], v[9:10]
	s_waitcnt_depctr 0xfff
	v_fma_f64 v[13:14], -v[9:10], v[11:12], 1.0
	v_fma_f64 v[11:12], v[11:12], v[13:14], v[11:12]
	s_delay_alu instid0(VALU_DEP_1) | instskip(NEXT) | instid1(VALU_DEP_1)
	v_fma_f64 v[13:14], -v[9:10], v[11:12], 1.0
	v_fma_f64 v[11:12], v[11:12], v[13:14], v[11:12]
	s_delay_alu instid0(VALU_DEP_1) | instskip(NEXT) | instid1(VALU_DEP_1)
	v_mul_f64 v[13:14], v[15:16], v[11:12]
	v_fma_f64 v[9:10], -v[9:10], v[13:14], v[15:16]
	s_delay_alu instid0(VALU_DEP_1) | instskip(NEXT) | instid1(VALU_DEP_1)
	v_div_fmas_f64 v[9:10], v[9:10], v[11:12], v[13:14]
	v_div_fixup_f64 v[7:8], v[9:10], s[16:17], v[7:8]
	s_delay_alu instid0(VALU_DEP_1) | instskip(SKIP_3) | instid1(VALU_DEP_3)
	v_cmp_lt_f64_e64 vcc_lo, v[3:4], |v[7:8]|
	v_and_b32_e32 v11, 0x7fffffff, v8
	v_add_nc_u32_e32 v9, s6, v6
	v_dual_cndmask_b32 v3, v3, v7 :: v_dual_add_nc_u32 v6, s21, v6
	v_cndmask_b32_e32 v4, v4, v11, vcc_lo
	s_delay_alu instid0(VALU_DEP_3) | instskip(NEXT) | instid1(VALU_DEP_3)
	v_ashrrev_i32_e32 v10, 31, v9
	v_cmp_le_i32_e64 s4, s12, v6
	s_delay_alu instid0(VALU_DEP_2) | instskip(NEXT) | instid1(VALU_DEP_2)
	v_lshlrev_b64 v[9:10], 3, v[9:10]
	s_or_b32 s38, s4, s38
	s_delay_alu instid0(VALU_DEP_1) | instskip(NEXT) | instid1(VALU_DEP_1)
	v_add_co_u32 v9, s5, s30, v9
	v_add_co_ci_u32_e64 v10, s5, s31, v10, s5
	global_store_b64 v[9:10], v[7:8], off
	s_and_not1_b32 exec_lo, exec_lo, s38
	s_cbranch_execnz .LBB89_5
; %bb.6:
	s_or_b32 exec_lo, exec_lo, s38
.LBB89_7:
	s_delay_alu instid0(SALU_CYCLE_1) | instskip(NEXT) | instid1(SALU_CYCLE_1)
	s_or_b32 exec_lo, exec_lo, s20
	s_mov_b32 s11, exec_lo
                                        ; implicit-def: $sgpr4_sgpr5
	v_cmpx_le_i32_e64 s13, v0
	s_xor_b32 s11, exec_lo, s11
; %bb.8:
	s_add_u32 s4, s0, 0x58
	s_addc_u32 s5, s1, 0
; %bb.9:
	s_or_saveexec_b32 s11, s11
	v_dual_mov_b32 v8, s5 :: v_dual_mov_b32 v7, s4
	s_xor_b32 exec_lo, exec_lo, s11
	s_cbranch_execz .LBB89_13
; %bb.10:
	s_load_b32 s12, s[0:1], 0x64
	v_dual_mov_b32 v6, v0 :: v_dual_add_nc_u32 v5, s10, v0
	s_add_u32 s4, s0, 0x58
	s_addc_u32 s5, s1, 0
	s_mov_b32 s16, 0x667f3bcd
	s_delay_alu instid0(VALU_DEP_1) | instskip(SKIP_3) | instid1(SALU_CYCLE_1)
	v_mul_lo_u32 v5, s19, v5
	s_mov_b32 s17, 0x3ff6a09e
	s_waitcnt lgkmcnt(0)
	s_and_b32 s12, s12, 0xffff
	s_mul_i32 s20, s19, s12
	s_mov_b32 s19, 0
.LBB89_11:                              ; =>This Inner Loop Header: Depth=1
	s_delay_alu instid0(VALU_DEP_1) | instskip(SKIP_1) | instid1(VALU_DEP_2)
	v_add_nc_u32_e32 v7, s10, v5
	v_add_nc_u32_e32 v5, s20, v5
	v_ashrrev_i32_e32 v8, 31, v7
	s_delay_alu instid0(VALU_DEP_1) | instskip(NEXT) | instid1(VALU_DEP_1)
	v_lshlrev_b64 v[7:8], 3, v[7:8]
	v_add_co_u32 v7, vcc_lo, s14, v7
	s_delay_alu instid0(VALU_DEP_2) | instskip(SKIP_4) | instid1(VALU_DEP_2)
	v_add_co_ci_u32_e32 v8, vcc_lo, s18, v8, vcc_lo
	global_load_b64 v[7:8], v[7:8], off
	s_waitcnt vmcnt(0)
	v_div_scale_f64 v[9:10], null, s[16:17], s[16:17], v[7:8]
	v_div_scale_f64 v[15:16], vcc_lo, v[7:8], s[16:17], v[7:8]
	v_rcp_f64_e32 v[11:12], v[9:10]
	s_waitcnt_depctr 0xfff
	v_fma_f64 v[13:14], -v[9:10], v[11:12], 1.0
	s_delay_alu instid0(VALU_DEP_1) | instskip(NEXT) | instid1(VALU_DEP_1)
	v_fma_f64 v[11:12], v[11:12], v[13:14], v[11:12]
	v_fma_f64 v[13:14], -v[9:10], v[11:12], 1.0
	s_delay_alu instid0(VALU_DEP_1) | instskip(NEXT) | instid1(VALU_DEP_1)
	v_fma_f64 v[11:12], v[11:12], v[13:14], v[11:12]
	v_mul_f64 v[13:14], v[15:16], v[11:12]
	s_delay_alu instid0(VALU_DEP_1) | instskip(NEXT) | instid1(VALU_DEP_1)
	v_fma_f64 v[9:10], -v[9:10], v[13:14], v[15:16]
	v_div_fmas_f64 v[9:10], v[9:10], v[11:12], v[13:14]
	s_delay_alu instid0(VALU_DEP_1) | instskip(SKIP_1) | instid1(VALU_DEP_1)
	v_div_fixup_f64 v[7:8], v[9:10], s[16:17], v[7:8]
	v_add_nc_u32_e32 v9, s10, v6
	v_ashrrev_i32_e32 v10, 31, v9
	s_delay_alu instid0(VALU_DEP_1) | instskip(NEXT) | instid1(VALU_DEP_1)
	v_lshlrev_b64 v[9:10], 3, v[9:10]
	v_add_co_u32 v9, s1, s30, v9
	s_delay_alu instid0(VALU_DEP_1)
	v_add_co_ci_u32_e64 v10, s1, s31, v10, s1
	v_cmp_lt_f64_e64 vcc_lo, v[3:4], |v[7:8]|
	v_add_nc_u32_e32 v6, s12, v6
	v_and_b32_e32 v11, 0x7fffffff, v8
	global_store_b64 v[9:10], v[7:8], off
	v_cndmask_b32_e32 v3, v3, v7, vcc_lo
	v_cmp_le_i32_e64 s0, s13, v6
	v_cndmask_b32_e32 v4, v4, v11, vcc_lo
	s_delay_alu instid0(VALU_DEP_2) | instskip(NEXT) | instid1(SALU_CYCLE_1)
	s_or_b32 s19, s0, s19
	s_and_not1_b32 exec_lo, exec_lo, s19
	s_cbranch_execnz .LBB89_11
; %bb.12:
	s_or_b32 exec_lo, exec_lo, s19
	v_dual_mov_b32 v8, s5 :: v_dual_mov_b32 v7, s4
.LBB89_13:
	s_or_b32 exec_lo, exec_lo, s11
                                        ; implicit-def: $sgpr0_sgpr1
                                        ; implicit-def: $vgpr10
                                        ; implicit-def: $vgpr9
	s_and_saveexec_b32 s4, s3
	s_delay_alu instid0(SALU_CYCLE_1)
	s_xor_b32 s3, exec_lo, s4
	s_cbranch_execz .LBB89_15
; %bb.14:
	global_load_u16 v10, v[7:8], off offset:12
	s_mov_b64 s[0:1], 0
                                        ; implicit-def: $vgpr7_vgpr8
	s_waitcnt vmcnt(0)
	v_and_b32_e32 v9, 0xffff, v10
.LBB89_15:
	s_or_saveexec_b32 s3, s3
	v_dual_mov_b32 v6, s1 :: v_dual_mov_b32 v5, s0
	s_xor_b32 exec_lo, exec_lo, s3
	s_cbranch_execz .LBB89_19
; %bb.16:
	global_load_u16 v10, v[7:8], off offset:12
	s_mul_i32 s0, s15, s27
	s_mul_hi_u32 s1, s15, s26
	s_mul_i32 s4, s35, s26
	s_add_i32 s1, s1, s0
	s_mul_i32 s0, s15, s26
	s_add_i32 s1, s1, s4
	v_mov_b32_e32 v5, 0
	v_mov_b32_e32 v6, 0
	s_lshl_b64 s[4:5], s[0:1], 3
	v_mov_b32_e32 v7, v0
	s_add_u32 s1, s24, s4
	s_addc_u32 s5, s25, s5
	s_mov_b32 s4, 0
	s_waitcnt vmcnt(0)
	v_and_b32_e32 v9, 0xffff, v10
	.p2align	6
.LBB89_17:                              ; =>This Inner Loop Header: Depth=1
	v_add_nc_u32_e32 v11, s6, v7
	s_delay_alu instid0(VALU_DEP_2) | instskip(NEXT) | instid1(VALU_DEP_2)
	v_add_nc_u32_e32 v7, v7, v9
	v_ashrrev_i32_e32 v12, 31, v11
	s_delay_alu instid0(VALU_DEP_2) | instskip(NEXT) | instid1(VALU_DEP_2)
	v_cmp_le_i32_e64 s0, s7, v7
	v_lshlrev_b64 v[11:12], 3, v[11:12]
	s_delay_alu instid0(VALU_DEP_2) | instskip(NEXT) | instid1(VALU_DEP_1)
	s_or_b32 s4, s0, s4
	v_add_co_u32 v11, vcc_lo, s1, v11
	s_delay_alu instid0(VALU_DEP_2) | instskip(SKIP_4) | instid1(VALU_DEP_1)
	v_add_co_ci_u32_e32 v12, vcc_lo, s5, v12, vcc_lo
	global_load_b64 v[11:12], v[11:12], off
	s_waitcnt vmcnt(0)
	v_cmp_lt_f64_e64 vcc_lo, v[5:6], |v[11:12]|
	v_dual_cndmask_b32 v5, v5, v11 :: v_dual_and_b32 v8, 0x7fffffff, v12
	v_cndmask_b32_e32 v6, v6, v8, vcc_lo
	s_and_not1_b32 exec_lo, exec_lo, s4
	s_cbranch_execnz .LBB89_17
; %bb.18:
	s_or_b32 exec_lo, exec_lo, s4
.LBB89_19:
	s_delay_alu instid0(SALU_CYCLE_1)
	s_or_b32 exec_lo, exec_lo, s3
	v_lshlrev_b32_e32 v7, 3, v0
	s_mov_b32 s1, exec_lo
	ds_store_2addr_stride64_b64 v7, v[5:6], v[3:4] offset1:8
	s_waitcnt lgkmcnt(0)
	s_waitcnt_vscnt null, 0x0
	s_barrier
	buffer_gl0_inv
	v_cmpx_lt_u16_e32 1, v10
	s_cbranch_execz .LBB89_24
; %bb.20:
	v_or_b32_e32 v8, 0x1000, v7
	v_mov_b32_e32 v10, v9
	s_mov_b32 s3, 0
	s_set_inst_prefetch_distance 0x1
	s_branch .LBB89_22
	.p2align	6
.LBB89_21:                              ;   in Loop: Header=BB89_22 Depth=1
	s_or_b32 exec_lo, exec_lo, s4
	v_cmp_gt_u32_e32 vcc_lo, 4, v10
	v_mov_b32_e32 v10, v11
	s_waitcnt lgkmcnt(0)
	s_barrier
	buffer_gl0_inv
	s_or_b32 s3, vcc_lo, s3
	s_delay_alu instid0(SALU_CYCLE_1)
	s_and_not1_b32 exec_lo, exec_lo, s3
	s_cbranch_execz .LBB89_24
.LBB89_22:                              ; =>This Inner Loop Header: Depth=1
	s_delay_alu instid0(VALU_DEP_1) | instskip(SKIP_1) | instid1(VALU_DEP_1)
	v_lshrrev_b32_e32 v11, 1, v10
	s_mov_b32 s4, exec_lo
	v_cmpx_lt_u32_e64 v0, v11
	s_cbranch_execz .LBB89_21
; %bb.23:                               ;   in Loop: Header=BB89_22 Depth=1
	v_lshlrev_b32_e32 v12, 3, v11
	s_delay_alu instid0(VALU_DEP_1)
	v_add_nc_u32_e32 v13, v7, v12
	v_add_nc_u32_e32 v14, v8, v12
	ds_load_b64 v[12:13], v13
	ds_load_b64 v[14:15], v14
	s_waitcnt lgkmcnt(1)
	v_cmp_lt_f64_e32 vcc_lo, v[5:6], v[12:13]
	s_waitcnt lgkmcnt(0)
	v_cmp_lt_f64_e64 s0, v[3:4], v[14:15]
	v_dual_cndmask_b32 v6, v6, v13 :: v_dual_cndmask_b32 v5, v5, v12
	s_delay_alu instid0(VALU_DEP_2)
	v_cndmask_b32_e64 v4, v4, v15, s0
	v_cndmask_b32_e64 v3, v3, v14, s0
	ds_store_b64 v7, v[5:6]
	ds_store_b64 v8, v[3:4]
	s_branch .LBB89_21
.LBB89_24:
	s_set_inst_prefetch_distance 0x2
	s_or_b32 exec_lo, exec_lo, s1
	s_and_saveexec_b32 s0, s2
	s_cbranch_execz .LBB89_29
; %bb.25:
	v_mov_b32_e32 v3, 0
	v_ldexp_f64 v[7:8], s[22:23], 3
	s_mul_i32 s0, s8, 0xffffffd8
	s_mul_hi_i32 s2, s8, 0xffffffd8
	s_add_u32 s1, s33, s0
	ds_load_2addr_stride64_b64 v[3:6], v3 offset1:8
	s_addc_u32 s2, s34, s2
	s_lshl_b64 s[4:5], s[8:9], 3
	s_delay_alu instid0(SALU_CYCLE_1)
	s_add_u32 s3, s1, s4
	s_addc_u32 s5, s2, s5
	s_mov_b32 s4, 0
	s_waitcnt lgkmcnt(0)
	v_cmp_lt_f64_e32 vcc_lo, v[3:4], v[5:6]
	v_dual_cndmask_b32 v4, v4, v6 :: v_dual_cndmask_b32 v3, v3, v5
	v_mov_b32_e32 v5, v0
	s_delay_alu instid0(VALU_DEP_2)
	v_mul_f64 v[3:4], v[7:8], v[3:4]
	.p2align	6
.LBB89_26:                              ; =>This Inner Loop Header: Depth=1
	s_delay_alu instid0(VALU_DEP_2) | instskip(SKIP_1) | instid1(VALU_DEP_2)
	v_add_nc_u32_e32 v6, s6, v5
	v_add_nc_u32_e32 v5, v5, v9
	v_ashrrev_i32_e32 v7, 31, v6
	s_delay_alu instid0(VALU_DEP_2) | instskip(NEXT) | instid1(VALU_DEP_2)
	v_cmp_le_i32_e32 vcc_lo, s7, v5
	v_lshlrev_b64 v[6:7], 3, v[6:7]
	s_or_b32 s4, vcc_lo, s4
	s_delay_alu instid0(VALU_DEP_1) | instskip(NEXT) | instid1(VALU_DEP_1)
	v_add_co_u32 v10, s0, s1, v6
	v_add_co_ci_u32_e64 v11, s0, s2, v7, s0
	v_add_co_u32 v6, s0, s3, v6
	s_delay_alu instid0(VALU_DEP_1)
	v_add_co_ci_u32_e64 v7, s0, s5, v7, s0
	s_clause 0x1
	global_store_b64 v[10:11], v[3:4], off
	global_store_b64 v[6:7], v[3:4], off
	s_and_not1_b32 exec_lo, exec_lo, s4
	s_cbranch_execnz .LBB89_26
; %bb.27:
	s_or_b32 exec_lo, exec_lo, s4
	s_mov_b32 s1, 0
	.p2align	6
.LBB89_28:                              ; =>This Inner Loop Header: Depth=1
	v_add_nc_u32_e32 v5, s6, v0
	v_add_nc_u32_e32 v0, v0, v9
	s_delay_alu instid0(VALU_DEP_2) | instskip(NEXT) | instid1(VALU_DEP_1)
	v_ashrrev_i32_e32 v6, 31, v5
	v_lshlrev_b64 v[7:8], 3, v[5:6]
	v_lshlrev_b64 v[5:6], 2, v[5:6]
	s_delay_alu instid0(VALU_DEP_2) | instskip(NEXT) | instid1(VALU_DEP_3)
	v_add_co_u32 v7, vcc_lo, s30, v7
	v_add_co_ci_u32_e32 v8, vcc_lo, s31, v8, vcc_lo
	s_delay_alu instid0(VALU_DEP_3) | instskip(NEXT) | instid1(VALU_DEP_1)
	v_add_co_u32 v5, s0, s28, v5
	v_add_co_ci_u32_e64 v6, s0, s29, v6, s0
	global_load_b64 v[7:8], v[7:8], off
	v_cmp_le_i32_e32 vcc_lo, s7, v0
	s_or_b32 s1, vcc_lo, s1
	s_waitcnt vmcnt(0)
	v_mul_f64 v[7:8], v[1:2], v[7:8]
	s_delay_alu instid0(VALU_DEP_1) | instskip(NEXT) | instid1(VALU_DEP_1)
	v_cmp_nle_f64_e64 s0, |v[7:8]|, v[3:4]
	v_cndmask_b32_e64 v7, 0, 1, s0
	global_store_b32 v[5:6], v7, off
	s_and_not1_b32 exec_lo, exec_lo, s1
	s_cbranch_execnz .LBB89_28
.LBB89_29:
	s_nop 0
	s_sendmsg sendmsg(MSG_DEALLOC_VGPRS)
	s_endpgm
	.section	.rodata,"a",@progbits
	.p2align	6, 0x0
	.amdhsa_kernel _ZN9rocsolver6v33100L37stedc_mergePrepare_DeflateZero_kernelIdEEviiPT_lS3_lS3_iilS3_PiS2_
		.amdhsa_group_segment_fixed_size 8192
		.amdhsa_private_segment_fixed_size 0
		.amdhsa_kernarg_size 344
		.amdhsa_user_sgpr_count 14
		.amdhsa_user_sgpr_dispatch_ptr 0
		.amdhsa_user_sgpr_queue_ptr 0
		.amdhsa_user_sgpr_kernarg_segment_ptr 1
		.amdhsa_user_sgpr_dispatch_id 0
		.amdhsa_user_sgpr_private_segment_size 0
		.amdhsa_wavefront_size32 1
		.amdhsa_uses_dynamic_stack 0
		.amdhsa_enable_private_segment 0
		.amdhsa_system_sgpr_workgroup_id_x 1
		.amdhsa_system_sgpr_workgroup_id_y 1
		.amdhsa_system_sgpr_workgroup_id_z 0
		.amdhsa_system_sgpr_workgroup_info 0
		.amdhsa_system_vgpr_workitem_id 0
		.amdhsa_next_free_vgpr 17
		.amdhsa_next_free_sgpr 40
		.amdhsa_reserve_vcc 1
		.amdhsa_float_round_mode_32 0
		.amdhsa_float_round_mode_16_64 0
		.amdhsa_float_denorm_mode_32 3
		.amdhsa_float_denorm_mode_16_64 3
		.amdhsa_dx10_clamp 1
		.amdhsa_ieee_mode 1
		.amdhsa_fp16_overflow 0
		.amdhsa_workgroup_processor_mode 1
		.amdhsa_memory_ordered 1
		.amdhsa_forward_progress 0
		.amdhsa_shared_vgpr_count 0
		.amdhsa_exception_fp_ieee_invalid_op 0
		.amdhsa_exception_fp_denorm_src 0
		.amdhsa_exception_fp_ieee_div_zero 0
		.amdhsa_exception_fp_ieee_overflow 0
		.amdhsa_exception_fp_ieee_underflow 0
		.amdhsa_exception_fp_ieee_inexact 0
		.amdhsa_exception_int_div_zero 0
	.end_amdhsa_kernel
	.section	.text._ZN9rocsolver6v33100L37stedc_mergePrepare_DeflateZero_kernelIdEEviiPT_lS3_lS3_iilS3_PiS2_,"axG",@progbits,_ZN9rocsolver6v33100L37stedc_mergePrepare_DeflateZero_kernelIdEEviiPT_lS3_lS3_iilS3_PiS2_,comdat
.Lfunc_end89:
	.size	_ZN9rocsolver6v33100L37stedc_mergePrepare_DeflateZero_kernelIdEEviiPT_lS3_lS3_iilS3_PiS2_, .Lfunc_end89-_ZN9rocsolver6v33100L37stedc_mergePrepare_DeflateZero_kernelIdEEviiPT_lS3_lS3_iilS3_PiS2_
                                        ; -- End function
	.section	.AMDGPU.csdata,"",@progbits
; Kernel info:
; codeLenInByte = 2152
; NumSgprs: 42
; NumVgprs: 17
; ScratchSize: 0
; MemoryBound: 0
; FloatMode: 240
; IeeeMode: 1
; LDSByteSize: 8192 bytes/workgroup (compile time only)
; SGPRBlocks: 5
; VGPRBlocks: 2
; NumSGPRsForWavesPerEU: 42
; NumVGPRsForWavesPerEU: 17
; Occupancy: 16
; WaveLimiterHint : 1
; COMPUTE_PGM_RSRC2:SCRATCH_EN: 0
; COMPUTE_PGM_RSRC2:USER_SGPR: 14
; COMPUTE_PGM_RSRC2:TRAP_HANDLER: 0
; COMPUTE_PGM_RSRC2:TGID_X_EN: 1
; COMPUTE_PGM_RSRC2:TGID_Y_EN: 1
; COMPUTE_PGM_RSRC2:TGID_Z_EN: 0
; COMPUTE_PGM_RSRC2:TIDIG_COMP_CNT: 0
	.section	.text._ZN9rocsolver6v33100L31stedc_mergePrepare_SortD_kernelIdEEviiPT_lS3_Pi,"axG",@progbits,_ZN9rocsolver6v33100L31stedc_mergePrepare_SortD_kernelIdEEviiPT_lS3_Pi,comdat
	.globl	_ZN9rocsolver6v33100L31stedc_mergePrepare_SortD_kernelIdEEviiPT_lS3_Pi ; -- Begin function _ZN9rocsolver6v33100L31stedc_mergePrepare_SortD_kernelIdEEviiPT_lS3_Pi
	.p2align	8
	.type	_ZN9rocsolver6v33100L31stedc_mergePrepare_SortD_kernelIdEEviiPT_lS3_Pi,@function
_ZN9rocsolver6v33100L31stedc_mergePrepare_SortD_kernelIdEEviiPT_lS3_Pi: ; @_ZN9rocsolver6v33100L31stedc_mergePrepare_SortD_kernelIdEEviiPT_lS3_Pi
; %bb.0:
	s_clause 0x1
	s_load_b32 s12, s[0:1], 0x4
	s_load_b256 s[4:11], s[0:1], 0x8
	s_ashr_i32 s2, s15, 31
	v_mov_b32_e32 v25, 0
	s_waitcnt lgkmcnt(0)
	s_mul_i32 s21, s15, s12
	s_mul_i32 s3, s15, s7
	s_mul_hi_u32 s7, s15, s6
	s_mul_i32 s16, s2, s6
	s_add_i32 s3, s7, s3
	s_mul_i32 s2, s15, s6
	s_add_i32 s3, s3, s16
	s_ashr_i32 s13, s12, 31
	s_lshl_b64 s[2:3], s[2:3], 3
	s_mul_i32 s6, s21, 13
	s_add_u32 s23, s4, s2
	s_addc_u32 s24, s5, s3
	s_ashr_i32 s7, s6, 31
	s_load_b32 s16, s[0:1], 0x34
	s_lshl_b64 s[2:3], s[6:7], 2
	s_mul_i32 s5, s12, 12
	s_add_u32 s2, s10, s2
	s_addc_u32 s3, s11, s3
	s_lshl_b32 s0, s12, 3
	s_mul_hi_i32 s4, s12, 12
	s_ashr_i32 s1, s0, 31
	s_mul_hi_i32 s6, s12, 0xffffffec
	s_lshl_b64 s[0:1], s[0:1], 2
	s_delay_alu instid0(SALU_CYCLE_1)
	s_add_u32 s25, s2, s0
	s_addc_u32 s26, s3, s1
	s_lshl_b64 s[2:3], s[12:13], 2
	s_mul_i32 s0, s12, 0xffffffec
	s_sub_u32 s13, s25, s2
	s_subb_u32 s18, s26, s3
	s_add_u32 s19, s13, s5
	s_addc_u32 s20, s18, s4
	s_add_u32 s7, s19, s0
	s_addc_u32 s17, s20, s6
	s_ashr_i32 s15, s14, 31
	s_delay_alu instid0(SALU_CYCLE_1) | instskip(NEXT) | instid1(SALU_CYCLE_1)
	s_lshl_b64 s[10:11], s[14:15], 3
	s_add_u32 s4, s23, s10
	s_addc_u32 s5, s24, s11
	s_lshl_b64 s[0:1], s[14:15], 2
	s_delay_alu instid0(SALU_CYCLE_1)
	s_add_u32 s6, s7, s0
	s_addc_u32 s7, s17, s1
	s_add_u32 s2, s6, s2
	s_addc_u32 s3, s7, s3
	s_waitcnt lgkmcnt(0)
	s_and_b32 s22, s16, 0xffff
	s_load_b32 s28, s[6:7], 0x0
	s_lshl_b32 s27, s22, 3
	s_load_b64 s[16:17], s[4:5], 0x0
	v_cvt_f32_u32_e32 v1, s27
	s_sub_i32 s7, 0, s27
	s_load_b32 s15, s[2:3], 0x0
	s_delay_alu instid0(VALU_DEP_1) | instskip(SKIP_4) | instid1(SALU_CYCLE_1)
	v_rcp_iflag_f32_e32 v1, v1
	s_waitcnt_depctr 0xfff
	v_mul_f32_e32 v1, 0x4f7ffffe, v1
	s_waitcnt lgkmcnt(0)
	s_add_i32 s29, s28, -1
	s_abs_i32 s30, s29
	s_delay_alu instid0(VALU_DEP_1) | instskip(SKIP_1) | instid1(VALU_DEP_1)
	v_cvt_u32_f32_e32 v1, v1
	s_ashr_i32 s3, s29, 31
	v_readfirstlane_b32 s6, v1
	v_mov_b32_e32 v1, 0
	s_delay_alu instid0(VALU_DEP_2) | instskip(NEXT) | instid1(SALU_CYCLE_1)
	s_mul_i32 s7, s7, s6
	s_mul_hi_u32 s7, s6, s7
	s_delay_alu instid0(SALU_CYCLE_1) | instskip(NEXT) | instid1(SALU_CYCLE_1)
	s_add_i32 s6, s6, s7
	s_mul_hi_u32 s4, s30, s6
	s_delay_alu instid0(SALU_CYCLE_1) | instskip(SKIP_2) | instid1(SALU_CYCLE_1)
	s_mul_i32 s2, s4, s27
	s_add_i32 s5, s4, 1
	s_sub_i32 s2, s30, s2
	s_sub_i32 s6, s2, s27
	s_cmp_ge_u32 s2, s27
	s_cselect_b32 s4, s5, s4
	s_cselect_b32 s2, s6, s2
	s_add_i32 s5, s4, 1
	s_cmp_ge_u32 s2, s27
	s_cselect_b32 s2, s5, s4
	s_delay_alu instid0(SALU_CYCLE_1) | instskip(NEXT) | instid1(SALU_CYCLE_1)
	s_xor_b32 s2, s2, s3
	s_sub_i32 s3, s2, s3
	s_mov_b32 s2, -1
	s_cmp_lt_i32 s3, 0
	s_cbranch_scc1 .LBB90_68
; %bb.1:
	s_add_u32 s0, s25, s0
	s_addc_u32 s1, s26, s1
	v_dual_mov_b32 v25, 0 :: v_dual_mov_b32 v26, v0
	s_load_b32 s29, s[0:1], 0x0
	s_lshl_b32 s0, s22, 1
	s_mul_i32 s1, s22, 3
	s_add_i32 s31, s15, s0
	s_add_i32 s33, s15, s1
	s_lshl_b32 s0, s22, 2
	s_mul_i32 s1, s22, 5
	v_dual_mov_b32 v27, 0 :: v_dual_mov_b32 v28, 0
	v_mov_b32_e32 v29, 0
	s_add_i32 s34, s15, s0
	s_add_i32 s35, s15, s1
	s_mul_i32 s0, s22, 6
	s_mul_i32 s1, s22, 7
	s_add_i32 s30, s3, 1
	s_add_i32 s36, s15, s0
	;; [unrolled: 1-line block ×4, first 2 shown]
                                        ; implicit-def: $vgpr1_vgpr2_vgpr3_vgpr4_vgpr5_vgpr6_vgpr7_vgpr8_vgpr9_vgpr10_vgpr11_vgpr12_vgpr13_vgpr14_vgpr15_vgpr16
                                        ; implicit-def: $vgpr17_vgpr18_vgpr19_vgpr20_vgpr21_vgpr22_vgpr23_vgpr24
	s_branch .LBB90_4
.LBB90_2:                               ;   in Loop: Header=BB90_4 Depth=1
	s_or_b32 exec_lo, exec_lo, s3
	v_cmp_u_f64_e32 vcc_lo, v[15:16], v[15:16]
	v_cndmask_b32_e64 v30, 0, 1, s2
	v_cndmask_b32_e64 v31, 0, 1, s0
	s_delay_alu instid0(VALU_DEP_2) | instskip(NEXT) | instid1(VALU_DEP_2)
	v_add_nc_u32_e32 v29, v29, v30
	v_add_nc_u32_e32 v28, v28, v31
	v_add_co_ci_u32_e32 v27, vcc_lo, 0, v27, vcc_lo
	v_cmp_lt_i32_e32 vcc_lo, 0, v24
	v_add_co_ci_u32_e32 v25, vcc_lo, 0, v25, vcc_lo
.LBB90_3:                               ;   in Loop: Header=BB90_4 Depth=1
	s_or_b32 exec_lo, exec_lo, s1
	v_add_nc_u32_e32 v26, s27, v26
	s_add_i32 s30, s30, -1
	s_delay_alu instid0(SALU_CYCLE_1)
	s_cmp_eq_u32 s30, 0
	s_cbranch_scc1 .LBB90_67
.LBB90_4:                               ; =>This Inner Loop Header: Depth=1
	s_delay_alu instid0(VALU_DEP_1) | instskip(NEXT) | instid1(VALU_DEP_1)
	v_cmp_gt_i32_e64 s6, s28, v26
	s_and_saveexec_b32 s0, s6
	s_cbranch_execz .LBB90_6
; %bb.5:                                ;   in Loop: Header=BB90_4 Depth=1
	s_waitcnt vmcnt(1)
	v_add_nc_u32_e32 v1, s15, v26
	s_delay_alu instid0(VALU_DEP_1) | instskip(NEXT) | instid1(VALU_DEP_1)
	v_ashrrev_i32_e32 v2, 31, v1
	v_lshlrev_b64 v[30:31], 3, v[1:2]
	v_lshlrev_b64 v[1:2], 2, v[1:2]
	s_delay_alu instid0(VALU_DEP_2) | instskip(NEXT) | instid1(VALU_DEP_3)
	v_add_co_u32 v30, vcc_lo, s23, v30
	v_add_co_ci_u32_e32 v31, vcc_lo, s24, v31, vcc_lo
	s_delay_alu instid0(VALU_DEP_3) | instskip(NEXT) | instid1(VALU_DEP_4)
	v_add_co_u32 v32, vcc_lo, s25, v1
	v_add_co_ci_u32_e32 v33, vcc_lo, s26, v2, vcc_lo
	global_load_b64 v[1:2], v[30:31], off
	global_load_b32 v17, v[32:33], off
.LBB90_6:                               ;   in Loop: Header=BB90_4 Depth=1
	s_or_b32 exec_lo, exec_lo, s0
	v_add_nc_u32_e32 v30, s22, v26
	s_delay_alu instid0(VALU_DEP_1) | instskip(NEXT) | instid1(VALU_DEP_1)
	v_cmp_gt_i32_e64 s5, s28, v30
	s_and_saveexec_b32 s0, s5
	s_cbranch_execz .LBB90_8
; %bb.7:                                ;   in Loop: Header=BB90_4 Depth=1
	s_waitcnt vmcnt(1)
	v_add_nc_u32_e32 v3, s38, v26
	s_delay_alu instid0(VALU_DEP_1) | instskip(NEXT) | instid1(VALU_DEP_1)
	v_ashrrev_i32_e32 v4, 31, v3
	v_lshlrev_b64 v[31:32], 3, v[3:4]
	v_lshlrev_b64 v[3:4], 2, v[3:4]
	s_delay_alu instid0(VALU_DEP_2) | instskip(NEXT) | instid1(VALU_DEP_3)
	v_add_co_u32 v31, vcc_lo, s23, v31
	v_add_co_ci_u32_e32 v32, vcc_lo, s24, v32, vcc_lo
	s_delay_alu instid0(VALU_DEP_3) | instskip(NEXT) | instid1(VALU_DEP_4)
	v_add_co_u32 v33, vcc_lo, s25, v3
	v_add_co_ci_u32_e32 v34, vcc_lo, s26, v4, vcc_lo
	global_load_b64 v[3:4], v[31:32], off
	global_load_b32 v18, v[33:34], off
.LBB90_8:                               ;   in Loop: Header=BB90_4 Depth=1
	s_or_b32 exec_lo, exec_lo, s0
	v_add_nc_u32_e32 v30, s22, v30
	s_delay_alu instid0(VALU_DEP_1) | instskip(NEXT) | instid1(VALU_DEP_1)
	v_cmp_gt_i32_e64 s4, s28, v30
	s_and_saveexec_b32 s0, s4
	s_cbranch_execz .LBB90_10
; %bb.9:                                ;   in Loop: Header=BB90_4 Depth=1
	s_waitcnt vmcnt(1)
	v_add_nc_u32_e32 v5, s31, v26
	s_delay_alu instid0(VALU_DEP_1) | instskip(NEXT) | instid1(VALU_DEP_1)
	v_ashrrev_i32_e32 v6, 31, v5
	v_lshlrev_b64 v[31:32], 3, v[5:6]
	v_lshlrev_b64 v[5:6], 2, v[5:6]
	s_delay_alu instid0(VALU_DEP_2) | instskip(NEXT) | instid1(VALU_DEP_3)
	v_add_co_u32 v31, vcc_lo, s23, v31
	v_add_co_ci_u32_e32 v32, vcc_lo, s24, v32, vcc_lo
	s_delay_alu instid0(VALU_DEP_3) | instskip(NEXT) | instid1(VALU_DEP_4)
	v_add_co_u32 v33, vcc_lo, s25, v5
	v_add_co_ci_u32_e32 v34, vcc_lo, s26, v6, vcc_lo
	global_load_b64 v[5:6], v[31:32], off
	global_load_b32 v19, v[33:34], off
.LBB90_10:                              ;   in Loop: Header=BB90_4 Depth=1
	s_or_b32 exec_lo, exec_lo, s0
	v_add_nc_u32_e32 v30, s22, v30
	s_delay_alu instid0(VALU_DEP_1) | instskip(NEXT) | instid1(VALU_DEP_1)
	v_cmp_gt_i32_e64 s3, s28, v30
	s_and_saveexec_b32 s0, s3
	s_cbranch_execz .LBB90_12
; %bb.11:                               ;   in Loop: Header=BB90_4 Depth=1
	s_waitcnt vmcnt(1)
	v_add_nc_u32_e32 v7, s33, v26
	s_delay_alu instid0(VALU_DEP_1) | instskip(NEXT) | instid1(VALU_DEP_1)
	v_ashrrev_i32_e32 v8, 31, v7
	v_lshlrev_b64 v[31:32], 3, v[7:8]
	v_lshlrev_b64 v[7:8], 2, v[7:8]
	s_delay_alu instid0(VALU_DEP_2) | instskip(NEXT) | instid1(VALU_DEP_3)
	v_add_co_u32 v31, vcc_lo, s23, v31
	v_add_co_ci_u32_e32 v32, vcc_lo, s24, v32, vcc_lo
	s_delay_alu instid0(VALU_DEP_3) | instskip(NEXT) | instid1(VALU_DEP_4)
	v_add_co_u32 v33, vcc_lo, s25, v7
	v_add_co_ci_u32_e32 v34, vcc_lo, s26, v8, vcc_lo
	global_load_b64 v[7:8], v[31:32], off
	global_load_b32 v20, v[33:34], off
.LBB90_12:                              ;   in Loop: Header=BB90_4 Depth=1
	s_or_b32 exec_lo, exec_lo, s0
	v_add_nc_u32_e32 v30, s22, v30
	s_delay_alu instid0(VALU_DEP_1) | instskip(NEXT) | instid1(VALU_DEP_1)
	v_cmp_gt_i32_e64 s2, s28, v30
	s_and_saveexec_b32 s0, s2
	s_cbranch_execz .LBB90_14
; %bb.13:                               ;   in Loop: Header=BB90_4 Depth=1
	s_waitcnt vmcnt(1)
	v_add_nc_u32_e32 v9, s34, v26
	s_delay_alu instid0(VALU_DEP_1) | instskip(NEXT) | instid1(VALU_DEP_1)
	v_ashrrev_i32_e32 v10, 31, v9
	v_lshlrev_b64 v[31:32], 3, v[9:10]
	v_lshlrev_b64 v[9:10], 2, v[9:10]
	s_delay_alu instid0(VALU_DEP_2) | instskip(NEXT) | instid1(VALU_DEP_3)
	v_add_co_u32 v31, vcc_lo, s23, v31
	v_add_co_ci_u32_e32 v32, vcc_lo, s24, v32, vcc_lo
	s_delay_alu instid0(VALU_DEP_3) | instskip(NEXT) | instid1(VALU_DEP_4)
	v_add_co_u32 v33, vcc_lo, s25, v9
	v_add_co_ci_u32_e32 v34, vcc_lo, s26, v10, vcc_lo
	global_load_b64 v[9:10], v[31:32], off
	global_load_b32 v21, v[33:34], off
.LBB90_14:                              ;   in Loop: Header=BB90_4 Depth=1
	;; [unrolled: 22-line block ×4, first 2 shown]
	s_or_b32 exec_lo, exec_lo, s7
	v_add_nc_u32_e32 v30, s22, v30
	s_delay_alu instid0(VALU_DEP_1)
	v_cmp_gt_i32_e32 vcc_lo, s28, v30
	s_and_saveexec_b32 s39, vcc_lo
	s_cbranch_execnz .LBB90_27
; %bb.19:                               ;   in Loop: Header=BB90_4 Depth=1
	s_or_b32 exec_lo, exec_lo, s39
	s_and_saveexec_b32 s39, s6
	s_cbranch_execnz .LBB90_28
.LBB90_20:                              ;   in Loop: Header=BB90_4 Depth=1
	s_or_b32 exec_lo, exec_lo, s39
	s_and_saveexec_b32 s7, s5
	s_cbranch_execnz .LBB90_33
.LBB90_21:                              ;   in Loop: Header=BB90_4 Depth=1
	s_or_b32 exec_lo, exec_lo, s7
	s_and_saveexec_b32 s6, s4
	s_cbranch_execnz .LBB90_38
.LBB90_22:                              ;   in Loop: Header=BB90_4 Depth=1
	s_or_b32 exec_lo, exec_lo, s6
	s_and_saveexec_b32 s5, s3
	s_cbranch_execnz .LBB90_43
.LBB90_23:                              ;   in Loop: Header=BB90_4 Depth=1
	s_or_b32 exec_lo, exec_lo, s5
	s_and_saveexec_b32 s4, s2
	s_cbranch_execnz .LBB90_48
.LBB90_24:                              ;   in Loop: Header=BB90_4 Depth=1
	s_or_b32 exec_lo, exec_lo, s4
	s_and_saveexec_b32 s3, s1
	s_cbranch_execnz .LBB90_53
.LBB90_25:                              ;   in Loop: Header=BB90_4 Depth=1
	s_or_b32 exec_lo, exec_lo, s3
	s_and_saveexec_b32 s2, s0
	s_cbranch_execnz .LBB90_58
.LBB90_26:                              ;   in Loop: Header=BB90_4 Depth=1
	s_or_b32 exec_lo, exec_lo, s2
	s_and_saveexec_b32 s1, vcc_lo
	s_cbranch_execz .LBB90_3
	s_branch .LBB90_63
.LBB90_27:                              ;   in Loop: Header=BB90_4 Depth=1
	s_waitcnt vmcnt(1)
	v_add_nc_u32_e32 v15, s37, v26
	s_delay_alu instid0(VALU_DEP_1) | instskip(NEXT) | instid1(VALU_DEP_1)
	v_ashrrev_i32_e32 v16, 31, v15
	v_lshlrev_b64 v[30:31], 3, v[15:16]
	v_lshlrev_b64 v[15:16], 2, v[15:16]
	s_delay_alu instid0(VALU_DEP_2) | instskip(NEXT) | instid1(VALU_DEP_1)
	v_add_co_u32 v30, s7, s23, v30
	v_add_co_ci_u32_e64 v31, s7, s24, v31, s7
	s_delay_alu instid0(VALU_DEP_3) | instskip(NEXT) | instid1(VALU_DEP_1)
	v_add_co_u32 v32, s7, s25, v15
	v_add_co_ci_u32_e64 v33, s7, s26, v16, s7
	global_load_b64 v[15:16], v[30:31], off
	global_load_b32 v24, v[32:33], off
	s_or_b32 exec_lo, exec_lo, s39
	s_and_saveexec_b32 s39, s6
	s_cbranch_execz .LBB90_20
.LBB90_28:                              ;   in Loop: Header=BB90_4 Depth=1
	s_mov_b32 s40, -1
	s_mov_b32 s41, exec_lo
	s_waitcnt vmcnt(0) lgkmcnt(0)
	v_cmpx_ge_i32_e64 s29, v17
; %bb.29:                               ;   in Loop: Header=BB90_4 Depth=1
	v_cmp_gt_f64_e64 s6, s[16:17], v[1:2]
	v_cmp_eq_u32_e64 s7, s29, v17
	s_delay_alu instid0(VALU_DEP_1) | instskip(NEXT) | instid1(SALU_CYCLE_1)
	s_and_b32 s6, s7, s6
	s_or_not1_b32 s40, s6, exec_lo
; %bb.30:                               ;   in Loop: Header=BB90_4 Depth=1
	s_or_b32 exec_lo, exec_lo, s41
	v_cmp_eq_f64_e64 s6, s[16:17], v[1:2]
	v_cmp_eq_u32_e64 s7, s29, v17
	s_delay_alu instid0(VALU_DEP_1)
	s_and_b32 s6, s7, s6
	s_mov_b32 s7, 0
	s_and_saveexec_b32 s41, s6
; %bb.31:                               ;   in Loop: Header=BB90_4 Depth=1
	v_add_nc_u32_e32 v30, s15, v26
	s_delay_alu instid0(VALU_DEP_1) | instskip(NEXT) | instid1(VALU_DEP_1)
	v_cmp_gt_i32_e64 s6, s14, v30
	s_and_b32 s7, s6, exec_lo
; %bb.32:                               ;   in Loop: Header=BB90_4 Depth=1
	s_or_b32 exec_lo, exec_lo, s41
	v_cmp_u_f64_e64 s6, v[1:2], v[1:2]
	v_cndmask_b32_e64 v30, 0, 1, s40
	v_cndmask_b32_e64 v31, 0, 1, s7
	s_delay_alu instid0(VALU_DEP_2) | instskip(NEXT) | instid1(VALU_DEP_2)
	v_add_nc_u32_e32 v29, v29, v30
	v_add_nc_u32_e32 v28, v28, v31
	v_add_co_ci_u32_e64 v27, s6, 0, v27, s6
	v_cmp_lt_i32_e64 s6, 0, v17
	s_delay_alu instid0(VALU_DEP_1)
	v_add_co_ci_u32_e64 v25, s6, 0, v25, s6
	s_or_b32 exec_lo, exec_lo, s39
	s_and_saveexec_b32 s7, s5
	s_cbranch_execz .LBB90_21
.LBB90_33:                              ;   in Loop: Header=BB90_4 Depth=1
	s_mov_b32 s39, -1
	s_mov_b32 s40, exec_lo
	s_waitcnt vmcnt(0) lgkmcnt(0)
	v_cmpx_ge_i32_e64 s29, v18
; %bb.34:                               ;   in Loop: Header=BB90_4 Depth=1
	v_cmp_gt_f64_e64 s5, s[16:17], v[3:4]
	v_cmp_eq_u32_e64 s6, s29, v18
	s_delay_alu instid0(VALU_DEP_1) | instskip(NEXT) | instid1(SALU_CYCLE_1)
	s_and_b32 s5, s6, s5
	s_or_not1_b32 s39, s5, exec_lo
; %bb.35:                               ;   in Loop: Header=BB90_4 Depth=1
	s_or_b32 exec_lo, exec_lo, s40
	v_cmp_eq_f64_e64 s5, s[16:17], v[3:4]
	v_cmp_eq_u32_e64 s6, s29, v18
	s_delay_alu instid0(VALU_DEP_1)
	s_and_b32 s5, s6, s5
	s_mov_b32 s6, 0
	s_and_saveexec_b32 s40, s5
; %bb.36:                               ;   in Loop: Header=BB90_4 Depth=1
	v_add_nc_u32_e32 v30, s38, v26
	s_delay_alu instid0(VALU_DEP_1) | instskip(NEXT) | instid1(VALU_DEP_1)
	v_cmp_gt_i32_e64 s5, s14, v30
	s_and_b32 s6, s5, exec_lo
; %bb.37:                               ;   in Loop: Header=BB90_4 Depth=1
	s_or_b32 exec_lo, exec_lo, s40
	v_cmp_u_f64_e64 s5, v[3:4], v[3:4]
	v_cndmask_b32_e64 v30, 0, 1, s39
	v_cndmask_b32_e64 v31, 0, 1, s6
	s_delay_alu instid0(VALU_DEP_2) | instskip(NEXT) | instid1(VALU_DEP_2)
	v_add_nc_u32_e32 v29, v29, v30
	v_add_nc_u32_e32 v28, v28, v31
	v_add_co_ci_u32_e64 v27, s5, 0, v27, s5
	v_cmp_lt_i32_e64 s5, 0, v18
	s_delay_alu instid0(VALU_DEP_1)
	v_add_co_ci_u32_e64 v25, s5, 0, v25, s5
	s_or_b32 exec_lo, exec_lo, s7
	s_and_saveexec_b32 s6, s4
	s_cbranch_execz .LBB90_22
.LBB90_38:                              ;   in Loop: Header=BB90_4 Depth=1
	s_mov_b32 s7, -1
	s_mov_b32 s39, exec_lo
	s_waitcnt vmcnt(0) lgkmcnt(0)
	v_cmpx_ge_i32_e64 s29, v19
; %bb.39:                               ;   in Loop: Header=BB90_4 Depth=1
	v_cmp_gt_f64_e64 s4, s[16:17], v[5:6]
	v_cmp_eq_u32_e64 s5, s29, v19
	s_delay_alu instid0(VALU_DEP_1) | instskip(NEXT) | instid1(SALU_CYCLE_1)
	s_and_b32 s4, s5, s4
	s_or_not1_b32 s7, s4, exec_lo
; %bb.40:                               ;   in Loop: Header=BB90_4 Depth=1
	s_or_b32 exec_lo, exec_lo, s39
	v_cmp_eq_f64_e64 s4, s[16:17], v[5:6]
	v_cmp_eq_u32_e64 s5, s29, v19
	s_delay_alu instid0(VALU_DEP_1)
	s_and_b32 s4, s5, s4
	s_mov_b32 s5, 0
	s_and_saveexec_b32 s39, s4
; %bb.41:                               ;   in Loop: Header=BB90_4 Depth=1
	v_add_nc_u32_e32 v30, s31, v26
	s_delay_alu instid0(VALU_DEP_1) | instskip(NEXT) | instid1(VALU_DEP_1)
	v_cmp_gt_i32_e64 s4, s14, v30
	s_and_b32 s5, s4, exec_lo
; %bb.42:                               ;   in Loop: Header=BB90_4 Depth=1
	s_or_b32 exec_lo, exec_lo, s39
	v_cmp_u_f64_e64 s4, v[5:6], v[5:6]
	v_cndmask_b32_e64 v30, 0, 1, s7
	v_cndmask_b32_e64 v31, 0, 1, s5
	s_delay_alu instid0(VALU_DEP_2) | instskip(NEXT) | instid1(VALU_DEP_2)
	v_add_nc_u32_e32 v29, v29, v30
	v_add_nc_u32_e32 v28, v28, v31
	v_add_co_ci_u32_e64 v27, s4, 0, v27, s4
	v_cmp_lt_i32_e64 s4, 0, v19
	s_delay_alu instid0(VALU_DEP_1)
	v_add_co_ci_u32_e64 v25, s4, 0, v25, s4
	s_or_b32 exec_lo, exec_lo, s6
	s_and_saveexec_b32 s5, s3
	s_cbranch_execz .LBB90_23
.LBB90_43:                              ;   in Loop: Header=BB90_4 Depth=1
	s_mov_b32 s6, -1
	s_mov_b32 s7, exec_lo
	s_waitcnt vmcnt(0) lgkmcnt(0)
	v_cmpx_ge_i32_e64 s29, v20
; %bb.44:                               ;   in Loop: Header=BB90_4 Depth=1
	v_cmp_gt_f64_e64 s3, s[16:17], v[7:8]
	v_cmp_eq_u32_e64 s4, s29, v20
	s_delay_alu instid0(VALU_DEP_1) | instskip(NEXT) | instid1(SALU_CYCLE_1)
	s_and_b32 s3, s4, s3
	s_or_not1_b32 s6, s3, exec_lo
; %bb.45:                               ;   in Loop: Header=BB90_4 Depth=1
	s_or_b32 exec_lo, exec_lo, s7
	v_cmp_eq_f64_e64 s3, s[16:17], v[7:8]
	v_cmp_eq_u32_e64 s4, s29, v20
	s_delay_alu instid0(VALU_DEP_1)
	s_and_b32 s3, s4, s3
	s_mov_b32 s4, 0
	s_and_saveexec_b32 s7, s3
; %bb.46:                               ;   in Loop: Header=BB90_4 Depth=1
	v_add_nc_u32_e32 v30, s33, v26
	s_delay_alu instid0(VALU_DEP_1) | instskip(NEXT) | instid1(VALU_DEP_1)
	v_cmp_gt_i32_e64 s3, s14, v30
	s_and_b32 s4, s3, exec_lo
; %bb.47:                               ;   in Loop: Header=BB90_4 Depth=1
	s_or_b32 exec_lo, exec_lo, s7
	v_cmp_u_f64_e64 s3, v[7:8], v[7:8]
	v_cndmask_b32_e64 v30, 0, 1, s6
	v_cndmask_b32_e64 v31, 0, 1, s4
	s_delay_alu instid0(VALU_DEP_2) | instskip(NEXT) | instid1(VALU_DEP_2)
	v_add_nc_u32_e32 v29, v29, v30
	v_add_nc_u32_e32 v28, v28, v31
	v_add_co_ci_u32_e64 v27, s3, 0, v27, s3
	v_cmp_lt_i32_e64 s3, 0, v20
	s_delay_alu instid0(VALU_DEP_1)
	v_add_co_ci_u32_e64 v25, s3, 0, v25, s3
	s_or_b32 exec_lo, exec_lo, s5
	s_and_saveexec_b32 s4, s2
	s_cbranch_execz .LBB90_24
.LBB90_48:                              ;   in Loop: Header=BB90_4 Depth=1
	s_mov_b32 s5, -1
	s_mov_b32 s6, exec_lo
	s_waitcnt vmcnt(0) lgkmcnt(0)
	v_cmpx_ge_i32_e64 s29, v21
; %bb.49:                               ;   in Loop: Header=BB90_4 Depth=1
	v_cmp_gt_f64_e64 s2, s[16:17], v[9:10]
	v_cmp_eq_u32_e64 s3, s29, v21
	s_delay_alu instid0(VALU_DEP_1) | instskip(NEXT) | instid1(SALU_CYCLE_1)
	s_and_b32 s2, s3, s2
	s_or_not1_b32 s5, s2, exec_lo
; %bb.50:                               ;   in Loop: Header=BB90_4 Depth=1
	s_or_b32 exec_lo, exec_lo, s6
	v_cmp_eq_f64_e64 s2, s[16:17], v[9:10]
	v_cmp_eq_u32_e64 s3, s29, v21
	s_delay_alu instid0(VALU_DEP_1)
	s_and_b32 s2, s3, s2
	s_mov_b32 s3, 0
	s_and_saveexec_b32 s6, s2
; %bb.51:                               ;   in Loop: Header=BB90_4 Depth=1
	v_add_nc_u32_e32 v30, s34, v26
	s_delay_alu instid0(VALU_DEP_1) | instskip(NEXT) | instid1(VALU_DEP_1)
	v_cmp_gt_i32_e64 s2, s14, v30
	s_and_b32 s3, s2, exec_lo
; %bb.52:                               ;   in Loop: Header=BB90_4 Depth=1
	s_or_b32 exec_lo, exec_lo, s6
	v_cmp_u_f64_e64 s2, v[9:10], v[9:10]
	v_cndmask_b32_e64 v30, 0, 1, s5
	v_cndmask_b32_e64 v31, 0, 1, s3
	s_delay_alu instid0(VALU_DEP_2) | instskip(NEXT) | instid1(VALU_DEP_2)
	v_add_nc_u32_e32 v29, v29, v30
	v_add_nc_u32_e32 v28, v28, v31
	v_add_co_ci_u32_e64 v27, s2, 0, v27, s2
	v_cmp_lt_i32_e64 s2, 0, v21
	s_delay_alu instid0(VALU_DEP_1)
	v_add_co_ci_u32_e64 v25, s2, 0, v25, s2
	s_or_b32 exec_lo, exec_lo, s4
	s_and_saveexec_b32 s3, s1
	s_cbranch_execz .LBB90_25
.LBB90_53:                              ;   in Loop: Header=BB90_4 Depth=1
	s_mov_b32 s4, -1
	s_mov_b32 s5, exec_lo
	s_waitcnt vmcnt(0) lgkmcnt(0)
	v_cmpx_ge_i32_e64 s29, v22
; %bb.54:                               ;   in Loop: Header=BB90_4 Depth=1
	v_cmp_gt_f64_e64 s1, s[16:17], v[11:12]
	v_cmp_eq_u32_e64 s2, s29, v22
	s_delay_alu instid0(VALU_DEP_1) | instskip(NEXT) | instid1(SALU_CYCLE_1)
	s_and_b32 s1, s2, s1
	s_or_not1_b32 s4, s1, exec_lo
; %bb.55:                               ;   in Loop: Header=BB90_4 Depth=1
	s_or_b32 exec_lo, exec_lo, s5
	v_cmp_eq_f64_e64 s1, s[16:17], v[11:12]
	v_cmp_eq_u32_e64 s2, s29, v22
	s_delay_alu instid0(VALU_DEP_1)
	s_and_b32 s1, s2, s1
	s_mov_b32 s2, 0
	s_and_saveexec_b32 s5, s1
; %bb.56:                               ;   in Loop: Header=BB90_4 Depth=1
	v_add_nc_u32_e32 v30, s35, v26
	s_delay_alu instid0(VALU_DEP_1) | instskip(NEXT) | instid1(VALU_DEP_1)
	v_cmp_gt_i32_e64 s1, s14, v30
	s_and_b32 s2, s1, exec_lo
; %bb.57:                               ;   in Loop: Header=BB90_4 Depth=1
	s_or_b32 exec_lo, exec_lo, s5
	v_cmp_u_f64_e64 s1, v[11:12], v[11:12]
	v_cndmask_b32_e64 v30, 0, 1, s4
	v_cndmask_b32_e64 v31, 0, 1, s2
	s_delay_alu instid0(VALU_DEP_2) | instskip(NEXT) | instid1(VALU_DEP_2)
	v_add_nc_u32_e32 v29, v29, v30
	v_add_nc_u32_e32 v28, v28, v31
	v_add_co_ci_u32_e64 v27, s1, 0, v27, s1
	v_cmp_lt_i32_e64 s1, 0, v22
	s_delay_alu instid0(VALU_DEP_1)
	v_add_co_ci_u32_e64 v25, s1, 0, v25, s1
	s_or_b32 exec_lo, exec_lo, s3
	s_and_saveexec_b32 s2, s0
	s_cbranch_execz .LBB90_26
.LBB90_58:                              ;   in Loop: Header=BB90_4 Depth=1
	s_mov_b32 s3, -1
	s_mov_b32 s4, exec_lo
	s_waitcnt vmcnt(0) lgkmcnt(0)
	v_cmpx_ge_i32_e64 s29, v23
; %bb.59:                               ;   in Loop: Header=BB90_4 Depth=1
	v_cmp_gt_f64_e64 s0, s[16:17], v[13:14]
	v_cmp_eq_u32_e64 s1, s29, v23
	s_delay_alu instid0(VALU_DEP_1) | instskip(NEXT) | instid1(SALU_CYCLE_1)
	s_and_b32 s0, s1, s0
	s_or_not1_b32 s3, s0, exec_lo
; %bb.60:                               ;   in Loop: Header=BB90_4 Depth=1
	s_or_b32 exec_lo, exec_lo, s4
	v_cmp_eq_f64_e64 s0, s[16:17], v[13:14]
	v_cmp_eq_u32_e64 s1, s29, v23
	s_delay_alu instid0(VALU_DEP_1)
	s_and_b32 s0, s1, s0
	s_mov_b32 s1, 0
	s_and_saveexec_b32 s4, s0
; %bb.61:                               ;   in Loop: Header=BB90_4 Depth=1
	v_add_nc_u32_e32 v30, s36, v26
	s_delay_alu instid0(VALU_DEP_1) | instskip(NEXT) | instid1(VALU_DEP_1)
	v_cmp_gt_i32_e64 s0, s14, v30
	s_and_b32 s1, s0, exec_lo
; %bb.62:                               ;   in Loop: Header=BB90_4 Depth=1
	s_or_b32 exec_lo, exec_lo, s4
	v_cmp_u_f64_e64 s0, v[13:14], v[13:14]
	v_cndmask_b32_e64 v30, 0, 1, s3
	v_cndmask_b32_e64 v31, 0, 1, s1
	s_delay_alu instid0(VALU_DEP_2) | instskip(NEXT) | instid1(VALU_DEP_2)
	v_add_nc_u32_e32 v29, v29, v30
	v_add_nc_u32_e32 v28, v28, v31
	v_add_co_ci_u32_e64 v27, s0, 0, v27, s0
	v_cmp_lt_i32_e64 s0, 0, v23
	s_delay_alu instid0(VALU_DEP_1)
	v_add_co_ci_u32_e64 v25, s0, 0, v25, s0
	s_or_b32 exec_lo, exec_lo, s2
	s_and_saveexec_b32 s1, vcc_lo
	s_cbranch_execz .LBB90_3
.LBB90_63:                              ;   in Loop: Header=BB90_4 Depth=1
	s_mov_b32 s2, -1
	s_mov_b32 s3, exec_lo
	s_waitcnt vmcnt(0) lgkmcnt(0)
	v_cmpx_ge_i32_e64 s29, v24
; %bb.64:                               ;   in Loop: Header=BB90_4 Depth=1
	v_cmp_gt_f64_e32 vcc_lo, s[16:17], v[15:16]
	v_cmp_eq_u32_e64 s0, s29, v24
	s_delay_alu instid0(VALU_DEP_1) | instskip(NEXT) | instid1(SALU_CYCLE_1)
	s_and_b32 s0, s0, vcc_lo
	s_or_not1_b32 s2, s0, exec_lo
; %bb.65:                               ;   in Loop: Header=BB90_4 Depth=1
	s_or_b32 exec_lo, exec_lo, s3
	v_cmp_eq_f64_e32 vcc_lo, s[16:17], v[15:16]
	v_cmp_eq_u32_e64 s0, s29, v24
	s_delay_alu instid0(VALU_DEP_1)
	s_and_b32 s4, s0, vcc_lo
	s_mov_b32 s0, 0
	s_and_saveexec_b32 s3, s4
	s_cbranch_execz .LBB90_2
; %bb.66:                               ;   in Loop: Header=BB90_4 Depth=1
	v_add_nc_u32_e32 v30, s37, v26
	s_delay_alu instid0(VALU_DEP_1)
	v_cmp_gt_i32_e32 vcc_lo, s14, v30
	s_and_b32 s0, vcc_lo, exec_lo
	s_branch .LBB90_2
.LBB90_67:
	s_waitcnt vmcnt(1)
	v_add_nc_u32_e32 v1, v28, v29
	v_cmp_eq_u32_e64 s2, 0, v27
.LBB90_68:
	v_lshlrev_b32_e32 v2, 2, v0
	s_cmp_lt_u32 s22, 2
	ds_store_2addr_stride64_b32 v2, v25, v1 offset1:8
	s_cbranch_scc1 .LBB90_74
; %bb.69:
	v_or_b32_e32 v3, 0x800, v2
	.p2align	6
.LBB90_70:                              ; =>This Inner Loop Header: Depth=1
	s_lshr_b32 s0, s22, 1
	s_mov_b32 s1, exec_lo
	s_waitcnt vmcnt(0) lgkmcnt(0)
	s_barrier
	buffer_gl0_inv
	v_cmpx_gt_u32_e64 s0, v0
	s_cbranch_execz .LBB90_72
; %bb.71:                               ;   in Loop: Header=BB90_70 Depth=1
	s_lshl_b32 s3, s0, 2
	s_delay_alu instid0(SALU_CYCLE_1)
	v_add_nc_u32_e32 v4, s3, v3
	v_add_nc_u32_e32 v5, s3, v2
	ds_load_b32 v4, v4
	ds_load_b32 v5, v5
	s_waitcnt lgkmcnt(1)
	v_add_nc_u32_e32 v1, v4, v1
	s_waitcnt lgkmcnt(0)
	v_add_nc_u32_e32 v25, v5, v25
	ds_store_b32 v3, v1
	ds_store_b32 v2, v25
.LBB90_72:                              ;   in Loop: Header=BB90_70 Depth=1
	s_or_b32 exec_lo, exec_lo, s1
	s_cmp_lt_u32 s22, 4
	s_cbranch_scc1 .LBB90_74
; %bb.73:                               ;   in Loop: Header=BB90_70 Depth=1
	s_mov_b32 s22, s0
	s_branch .LBB90_70
.LBB90_74:
	s_xor_b32 s0, s2, -1
	s_mul_i32 s2, s21, 10
	s_mul_i32 s4, s12, 6
	s_ashr_i32 s3, s2, 31
	s_ashr_i32 s5, s4, 31
	s_lshl_b64 s[2:3], s[2:3], 3
	s_delay_alu instid0(SALU_CYCLE_1) | instskip(SKIP_2) | instid1(SALU_CYCLE_1)
	s_add_u32 s1, s8, s2
	s_addc_u32 s6, s9, s3
	s_lshl_b64 s[2:3], s[4:5], 3
	s_add_u32 s1, s1, s2
	s_addc_u32 s2, s6, s3
	s_mov_b32 s3, exec_lo
	v_cmpx_eq_u32_e32 0, v0
	s_cbranch_execz .LBB90_76
; %bb.75:
	v_add_nc_u32_e32 v0, s15, v1
	v_dual_mov_b32 v4, s16 :: v_dual_mov_b32 v5, s17
	v_mov_b32_e32 v8, s14
	s_delay_alu instid0(VALU_DEP_3) | instskip(NEXT) | instid1(VALU_DEP_1)
	v_ashrrev_i32_e32 v1, 31, v0
	v_lshlrev_b64 v[2:3], 2, v[0:1]
	v_lshlrev_b64 v[0:1], 3, v[0:1]
	s_delay_alu instid0(VALU_DEP_2) | instskip(NEXT) | instid1(VALU_DEP_3)
	v_add_co_u32 v6, vcc_lo, s19, v2
	v_add_co_ci_u32_e32 v7, vcc_lo, s20, v3, vcc_lo
	v_add_co_u32 v2, vcc_lo, s13, v2
	v_add_co_ci_u32_e32 v3, vcc_lo, s18, v3, vcc_lo
	v_add_co_u32 v0, vcc_lo, s1, v0
	v_add_co_ci_u32_e32 v1, vcc_lo, s2, v1, vcc_lo
	s_clause 0x1
	global_store_b32 v[2:3], v25, off
	global_store_b32 v[6:7], v8, off
	global_store_b64 v[0:1], v[4:5], off
.LBB90_76:
	s_or_b32 exec_lo, exec_lo, s3
	s_waitcnt vmcnt(0) lgkmcnt(0)
	s_waitcnt_vscnt null, 0x0
	s_barrier
	buffer_gl0_inv
	s_and_saveexec_b32 s3, s0
	s_cbranch_execz .LBB90_78
; %bb.77:
	v_dual_mov_b32 v0, 0 :: v_dual_mov_b32 v1, 0x7ff80000
	s_add_u32 s0, s1, s10
	s_addc_u32 s1, s2, s11
	global_store_b64 v0, v[0:1], s[0:1]
.LBB90_78:
	s_nop 0
	s_sendmsg sendmsg(MSG_DEALLOC_VGPRS)
	s_endpgm
	.section	.rodata,"a",@progbits
	.p2align	6, 0x0
	.amdhsa_kernel _ZN9rocsolver6v33100L31stedc_mergePrepare_SortD_kernelIdEEviiPT_lS3_Pi
		.amdhsa_group_segment_fixed_size 4096
		.amdhsa_private_segment_fixed_size 0
		.amdhsa_kernarg_size 296
		.amdhsa_user_sgpr_count 14
		.amdhsa_user_sgpr_dispatch_ptr 0
		.amdhsa_user_sgpr_queue_ptr 0
		.amdhsa_user_sgpr_kernarg_segment_ptr 1
		.amdhsa_user_sgpr_dispatch_id 0
		.amdhsa_user_sgpr_private_segment_size 0
		.amdhsa_wavefront_size32 1
		.amdhsa_uses_dynamic_stack 0
		.amdhsa_enable_private_segment 0
		.amdhsa_system_sgpr_workgroup_id_x 1
		.amdhsa_system_sgpr_workgroup_id_y 1
		.amdhsa_system_sgpr_workgroup_id_z 0
		.amdhsa_system_sgpr_workgroup_info 0
		.amdhsa_system_vgpr_workitem_id 0
		.amdhsa_next_free_vgpr 35
		.amdhsa_next_free_sgpr 42
		.amdhsa_reserve_vcc 1
		.amdhsa_float_round_mode_32 0
		.amdhsa_float_round_mode_16_64 0
		.amdhsa_float_denorm_mode_32 3
		.amdhsa_float_denorm_mode_16_64 3
		.amdhsa_dx10_clamp 1
		.amdhsa_ieee_mode 1
		.amdhsa_fp16_overflow 0
		.amdhsa_workgroup_processor_mode 1
		.amdhsa_memory_ordered 1
		.amdhsa_forward_progress 0
		.amdhsa_shared_vgpr_count 0
		.amdhsa_exception_fp_ieee_invalid_op 0
		.amdhsa_exception_fp_denorm_src 0
		.amdhsa_exception_fp_ieee_div_zero 0
		.amdhsa_exception_fp_ieee_overflow 0
		.amdhsa_exception_fp_ieee_underflow 0
		.amdhsa_exception_fp_ieee_inexact 0
		.amdhsa_exception_int_div_zero 0
	.end_amdhsa_kernel
	.section	.text._ZN9rocsolver6v33100L31stedc_mergePrepare_SortD_kernelIdEEviiPT_lS3_Pi,"axG",@progbits,_ZN9rocsolver6v33100L31stedc_mergePrepare_SortD_kernelIdEEviiPT_lS3_Pi,comdat
.Lfunc_end90:
	.size	_ZN9rocsolver6v33100L31stedc_mergePrepare_SortD_kernelIdEEviiPT_lS3_Pi, .Lfunc_end90-_ZN9rocsolver6v33100L31stedc_mergePrepare_SortD_kernelIdEEviiPT_lS3_Pi
                                        ; -- End function
	.section	.AMDGPU.csdata,"",@progbits
; Kernel info:
; codeLenInByte = 3348
; NumSgprs: 44
; NumVgprs: 35
; ScratchSize: 0
; MemoryBound: 0
; FloatMode: 240
; IeeeMode: 1
; LDSByteSize: 4096 bytes/workgroup (compile time only)
; SGPRBlocks: 5
; VGPRBlocks: 4
; NumSGPRsForWavesPerEU: 44
; NumVGPRsForWavesPerEU: 35
; Occupancy: 16
; WaveLimiterHint : 1
; COMPUTE_PGM_RSRC2:SCRATCH_EN: 0
; COMPUTE_PGM_RSRC2:USER_SGPR: 14
; COMPUTE_PGM_RSRC2:TRAP_HANDLER: 0
; COMPUTE_PGM_RSRC2:TGID_X_EN: 1
; COMPUTE_PGM_RSRC2:TGID_Y_EN: 1
; COMPUTE_PGM_RSRC2:TGID_Z_EN: 0
; COMPUTE_PGM_RSRC2:TIDIG_COMP_CNT: 0
	.section	.text._ZN9rocsolver6v33100L38stedc_mergePrepare_SetCandFlags_kernelIdEEviiPT_lS3_Pi,"axG",@progbits,_ZN9rocsolver6v33100L38stedc_mergePrepare_SetCandFlags_kernelIdEEviiPT_lS3_Pi,comdat
	.globl	_ZN9rocsolver6v33100L38stedc_mergePrepare_SetCandFlags_kernelIdEEviiPT_lS3_Pi ; -- Begin function _ZN9rocsolver6v33100L38stedc_mergePrepare_SetCandFlags_kernelIdEEviiPT_lS3_Pi
	.p2align	8
	.type	_ZN9rocsolver6v33100L38stedc_mergePrepare_SetCandFlags_kernelIdEEviiPT_lS3_Pi,@function
_ZN9rocsolver6v33100L38stedc_mergePrepare_SetCandFlags_kernelIdEEviiPT_lS3_Pi: ; @_ZN9rocsolver6v33100L38stedc_mergePrepare_SetCandFlags_kernelIdEEviiPT_lS3_Pi
; %bb.0:
	s_clause 0x1
	s_load_b32 s2, s[0:1], 0x34
	s_load_b32 s4, s[0:1], 0x4
	s_waitcnt lgkmcnt(0)
	s_and_b32 s2, s2, 0xffff
	s_delay_alu instid0(SALU_CYCLE_1) | instskip(SKIP_1) | instid1(VALU_DEP_1)
	v_mad_u64_u32 v[1:2], null, s14, s2, v[0:1]
	s_mov_b32 s2, exec_lo
	v_cmpx_gt_i32_e64 s4, v1
	s_cbranch_execz .LBB91_6
; %bb.1:
	s_load_b128 s[0:3], s[0:1], 0x18
	s_mul_i32 s5, s15, s4
	s_mul_i32 s8, s4, 6
	;; [unrolled: 1-line block ×4, first 2 shown]
	s_ashr_i32 s7, s6, 31
	s_mul_hi_i32 s10, s4, 20
	s_lshl_b64 s[6:7], s[6:7], 2
	v_ashrrev_i32_e32 v2, 31, v1
	v_add_nc_u32_e32 v0, -1, v1
	v_cmp_lt_i32_e32 vcc_lo, 0, v1
	s_delay_alu instid0(VALU_DEP_3) | instskip(SKIP_1) | instid1(VALU_DEP_4)
	v_lshlrev_b64 v[6:7], 3, v[1:2]
	v_lshlrev_b64 v[2:3], 2, v[1:2]
	v_cndmask_b32_e32 v4, 0, v0, vcc_lo
	s_delay_alu instid0(VALU_DEP_1) | instskip(SKIP_4) | instid1(SALU_CYCLE_1)
	v_ashrrev_i32_e32 v5, 31, v4
	s_waitcnt lgkmcnt(0)
	s_add_u32 s6, s2, s6
	s_addc_u32 s7, s3, s7
	s_ashr_i32 s9, s8, 31
	s_lshl_b64 s[2:3], s[8:9], 2
	s_mul_i32 s8, s5, 10
	s_add_u32 s2, s6, s2
	s_addc_u32 s7, s7, s3
	s_ashr_i32 s5, s4, 31
	s_add_u32 s3, s2, s11
	s_addc_u32 s6, s7, s10
	s_ashr_i32 s9, s8, 31
	v_lshlrev_b64 v[8:9], 3, v[4:5]
	s_lshl_b64 s[8:9], s[8:9], 3
	v_lshlrev_b64 v[4:5], 2, v[4:5]
	s_add_u32 s8, s0, s8
	s_addc_u32 s9, s1, s9
	s_lshl_b32 s0, s4, 2
	s_delay_alu instid0(SALU_CYCLE_1) | instskip(NEXT) | instid1(SALU_CYCLE_1)
	s_ashr_i32 s1, s0, 31
	s_lshl_b64 s[0:1], s[0:1], 3
	s_delay_alu instid0(SALU_CYCLE_1) | instskip(SKIP_2) | instid1(SALU_CYCLE_1)
	s_add_u32 s0, s8, s0
	s_addc_u32 s8, s9, s1
	s_lshl_b64 s[10:11], s[4:5], 4
	s_add_u32 s1, s0, s10
	v_add_co_u32 v11, s0, s0, v6
	s_delay_alu instid0(VALU_DEP_1) | instskip(SKIP_4) | instid1(VALU_DEP_1)
	v_add_co_ci_u32_e64 v12, s0, s8, v7, s0
	s_addc_u32 s8, s8, s11
	s_sub_u32 s0, s3, s10
	s_subb_u32 s5, s6, s11
	v_add_co_u32 v13, s0, s0, v2
	v_add_co_ci_u32_e64 v14, s0, s5, v3, s0
	v_add_co_u32 v15, s0, s2, v2
	s_delay_alu instid0(VALU_DEP_1) | instskip(SKIP_1) | instid1(VALU_DEP_1)
	v_add_co_ci_u32_e64 v16, s0, s7, v3, s0
	v_add_co_u32 v6, s0, s1, v6
	v_add_co_ci_u32_e64 v7, s0, s8, v7, s0
	s_clause 0x1
	global_load_b32 v0, v[13:14], off
	global_load_b32 v10, v[15:16], off
	v_add_co_u32 v8, s0, s1, v8
	s_delay_alu instid0(VALU_DEP_1) | instskip(SKIP_1) | instid1(VALU_DEP_1)
	v_add_co_ci_u32_e64 v9, s0, s8, v9, s0
	v_add_co_u32 v13, s0, s2, v4
	v_add_co_ci_u32_e64 v14, s0, s7, v5, s0
	s_clause 0x2
	global_load_b64 v[4:5], v[11:12], off
	global_load_b64 v[6:7], v[6:7], off
	;; [unrolled: 1-line block ×3, first 2 shown]
	global_load_b32 v11, v[13:14], off
	s_waitcnt vmcnt(5)
	v_add_nc_u32_e32 v13, -1, v0
	s_waitcnt vmcnt(4)
	v_sub_nc_u32_e32 v12, v1, v10
	s_delay_alu instid0(VALU_DEP_1) | instskip(SKIP_1) | instid1(VALU_DEP_2)
	v_cmp_lt_i32_e64 s0, v12, v13
	v_mov_b32_e32 v13, 0
	s_and_saveexec_b32 s5, s0
	s_cbranch_execz .LBB91_5
; %bb.2:
	v_add_nc_u32_e32 v13, 1, v1
	s_delay_alu instid0(VALU_DEP_1) | instskip(NEXT) | instid1(VALU_DEP_1)
	v_cmp_gt_i32_e64 s0, s4, v13
	v_cndmask_b32_e64 v13, v1, v13, s0
	s_delay_alu instid0(VALU_DEP_1) | instskip(NEXT) | instid1(VALU_DEP_1)
	v_ashrrev_i32_e32 v14, 31, v13
	v_lshlrev_b64 v[15:16], 3, v[13:14]
	v_lshlrev_b64 v[13:14], 2, v[13:14]
	s_delay_alu instid0(VALU_DEP_2) | instskip(NEXT) | instid1(VALU_DEP_1)
	v_add_co_u32 v15, s0, s1, v15
	v_add_co_ci_u32_e64 v16, s0, s8, v16, s0
	s_delay_alu instid0(VALU_DEP_3) | instskip(NEXT) | instid1(VALU_DEP_1)
	v_add_co_u32 v13, s0, s2, v13
	v_add_co_ci_u32_e64 v14, s0, s7, v14, s0
	global_load_b64 v[15:16], v[15:16], off
	global_load_b32 v17, v[13:14], off
	s_waitcnt vmcnt(1)
	v_add_f64 v[13:14], v[6:7], -v[15:16]
	s_waitcnt vmcnt(0)
	v_cmp_eq_u32_e64 s1, v10, v17
	s_delay_alu instid0(VALU_DEP_2) | instskip(NEXT) | instid1(VALU_DEP_1)
	v_and_b32_e32 v14, 0x7fffffff, v14
	v_cmp_le_f64_e64 s0, v[13:14], v[4:5]
	v_mov_b32_e32 v13, 0
	s_delay_alu instid0(VALU_DEP_2) | instskip(NEXT) | instid1(SALU_CYCLE_1)
	s_and_b32 s0, s1, s0
	s_and_saveexec_b32 s1, s0
; %bb.3:
	s_add_i32 s0, s4, -1
	s_delay_alu instid0(SALU_CYCLE_1) | instskip(NEXT) | instid1(VALU_DEP_1)
	v_cmp_ne_u32_e64 s0, s0, v1
	v_cndmask_b32_e64 v13, 0, 1, s0
; %bb.4:
	s_or_b32 exec_lo, exec_lo, s1
.LBB91_5:
	s_delay_alu instid0(SALU_CYCLE_1)
	s_or_b32 exec_lo, exec_lo, s5
	s_waitcnt vmcnt(1)
	v_add_f64 v[6:7], v[6:7], -v[8:9]
	v_cmp_ge_i32_e64 s1, v12, v0
	s_waitcnt vmcnt(0)
	v_cmp_ne_u32_e64 s2, v10, v11
	v_cndmask_b32_e64 v0, 0, 2, vcc_lo
	s_delay_alu instid0(VALU_DEP_2) | instskip(NEXT) | instid1(VALU_DEP_4)
	s_or_b32 s1, s1, s2
	v_and_b32_e32 v7, 0x7fffffff, v7
	s_delay_alu instid0(VALU_DEP_1) | instskip(NEXT) | instid1(VALU_DEP_1)
	v_cmp_nle_f64_e64 s0, v[6:7], v[4:5]
	s_or_b32 s0, s1, s0
	s_delay_alu instid0(SALU_CYCLE_1) | instskip(NEXT) | instid1(VALU_DEP_1)
	v_cndmask_b32_e64 v0, v0, 0, s0
	v_or_b32_e32 v4, v13, v0
	v_add_co_u32 v0, vcc_lo, s3, v2
	v_add_co_ci_u32_e32 v1, vcc_lo, s6, v3, vcc_lo
	global_store_b32 v[0:1], v4, off
.LBB91_6:
	s_nop 0
	s_sendmsg sendmsg(MSG_DEALLOC_VGPRS)
	s_endpgm
	.section	.rodata,"a",@progbits
	.p2align	6, 0x0
	.amdhsa_kernel _ZN9rocsolver6v33100L38stedc_mergePrepare_SetCandFlags_kernelIdEEviiPT_lS3_Pi
		.amdhsa_group_segment_fixed_size 0
		.amdhsa_private_segment_fixed_size 0
		.amdhsa_kernarg_size 296
		.amdhsa_user_sgpr_count 14
		.amdhsa_user_sgpr_dispatch_ptr 0
		.amdhsa_user_sgpr_queue_ptr 0
		.amdhsa_user_sgpr_kernarg_segment_ptr 1
		.amdhsa_user_sgpr_dispatch_id 0
		.amdhsa_user_sgpr_private_segment_size 0
		.amdhsa_wavefront_size32 1
		.amdhsa_uses_dynamic_stack 0
		.amdhsa_enable_private_segment 0
		.amdhsa_system_sgpr_workgroup_id_x 1
		.amdhsa_system_sgpr_workgroup_id_y 1
		.amdhsa_system_sgpr_workgroup_id_z 0
		.amdhsa_system_sgpr_workgroup_info 0
		.amdhsa_system_vgpr_workitem_id 0
		.amdhsa_next_free_vgpr 18
		.amdhsa_next_free_sgpr 16
		.amdhsa_reserve_vcc 1
		.amdhsa_float_round_mode_32 0
		.amdhsa_float_round_mode_16_64 0
		.amdhsa_float_denorm_mode_32 3
		.amdhsa_float_denorm_mode_16_64 3
		.amdhsa_dx10_clamp 1
		.amdhsa_ieee_mode 1
		.amdhsa_fp16_overflow 0
		.amdhsa_workgroup_processor_mode 1
		.amdhsa_memory_ordered 1
		.amdhsa_forward_progress 0
		.amdhsa_shared_vgpr_count 0
		.amdhsa_exception_fp_ieee_invalid_op 0
		.amdhsa_exception_fp_denorm_src 0
		.amdhsa_exception_fp_ieee_div_zero 0
		.amdhsa_exception_fp_ieee_overflow 0
		.amdhsa_exception_fp_ieee_underflow 0
		.amdhsa_exception_fp_ieee_inexact 0
		.amdhsa_exception_int_div_zero 0
	.end_amdhsa_kernel
	.section	.text._ZN9rocsolver6v33100L38stedc_mergePrepare_SetCandFlags_kernelIdEEviiPT_lS3_Pi,"axG",@progbits,_ZN9rocsolver6v33100L38stedc_mergePrepare_SetCandFlags_kernelIdEEviiPT_lS3_Pi,comdat
.Lfunc_end91:
	.size	_ZN9rocsolver6v33100L38stedc_mergePrepare_SetCandFlags_kernelIdEEviiPT_lS3_Pi, .Lfunc_end91-_ZN9rocsolver6v33100L38stedc_mergePrepare_SetCandFlags_kernelIdEEviiPT_lS3_Pi
                                        ; -- End function
	.section	.AMDGPU.csdata,"",@progbits
; Kernel info:
; codeLenInByte = 788
; NumSgprs: 18
; NumVgprs: 18
; ScratchSize: 0
; MemoryBound: 0
; FloatMode: 240
; IeeeMode: 1
; LDSByteSize: 0 bytes/workgroup (compile time only)
; SGPRBlocks: 2
; VGPRBlocks: 2
; NumSGPRsForWavesPerEU: 18
; NumVGPRsForWavesPerEU: 18
; Occupancy: 16
; WaveLimiterHint : 0
; COMPUTE_PGM_RSRC2:SCRATCH_EN: 0
; COMPUTE_PGM_RSRC2:USER_SGPR: 14
; COMPUTE_PGM_RSRC2:TRAP_HANDLER: 0
; COMPUTE_PGM_RSRC2:TGID_X_EN: 1
; COMPUTE_PGM_RSRC2:TGID_Y_EN: 1
; COMPUTE_PGM_RSRC2:TGID_Z_EN: 0
; COMPUTE_PGM_RSRC2:TIDIG_COMP_CNT: 0
	.section	.text._ZN9rocsolver6v33100L38stedc_mergePrepare_DeflateCount_kernelIdEEviiPT_lS3_Pi,"axG",@progbits,_ZN9rocsolver6v33100L38stedc_mergePrepare_DeflateCount_kernelIdEEviiPT_lS3_Pi,comdat
	.globl	_ZN9rocsolver6v33100L38stedc_mergePrepare_DeflateCount_kernelIdEEviiPT_lS3_Pi ; -- Begin function _ZN9rocsolver6v33100L38stedc_mergePrepare_DeflateCount_kernelIdEEviiPT_lS3_Pi
	.p2align	8
	.type	_ZN9rocsolver6v33100L38stedc_mergePrepare_DeflateCount_kernelIdEEviiPT_lS3_Pi,@function
_ZN9rocsolver6v33100L38stedc_mergePrepare_DeflateCount_kernelIdEEviiPT_lS3_Pi: ; @_ZN9rocsolver6v33100L38stedc_mergePrepare_DeflateCount_kernelIdEEviiPT_lS3_Pi
; %bb.0:
	s_clause 0x2
	s_load_b32 s2, s[0:1], 0x4
	s_load_b128 s[4:7], s[0:1], 0x18
	s_load_b32 s17, s[0:1], 0x34
	s_mov_b32 s22, 0
	s_mov_b32 s23, -1
	s_waitcnt lgkmcnt(0)
	s_mul_i32 s15, s15, s2
	s_delay_alu instid0(SALU_CYCLE_1) | instskip(NEXT) | instid1(SALU_CYCLE_1)
	s_mul_i32 s0, s15, 13
	s_ashr_i32 s1, s0, 31
	s_delay_alu instid0(SALU_CYCLE_1) | instskip(SKIP_4) | instid1(SALU_CYCLE_1)
	s_lshl_b64 s[8:9], s[0:1], 2
	s_mul_i32 s0, s2, 9
	s_add_u32 s3, s6, s8
	s_addc_u32 s12, s7, s9
	s_ashr_i32 s1, s0, 31
	s_lshl_b64 s[10:11], s[0:1], 2
	s_mov_b32 s0, exec_lo
	s_add_u32 s18, s3, s10
	s_addc_u32 s19, s12, s11
	s_ashr_i32 s3, s2, 31
	s_delay_alu instid0(SALU_CYCLE_1) | instskip(NEXT) | instid1(SALU_CYCLE_1)
	s_lshl_b64 s[12:13], s[2:3], 3
	s_add_u32 s1, s18, s12
	s_addc_u32 s16, s19, s13
	s_and_b32 s21, s17, 0xffff
	s_delay_alu instid0(SALU_CYCLE_1) | instskip(NEXT) | instid1(SALU_CYCLE_1)
	s_mul_i32 s20, s14, s21
	v_add_nc_u32_e32 v1, s20, v0
	s_delay_alu instid0(VALU_DEP_1) | instskip(SKIP_1) | instid1(VALU_DEP_2)
	v_add_nc_u32_e32 v2, -1, v1
	v_cmp_lt_i32_e32 vcc_lo, 0, v1
	v_cndmask_b32_e32 v2, 0, v2, vcc_lo
	s_delay_alu instid0(VALU_DEP_1)
	v_cmpx_gt_i32_e64 s2, v2
	s_cbranch_execz .LBB92_2
; %bb.1:
	v_ashrrev_i32_e32 v3, 31, v2
	s_delay_alu instid0(VALU_DEP_1) | instskip(NEXT) | instid1(VALU_DEP_1)
	v_lshlrev_b64 v[2:3], 2, v[2:3]
	v_add_co_u32 v2, vcc_lo, s1, v2
	s_delay_alu instid0(VALU_DEP_2) | instskip(SKIP_3) | instid1(VALU_DEP_1)
	v_add_co_ci_u32_e32 v3, vcc_lo, s16, v3, vcc_lo
	global_load_b32 v2, v[2:3], off
	s_waitcnt vmcnt(0)
	v_and_b32_e32 v2, 1, v2
	v_cmp_eq_u32_e32 vcc_lo, 0, v2
	s_or_not1_b32 s23, vcc_lo, exec_lo
.LBB92_2:
	s_or_b32 exec_lo, exec_lo, s0
	v_cmp_le_i32_e32 vcc_lo, s2, v1
	v_cmp_gt_i32_e64 s0, s2, v1
	v_ashrrev_i32_e32 v2, 31, v1
	s_delay_alu instid0(VALU_DEP_2)
	s_and_saveexec_b32 s14, s0
	s_cbranch_execz .LBB92_4
; %bb.3:
	s_delay_alu instid0(VALU_DEP_1) | instskip(NEXT) | instid1(VALU_DEP_1)
	v_lshlrev_b64 v[3:4], 2, v[1:2]
	v_add_co_u32 v3, s1, s1, v3
	s_delay_alu instid0(VALU_DEP_1) | instskip(SKIP_3) | instid1(VALU_DEP_1)
	v_add_co_ci_u32_e64 v4, s1, s16, v4, s1
	global_load_b32 v3, v[3:4], off
	s_waitcnt vmcnt(0)
	v_and_b32_e32 v3, 1, v3
	v_cmp_eq_u32_e64 s1, 1, v3
	s_delay_alu instid0(VALU_DEP_1)
	s_and_b32 s22, s1, exec_lo
.LBB92_4:
	s_or_b32 exec_lo, exec_lo, s14
	s_mul_i32 s14, s15, 10
	s_mul_i32 s16, s2, 6
	s_ashr_i32 s15, s14, 31
	v_mov_b32_e32 v3, 0
	s_lshl_b64 s[14:15], s[14:15], 3
	v_mov_b32_e32 v4, 0
	s_add_u32 s1, s4, s14
	s_addc_u32 s25, s5, s15
	s_ashr_i32 s17, s16, 31
	s_delay_alu instid0(SALU_CYCLE_1) | instskip(NEXT) | instid1(SALU_CYCLE_1)
	s_lshl_b64 s[16:17], s[16:17], 3
	s_add_u32 s24, s1, s16
	s_addc_u32 s25, s25, s17
	s_and_saveexec_b32 s1, s0
	s_cbranch_execz .LBB92_6
; %bb.5:
	v_lshlrev_b64 v[3:4], 3, v[1:2]
	s_delay_alu instid0(VALU_DEP_1) | instskip(NEXT) | instid1(VALU_DEP_1)
	v_add_co_u32 v3, s0, s24, v3
	v_add_co_ci_u32_e64 v4, s0, s25, v4, s0
	global_load_b64 v[3:4], v[3:4], off
.LBB92_6:
	s_or_b32 exec_lo, exec_lo, s1
                                        ; implicit-def: $sgpr0_sgpr1
	s_and_saveexec_b32 s26, vcc_lo
	s_delay_alu instid0(SALU_CYCLE_1)
	s_xor_b32 s26, exec_lo, s26
; %bb.7:
	s_mov_b64 s[0:1], 0
; %bb.8:
	s_or_saveexec_b32 s26, s26
	v_dual_mov_b32 v6, s1 :: v_dual_mov_b32 v5, s0
	s_xor_b32 exec_lo, exec_lo, s26
	s_cbranch_execz .LBB92_10
; %bb.9:
	v_lshlrev_b64 v[5:6], 3, v[1:2]
	s_lshl_b64 s[0:1], s[2:3], 4
	s_delay_alu instid0(SALU_CYCLE_1) | instskip(SKIP_1) | instid1(VALU_DEP_1)
	s_sub_u32 s0, s24, s0
	s_subb_u32 s1, s25, s1
	v_add_co_u32 v5, vcc_lo, s0, v5
	s_delay_alu instid0(VALU_DEP_2)
	v_add_co_ci_u32_e32 v6, vcc_lo, s1, v6, vcc_lo
	global_load_b64 v[5:6], v[5:6], off
.LBB92_10:
	s_or_b32 exec_lo, exec_lo, s26
	s_lshl_b32 s3, s21, 3
	s_add_u32 s0, s12, s8
	v_lshlrev_b64 v[7:8], 2, v[1:2]
	s_addc_u32 s8, s13, s9
	s_add_u32 s1, s0, s10
	s_addc_u32 s8, s8, s11
	s_add_u32 s0, s6, s1
	s_addc_u32 s9, s7, s8
	v_add_co_u32 v7, vcc_lo, s0, v7
	v_lshlrev_b64 v[9:10], 3, v[1:2]
	s_lshl_b32 s11, s21, 2
	v_add_co_ci_u32_e32 v8, vcc_lo, s9, v8, vcc_lo
	s_add_u32 s9, s14, s16
	v_lshlrev_b32_e32 v13, 3, v0
	s_addc_u32 s10, s15, s17
	v_dual_mov_b32 v17, v0 :: v_dual_lshlrev_b32 v14, 2, v0
	s_add_u32 s0, s4, s9
	s_addc_u32 s12, s5, s10
	v_add_co_u32 v9, vcc_lo, s0, v9
	v_add_co_ci_u32_e32 v10, vcc_lo, s12, v10, vcc_lo
	v_or_b32_e32 v15, 0x8000, v14
	v_mov_b32_e32 v16, v13
	s_mov_b32 s12, 0
	s_set_inst_prefetch_distance 0x1
	s_branch .LBB92_12
	.p2align	6
.LBB92_11:                              ;   in Loop: Header=BB92_12 Depth=1
	s_or_b32 exec_lo, exec_lo, s0
	v_add_nc_u32_e32 v17, s21, v17
	v_add_co_u32 v7, vcc_lo, v7, s11
	v_add_co_ci_u32_e32 v8, vcc_lo, 0, v8, vcc_lo
	s_delay_alu instid0(VALU_DEP_3)
	v_cmp_lt_u32_e32 vcc_lo, 0xfff, v17
	v_add_co_u32 v9, s0, v9, s3
	s_waitcnt vmcnt(1)
	ds_store_b64 v16, v[11:12]
	s_waitcnt vmcnt(0)
	ds_store_b32 v15, v18
	v_add_nc_u32_e32 v16, s3, v16
	v_add_co_ci_u32_e64 v10, s0, 0, v10, s0
	v_add_nc_u32_e32 v15, s11, v15
	s_or_b32 s12, vcc_lo, s12
	s_delay_alu instid0(SALU_CYCLE_1)
	s_and_not1_b32 exec_lo, exec_lo, s12
	s_cbranch_execz .LBB92_14
.LBB92_12:                              ; =>This Inner Loop Header: Depth=1
	v_dual_mov_b32 v11, 0 :: v_dual_add_nc_u32 v18, s20, v17
	v_mov_b32_e32 v12, 0
	s_delay_alu instid0(VALU_DEP_2)
	v_cmp_gt_i32_e32 vcc_lo, s2, v18
	v_mov_b32_e32 v18, 0
	s_and_saveexec_b32 s0, vcc_lo
	s_cbranch_execz .LBB92_11
; %bb.13:                               ;   in Loop: Header=BB92_12 Depth=1
	global_load_b64 v[11:12], v[9:10], off
	global_load_b32 v18, v[7:8], off
	s_branch .LBB92_11
.LBB92_14:
	s_set_inst_prefetch_distance 0x2
	s_or_b32 exec_lo, exec_lo, s12
	v_cmp_eq_u32_e32 vcc_lo, 0, v1
	s_waitcnt lgkmcnt(0)
	s_barrier
	buffer_gl0_inv
	s_or_b32 s0, vcc_lo, s23
	s_delay_alu instid0(SALU_CYCLE_1) | instskip(NEXT) | instid1(SALU_CYCLE_1)
	s_and_b32 s0, s22, s0
	s_and_saveexec_b32 s3, s0
	s_cbranch_execz .LBB92_22
; %bb.15:
	ds_load_b32 v8, v14 offset:32776
	v_add_nc_u32_e32 v7, 2, v1
	s_delay_alu instid0(VALU_DEP_1) | instskip(SKIP_2) | instid1(VALU_DEP_1)
	v_cmp_gt_i32_e32 vcc_lo, s2, v7
	s_waitcnt lgkmcnt(0)
	v_and_b32_e32 v8, 2, v8
	v_cmp_ne_u32_e64 s0, 0, v8
	s_delay_alu instid0(VALU_DEP_1) | instskip(NEXT) | instid1(SALU_CYCLE_1)
	s_and_b32 s0, vcc_lo, s0
	s_and_saveexec_b32 s3, s0
	s_cbranch_execz .LBB92_21
; %bb.16:
	v_ashrrev_i32_e32 v8, 31, v7
	s_add_u32 s0, s6, s1
	s_addc_u32 s1, s7, s8
	s_add_u32 s4, s4, s9
	s_addc_u32 s5, s5, s10
	v_lshlrev_b64 v[9:10], 2, v[7:8]
	v_lshlrev_b64 v[7:8], 3, v[7:8]
	v_add_nc_u32_e32 v14, 0x800c, v14
	v_add_nc_u32_e32 v13, 16, v13
	s_mov_b32 s6, 0
	s_delay_alu instid0(VALU_DEP_4) | instskip(SKIP_1) | instid1(VALU_DEP_2)
	v_add_co_u32 v2, vcc_lo, s0, v9
	v_add_co_ci_u32_e32 v10, vcc_lo, s1, v10, vcc_lo
	v_add_co_u32 v9, vcc_lo, v2, 4
	s_delay_alu instid0(VALU_DEP_2)
	v_add_co_ci_u32_e32 v10, vcc_lo, 0, v10, vcc_lo
	v_add_co_u32 v11, vcc_lo, s4, v7
	v_add_co_ci_u32_e32 v12, vcc_lo, s5, v8, vcc_lo
	s_mov_b64 s[4:5], src_shared_base
	s_branch .LBB92_18
.LBB92_17:                              ;   in Loop: Header=BB92_18 Depth=1
	s_or_b32 exec_lo, exec_lo, s0
	v_add_nc_u32_e32 v2, 3, v0
	v_add_nc_u32_e32 v0, 1, v0
	;; [unrolled: 1-line block ×3, first 2 shown]
	s_delay_alu instid0(VALU_DEP_3)
	v_cmp_gt_i32_e32 vcc_lo, 0x1000, v2
	v_cndmask_b32_e32 v7, v9, v14, vcc_lo
	v_cndmask_b32_e64 v8, v10, s5, vcc_lo
	v_add_co_u32 v11, vcc_lo, v11, 8
	v_add_co_ci_u32_e32 v12, vcc_lo, 0, v12, vcc_lo
	flat_load_b32 v2, v[7:8]
	v_add_nc_u32_e32 v7, 3, v15
	v_add_co_u32 v9, s1, v9, 4
	s_delay_alu instid0(VALU_DEP_1) | instskip(NEXT) | instid1(VALU_DEP_3)
	v_add_co_ci_u32_e64 v10, s1, 0, v10, s1
	v_cmp_le_i32_e32 vcc_lo, s2, v7
	v_add_nc_u32_e32 v14, 4, v14
	s_waitcnt vmcnt(0) lgkmcnt(0)
	v_and_b32_e32 v2, 2, v2
	s_delay_alu instid0(VALU_DEP_1) | instskip(NEXT) | instid1(VALU_DEP_1)
	v_cmp_eq_u32_e64 s0, 0, v2
	s_or_b32 s0, vcc_lo, s0
	s_delay_alu instid0(SALU_CYCLE_1) | instskip(NEXT) | instid1(SALU_CYCLE_1)
	s_and_b32 s0, exec_lo, s0
	s_or_b32 s6, s0, s6
	s_delay_alu instid0(SALU_CYCLE_1)
	s_and_not1_b32 exec_lo, exec_lo, s6
	s_cbranch_execz .LBB92_20
.LBB92_18:                              ; =>This Inner Loop Header: Depth=1
	v_add_nc_u32_e32 v2, 2, v0
	s_delay_alu instid0(VALU_DEP_1)
	v_cmp_gt_i32_e32 vcc_lo, 0x1000, v2
	v_cndmask_b32_e32 v7, v11, v13, vcc_lo
	v_cndmask_b32_e64 v8, v12, s5, vcc_lo
	flat_load_b64 v[7:8], v[7:8]
	s_waitcnt vmcnt(0) lgkmcnt(0)
	v_add_f64 v[15:16], v[7:8], -v[3:4]
	s_delay_alu instid0(VALU_DEP_1)
	v_cmp_gt_f64_e32 vcc_lo, v[15:16], v[5:6]
	v_add_nc_u32_e32 v15, s20, v0
	s_and_saveexec_b32 s0, vcc_lo
	s_cbranch_execz .LBB92_17
; %bb.19:                               ;   in Loop: Header=BB92_18 Depth=1
	v_ashrrev_i32_e32 v2, 31, v1
	s_delay_alu instid0(VALU_DEP_2) | instskip(SKIP_1) | instid1(VALU_DEP_3)
	v_sub_nc_u32_e32 v3, v15, v1
	v_add_nc_u32_e32 v18, 2, v15
	v_lshlrev_b64 v[1:2], 2, v[1:2]
	s_delay_alu instid0(VALU_DEP_3) | instskip(SKIP_1) | instid1(VALU_DEP_3)
	v_add_nc_u32_e32 v19, 1, v3
	v_dual_mov_b32 v3, v7 :: v_dual_mov_b32 v4, v8
	v_add_co_u32 v16, vcc_lo, s18, v1
	s_delay_alu instid0(VALU_DEP_4)
	v_add_co_ci_u32_e32 v17, vcc_lo, s19, v2, vcc_lo
	v_mov_b32_e32 v1, v18
	global_store_b32 v[16:17], v19, off
	s_branch .LBB92_17
.LBB92_20:
	s_or_b32 exec_lo, exec_lo, s6
	v_add3_u32 v7, s20, v0, 2
	v_ashrrev_i32_e32 v2, 31, v1
.LBB92_21:
	s_or_b32 exec_lo, exec_lo, s3
	s_delay_alu instid0(VALU_DEP_1) | instskip(NEXT) | instid1(VALU_DEP_3)
	v_lshlrev_b64 v[2:3], 2, v[1:2]
	v_xad_u32 v4, v1, -1, v7
	s_delay_alu instid0(VALU_DEP_2) | instskip(NEXT) | instid1(VALU_DEP_3)
	v_add_co_u32 v0, vcc_lo, s18, v2
	v_add_co_ci_u32_e32 v1, vcc_lo, s19, v3, vcc_lo
	global_store_b32 v[0:1], v4, off
.LBB92_22:
	s_nop 0
	s_sendmsg sendmsg(MSG_DEALLOC_VGPRS)
	s_endpgm
	.section	.rodata,"a",@progbits
	.p2align	6, 0x0
	.amdhsa_kernel _ZN9rocsolver6v33100L38stedc_mergePrepare_DeflateCount_kernelIdEEviiPT_lS3_Pi
		.amdhsa_group_segment_fixed_size 49152
		.amdhsa_private_segment_fixed_size 0
		.amdhsa_kernarg_size 296
		.amdhsa_user_sgpr_count 14
		.amdhsa_user_sgpr_dispatch_ptr 0
		.amdhsa_user_sgpr_queue_ptr 0
		.amdhsa_user_sgpr_kernarg_segment_ptr 1
		.amdhsa_user_sgpr_dispatch_id 0
		.amdhsa_user_sgpr_private_segment_size 0
		.amdhsa_wavefront_size32 1
		.amdhsa_uses_dynamic_stack 0
		.amdhsa_enable_private_segment 0
		.amdhsa_system_sgpr_workgroup_id_x 1
		.amdhsa_system_sgpr_workgroup_id_y 1
		.amdhsa_system_sgpr_workgroup_id_z 0
		.amdhsa_system_sgpr_workgroup_info 0
		.amdhsa_system_vgpr_workitem_id 0
		.amdhsa_next_free_vgpr 20
		.amdhsa_next_free_sgpr 27
		.amdhsa_reserve_vcc 1
		.amdhsa_float_round_mode_32 0
		.amdhsa_float_round_mode_16_64 0
		.amdhsa_float_denorm_mode_32 3
		.amdhsa_float_denorm_mode_16_64 3
		.amdhsa_dx10_clamp 1
		.amdhsa_ieee_mode 1
		.amdhsa_fp16_overflow 0
		.amdhsa_workgroup_processor_mode 1
		.amdhsa_memory_ordered 1
		.amdhsa_forward_progress 0
		.amdhsa_shared_vgpr_count 0
		.amdhsa_exception_fp_ieee_invalid_op 0
		.amdhsa_exception_fp_denorm_src 0
		.amdhsa_exception_fp_ieee_div_zero 0
		.amdhsa_exception_fp_ieee_overflow 0
		.amdhsa_exception_fp_ieee_underflow 0
		.amdhsa_exception_fp_ieee_inexact 0
		.amdhsa_exception_int_div_zero 0
	.end_amdhsa_kernel
	.section	.text._ZN9rocsolver6v33100L38stedc_mergePrepare_DeflateCount_kernelIdEEviiPT_lS3_Pi,"axG",@progbits,_ZN9rocsolver6v33100L38stedc_mergePrepare_DeflateCount_kernelIdEEviiPT_lS3_Pi,comdat
.Lfunc_end92:
	.size	_ZN9rocsolver6v33100L38stedc_mergePrepare_DeflateCount_kernelIdEEviiPT_lS3_Pi, .Lfunc_end92-_ZN9rocsolver6v33100L38stedc_mergePrepare_DeflateCount_kernelIdEEviiPT_lS3_Pi
                                        ; -- End function
	.section	.AMDGPU.csdata,"",@progbits
; Kernel info:
; codeLenInByte = 1344
; NumSgprs: 29
; NumVgprs: 20
; ScratchSize: 0
; MemoryBound: 0
; FloatMode: 240
; IeeeMode: 1
; LDSByteSize: 49152 bytes/workgroup (compile time only)
; SGPRBlocks: 3
; VGPRBlocks: 2
; NumSGPRsForWavesPerEU: 29
; NumVGPRsForWavesPerEU: 20
; Occupancy: 8
; WaveLimiterHint : 0
; COMPUTE_PGM_RSRC2:SCRATCH_EN: 0
; COMPUTE_PGM_RSRC2:USER_SGPR: 14
; COMPUTE_PGM_RSRC2:TRAP_HANDLER: 0
; COMPUTE_PGM_RSRC2:TGID_X_EN: 1
; COMPUTE_PGM_RSRC2:TGID_Y_EN: 1
; COMPUTE_PGM_RSRC2:TGID_Z_EN: 0
; COMPUTE_PGM_RSRC2:TIDIG_COMP_CNT: 0
	.section	.text._ZN9rocsolver6v33100L38stedc_mergePrepare_DeflateApply_kernelIdEEviiPT_lS3_Pi,"axG",@progbits,_ZN9rocsolver6v33100L38stedc_mergePrepare_DeflateApply_kernelIdEEviiPT_lS3_Pi,comdat
	.globl	_ZN9rocsolver6v33100L38stedc_mergePrepare_DeflateApply_kernelIdEEviiPT_lS3_Pi ; -- Begin function _ZN9rocsolver6v33100L38stedc_mergePrepare_DeflateApply_kernelIdEEviiPT_lS3_Pi
	.p2align	8
	.type	_ZN9rocsolver6v33100L38stedc_mergePrepare_DeflateApply_kernelIdEEviiPT_lS3_Pi,@function
_ZN9rocsolver6v33100L38stedc_mergePrepare_DeflateApply_kernelIdEEviiPT_lS3_Pi: ; @_ZN9rocsolver6v33100L38stedc_mergePrepare_DeflateApply_kernelIdEEviiPT_lS3_Pi
; %bb.0:
	s_clause 0x2
	s_load_b32 s2, s[0:1], 0x4
	s_load_b128 s[4:7], s[0:1], 0x18
	s_load_b32 s17, s[0:1], 0x34
	s_mov_b32 s19, exec_lo
                                        ; implicit-def: $sgpr20
	s_waitcnt lgkmcnt(0)
	s_mul_i32 s18, s15, s2
	s_delay_alu instid0(SALU_CYCLE_1) | instskip(NEXT) | instid1(SALU_CYCLE_1)
	s_mul_i32 s0, s18, 13
	s_ashr_i32 s1, s0, 31
	s_delay_alu instid0(SALU_CYCLE_1) | instskip(NEXT) | instid1(SALU_CYCLE_1)
	s_lshl_b64 s[0:1], s[0:1], 2
	s_add_u32 s3, s6, s0
	s_addc_u32 s13, s7, s1
	s_lshl_b32 s8, s2, 3
	s_delay_alu instid0(SALU_CYCLE_1) | instskip(NEXT) | instid1(SALU_CYCLE_1)
	s_ashr_i32 s9, s8, 31
	s_lshl_b64 s[10:11], s[8:9], 2
	s_delay_alu instid0(SALU_CYCLE_1) | instskip(SKIP_2) | instid1(SALU_CYCLE_1)
	s_add_u32 s12, s3, s10
	s_addc_u32 s13, s13, s11
	s_ashr_i32 s3, s2, 31
	s_lshl_b64 s[8:9], s[2:3], 3
	s_delay_alu instid0(SALU_CYCLE_1) | instskip(SKIP_2) | instid1(SALU_CYCLE_1)
	s_add_u32 s15, s12, s8
	s_addc_u32 s16, s13, s9
	s_and_b32 s17, s17, 0xffff
	s_mul_i32 s14, s14, s17
	s_delay_alu instid0(SALU_CYCLE_1) | instskip(NEXT) | instid1(VALU_DEP_1)
	v_add_nc_u32_e32 v1, s14, v0
	v_ashrrev_i32_e32 v2, 31, v1
	v_cmpx_le_i32_e64 s2, v1
	s_xor_b32 s19, exec_lo, s19
; %bb.1:
	s_mov_b32 s20, 0
; %bb.2:
	s_or_saveexec_b32 s19, s19
	v_mov_b32_e32 v17, s20
	s_xor_b32 exec_lo, exec_lo, s19
	s_cbranch_execz .LBB93_4
; %bb.3:
	v_lshlrev_b64 v[3:4], 2, v[1:2]
	s_lshl_b64 s[20:21], s[2:3], 2
	s_delay_alu instid0(SALU_CYCLE_1) | instskip(SKIP_1) | instid1(VALU_DEP_1)
	s_sub_u32 s3, s15, s20
	s_subb_u32 s20, s16, s21
	v_add_co_u32 v3, vcc_lo, s3, v3
	s_delay_alu instid0(VALU_DEP_2)
	v_add_co_ci_u32_e32 v4, vcc_lo, s20, v4, vcc_lo
	global_load_b32 v17, v[3:4], off
.LBB93_4:
	s_or_b32 exec_lo, exec_lo, s19
	s_mul_i32 s18, s18, 10
	v_lshlrev_b64 v[1:2], 2, v[1:2]
	s_ashr_i32 s19, s18, 31
	v_dual_mov_b32 v9, v0 :: v_dual_lshlrev_b32 v18, 2, v0
	s_lshl_b64 s[18:19], s[18:19], 3
	v_lshlrev_b32_e32 v6, 3, v0
	s_add_u32 s3, s4, s18
	s_addc_u32 s4, s5, s19
	s_lshl_b32 s5, s17, 2
	s_add_u32 s0, s8, s0
	s_addc_u32 s1, s9, s1
	s_add_u32 s0, s0, s10
	s_addc_u32 s1, s1, s11
	;; [unrolled: 2-line block ×3, first 2 shown]
	v_add_co_u32 v1, vcc_lo, s0, v1
	v_or_b32_e32 v7, 0x8000, v18
	v_add_co_ci_u32_e32 v2, vcc_lo, s1, v2, vcc_lo
	v_mov_b32_e32 v8, v6
	s_mov_b32 s1, 0
	s_lshl_b32 s6, s17, 3
	s_set_inst_prefetch_distance 0x1
	s_branch .LBB93_6
	.p2align	6
.LBB93_5:                               ;   in Loop: Header=BB93_6 Depth=1
	s_or_b32 exec_lo, exec_lo, s0
	v_add_nc_u32_e32 v9, s17, v9
	v_add_co_u32 v1, s0, v1, s5
	ds_store_b32 v7, v3
	s_waitcnt vmcnt(0)
	ds_store_b64 v8, v[4:5]
	v_add_nc_u32_e32 v7, s5, v7
	v_cmp_lt_u32_e32 vcc_lo, 0xfff, v9
	v_add_co_ci_u32_e64 v2, s0, 0, v2, s0
	v_add_nc_u32_e32 v8, s6, v8
	s_or_b32 s1, vcc_lo, s1
	s_delay_alu instid0(SALU_CYCLE_1)
	s_and_not1_b32 exec_lo, exec_lo, s1
	s_cbranch_execz .LBB93_8
.LBB93_6:                               ; =>This Inner Loop Header: Depth=1
	v_dual_mov_b32 v4, 0 :: v_dual_add_nc_u32 v3, s14, v9
	v_mov_b32_e32 v5, 0
	s_delay_alu instid0(VALU_DEP_2)
	v_cmp_gt_i32_e32 vcc_lo, s2, v3
	v_mov_b32_e32 v3, 0
	s_and_saveexec_b32 s0, vcc_lo
	s_cbranch_execz .LBB93_5
; %bb.7:                                ;   in Loop: Header=BB93_6 Depth=1
	global_load_b32 v3, v[1:2], off
	s_waitcnt vmcnt(0)
	v_ashrrev_i32_e32 v4, 31, v3
	s_delay_alu instid0(VALU_DEP_1) | instskip(NEXT) | instid1(VALU_DEP_1)
	v_lshlrev_b64 v[4:5], 3, v[3:4]
	v_add_co_u32 v4, vcc_lo, s3, v4
	s_delay_alu instid0(VALU_DEP_2)
	v_add_co_ci_u32_e32 v5, vcc_lo, s4, v5, vcc_lo
	global_load_b64 v[4:5], v[4:5], off
	s_branch .LBB93_5
.LBB93_8:
	s_set_inst_prefetch_distance 0x2
	s_or_b32 exec_lo, exec_lo, s1
	s_waitcnt lgkmcnt(0)
	s_barrier
	buffer_gl0_inv
	s_mov_b32 s0, exec_lo
	v_cmpx_ne_u32_e32 0, v17
	s_cbranch_execz .LBB93_24
; %bb.9:
	v_lshlrev_b32_e32 v1, 3, v0
	s_mov_b32 s5, exec_lo
	ds_load_b64 v[1:2], v1
	v_cmpx_lt_i32_e32 0, v17
	s_cbranch_execz .LBB93_23
; %bb.10:
	s_lshl_b32 s0, s2, 1
	v_dual_mov_b32 v3, 0 :: v_dual_add_nc_u32 v20, 0x8004, v18
	s_ashr_i32 s1, s0, 31
	v_add_nc_u32_e32 v19, 8, v6
	s_lshl_b64 s[0:1], s[0:1], 3
	v_add_nc_u32_e32 v0, 1, v0
	v_mov_b32_e32 v4, v3
	s_add_u32 s2, s3, s0
	s_addc_u32 s6, s4, s1
	s_add_u32 s7, s2, s8
	s_addc_u32 s9, s6, s9
	s_mov_b32 s8, 0
	s_mov_b64 s[0:1], src_shared_base
	s_branch .LBB93_13
.LBB93_11:                              ;   in Loop: Header=BB93_13 Depth=1
	s_or_b32 exec_lo, exec_lo, s10
.LBB93_12:                              ;   in Loop: Header=BB93_13 Depth=1
	s_delay_alu instid0(SALU_CYCLE_1)
	s_or_b32 exec_lo, exec_lo, s0
	v_lshlrev_b64 v[9:10], 2, v[9:10]
	v_add_nc_u32_e32 v17, -1, v17
	v_add_nc_u32_e32 v19, 8, v19
	v_add_nc_u32_e32 v20, 4, v20
	;; [unrolled: 1-line block ×3, first 2 shown]
	global_store_b64 v[5:6], v[3:4], off
	v_add_co_u32 v9, vcc_lo, s12, v9
	v_add_co_ci_u32_e32 v10, vcc_lo, s13, v10, vcc_lo
	v_add_co_u32 v11, vcc_lo, s2, v7
	v_add_co_ci_u32_e32 v12, vcc_lo, s6, v8, vcc_lo
	;; [unrolled: 2-line block ×3, first 2 shown]
	v_cmp_eq_u32_e32 vcc_lo, 0, v17
	global_store_b32 v[9:10], v3, off
	s_clause 0x1
	global_store_b64 v[11:12], v[13:14], off
	global_store_b64 v[7:8], v[15:16], off
	s_or_b32 s8, vcc_lo, s8
	s_delay_alu instid0(SALU_CYCLE_1)
	s_and_not1_b32 exec_lo, exec_lo, s8
	s_cbranch_execz .LBB93_22
.LBB93_13:                              ; =>This Inner Loop Header: Depth=1
	v_add_nc_u32_e32 v5, s14, v0
	v_mov_b32_e32 v15, 0
	v_dual_mov_b32 v16, 0 :: v_dual_mov_b32 v13, 0
	v_mov_b32_e32 v14, 0x3ff00000
	s_delay_alu instid0(VALU_DEP_4) | instskip(NEXT) | instid1(VALU_DEP_1)
	v_ashrrev_i32_e32 v6, 31, v5
	v_lshlrev_b64 v[5:6], 2, v[5:6]
	s_delay_alu instid0(VALU_DEP_1) | instskip(NEXT) | instid1(VALU_DEP_2)
	v_add_co_u32 v5, vcc_lo, s15, v5
	v_add_co_ci_u32_e32 v6, vcc_lo, s16, v6, vcc_lo
	v_cmp_gt_i32_e32 vcc_lo, 0x1000, v0
	s_delay_alu instid0(VALU_DEP_2) | instskip(NEXT) | instid1(VALU_DEP_4)
	v_cndmask_b32_e64 v6, v6, s1, vcc_lo
	v_cndmask_b32_e32 v5, v5, v20, vcc_lo
	flat_load_b32 v9, v[5:6]
	s_waitcnt vmcnt(0) lgkmcnt(0)
	v_ashrrev_i32_e32 v10, 31, v9
	s_delay_alu instid0(VALU_DEP_1) | instskip(NEXT) | instid1(VALU_DEP_1)
	v_lshlrev_b64 v[7:8], 3, v[9:10]
	v_add_co_u32 v5, s0, s3, v7
	s_delay_alu instid0(VALU_DEP_1) | instskip(SKIP_1) | instid1(VALU_DEP_2)
	v_add_co_ci_u32_e64 v6, s0, s4, v8, s0
	s_mov_b32 s0, exec_lo
	v_cndmask_b32_e32 v11, v5, v19, vcc_lo
	s_delay_alu instid0(VALU_DEP_2)
	v_cndmask_b32_e64 v12, v6, s1, vcc_lo
	flat_load_b64 v[11:12], v[11:12]
	s_waitcnt vmcnt(0) lgkmcnt(0)
	v_cmpx_neq_f64_e32 0, v[11:12]
	s_cbranch_execz .LBB93_12
; %bb.14:                               ;   in Loop: Header=BB93_13 Depth=1
	s_mov_b32 s10, exec_lo
                                        ; implicit-def: $vgpr13_vgpr14
                                        ; implicit-def: $vgpr15_vgpr16
	v_cmpx_neq_f64_e32 0, v[1:2]
	s_xor_b32 s10, exec_lo, s10
	s_cbranch_execz .LBB93_20
; %bb.15:                               ;   in Loop: Header=BB93_13 Depth=1
	v_cmp_ngt_f64_e64 s11, |v[11:12]|, |v[1:2]|
                                        ; implicit-def: $vgpr13_vgpr14
                                        ; implicit-def: $vgpr15_vgpr16
	s_delay_alu instid0(VALU_DEP_1) | instskip(NEXT) | instid1(SALU_CYCLE_1)
	s_and_saveexec_b32 s17, s11
	s_xor_b32 s11, exec_lo, s17
	s_cbranch_execz .LBB93_17
; %bb.16:                               ;   in Loop: Header=BB93_13 Depth=1
	v_div_scale_f64 v[13:14], null, v[1:2], v[1:2], -v[11:12]
	v_div_scale_f64 v[23:24], vcc_lo, -v[11:12], v[1:2], -v[11:12]
	s_delay_alu instid0(VALU_DEP_2) | instskip(SKIP_2) | instid1(VALU_DEP_1)
	v_rcp_f64_e32 v[15:16], v[13:14]
	s_waitcnt_depctr 0xfff
	v_fma_f64 v[21:22], -v[13:14], v[15:16], 1.0
	v_fma_f64 v[15:16], v[15:16], v[21:22], v[15:16]
	s_delay_alu instid0(VALU_DEP_1) | instskip(NEXT) | instid1(VALU_DEP_1)
	v_fma_f64 v[21:22], -v[13:14], v[15:16], 1.0
	v_fma_f64 v[15:16], v[15:16], v[21:22], v[15:16]
	s_delay_alu instid0(VALU_DEP_1) | instskip(NEXT) | instid1(VALU_DEP_1)
	v_mul_f64 v[21:22], v[23:24], v[15:16]
	v_fma_f64 v[13:14], -v[13:14], v[21:22], v[23:24]
	s_delay_alu instid0(VALU_DEP_1) | instskip(NEXT) | instid1(VALU_DEP_1)
	v_div_fmas_f64 v[13:14], v[13:14], v[15:16], v[21:22]
	v_div_fixup_f64 v[15:16], v[13:14], v[1:2], -v[11:12]
	s_delay_alu instid0(VALU_DEP_1) | instskip(NEXT) | instid1(VALU_DEP_1)
	v_fma_f64 v[13:14], v[15:16], v[15:16], 1.0
	v_cmp_gt_f64_e32 vcc_lo, 0x10000000, v[13:14]
	v_cndmask_b32_e64 v21, 0, 1, vcc_lo
	s_delay_alu instid0(VALU_DEP_1) | instskip(NEXT) | instid1(VALU_DEP_1)
	v_lshlrev_b32_e32 v21, 8, v21
	v_ldexp_f64 v[13:14], v[13:14], v21
	s_delay_alu instid0(VALU_DEP_1) | instskip(SKIP_3) | instid1(VALU_DEP_1)
	v_rsq_f64_e32 v[21:22], v[13:14]
	s_waitcnt_depctr 0xfff
	v_mul_f64 v[23:24], v[13:14], v[21:22]
	v_mul_f64 v[21:22], v[21:22], 0.5
	v_fma_f64 v[25:26], -v[21:22], v[23:24], 0.5
	s_delay_alu instid0(VALU_DEP_1) | instskip(SKIP_1) | instid1(VALU_DEP_2)
	v_fma_f64 v[23:24], v[23:24], v[25:26], v[23:24]
	v_fma_f64 v[21:22], v[21:22], v[25:26], v[21:22]
	v_fma_f64 v[25:26], -v[23:24], v[23:24], v[13:14]
	s_delay_alu instid0(VALU_DEP_1) | instskip(NEXT) | instid1(VALU_DEP_1)
	v_fma_f64 v[23:24], v[25:26], v[21:22], v[23:24]
	v_fma_f64 v[25:26], -v[23:24], v[23:24], v[13:14]
	s_delay_alu instid0(VALU_DEP_1) | instskip(SKIP_2) | instid1(VALU_DEP_2)
	v_fma_f64 v[21:22], v[25:26], v[21:22], v[23:24]
	v_cndmask_b32_e64 v23, 0, 0xffffff80, vcc_lo
	v_cmp_class_f64_e64 vcc_lo, v[13:14], 0x260
	v_ldexp_f64 v[21:22], v[21:22], v23
	s_delay_alu instid0(VALU_DEP_1) | instskip(NEXT) | instid1(VALU_DEP_1)
	v_dual_cndmask_b32 v14, v22, v14 :: v_dual_cndmask_b32 v13, v21, v13
	v_div_scale_f64 v[21:22], null, v[13:14], v[13:14], 1.0
	s_delay_alu instid0(VALU_DEP_1) | instskip(SKIP_2) | instid1(VALU_DEP_1)
	v_rcp_f64_e32 v[23:24], v[21:22]
	s_waitcnt_depctr 0xfff
	v_fma_f64 v[25:26], -v[21:22], v[23:24], 1.0
	v_fma_f64 v[23:24], v[23:24], v[25:26], v[23:24]
	s_delay_alu instid0(VALU_DEP_1) | instskip(NEXT) | instid1(VALU_DEP_1)
	v_fma_f64 v[25:26], -v[21:22], v[23:24], 1.0
	v_fma_f64 v[23:24], v[23:24], v[25:26], v[23:24]
	v_div_scale_f64 v[25:26], vcc_lo, 1.0, v[13:14], 1.0
	s_delay_alu instid0(VALU_DEP_1) | instskip(NEXT) | instid1(VALU_DEP_1)
	v_mul_f64 v[27:28], v[25:26], v[23:24]
	v_fma_f64 v[21:22], -v[21:22], v[27:28], v[25:26]
	s_delay_alu instid0(VALU_DEP_1) | instskip(NEXT) | instid1(VALU_DEP_1)
	v_div_fmas_f64 v[21:22], v[21:22], v[23:24], v[27:28]
	v_div_fixup_f64 v[13:14], v[21:22], v[13:14], 1.0
	s_delay_alu instid0(VALU_DEP_1)
	v_mul_f64 v[15:16], v[15:16], v[13:14]
.LBB93_17:                              ;   in Loop: Header=BB93_13 Depth=1
	s_and_not1_saveexec_b32 s11, s11
	s_cbranch_execz .LBB93_19
; %bb.18:                               ;   in Loop: Header=BB93_13 Depth=1
	v_div_scale_f64 v[13:14], null, v[11:12], v[11:12], -v[1:2]
	v_div_scale_f64 v[23:24], vcc_lo, -v[1:2], v[11:12], -v[1:2]
	s_delay_alu instid0(VALU_DEP_2) | instskip(SKIP_2) | instid1(VALU_DEP_1)
	v_rcp_f64_e32 v[15:16], v[13:14]
	s_waitcnt_depctr 0xfff
	v_fma_f64 v[21:22], -v[13:14], v[15:16], 1.0
	v_fma_f64 v[15:16], v[15:16], v[21:22], v[15:16]
	s_delay_alu instid0(VALU_DEP_1) | instskip(NEXT) | instid1(VALU_DEP_1)
	v_fma_f64 v[21:22], -v[13:14], v[15:16], 1.0
	v_fma_f64 v[15:16], v[15:16], v[21:22], v[15:16]
	s_delay_alu instid0(VALU_DEP_1) | instskip(NEXT) | instid1(VALU_DEP_1)
	v_mul_f64 v[21:22], v[23:24], v[15:16]
	v_fma_f64 v[13:14], -v[13:14], v[21:22], v[23:24]
	s_delay_alu instid0(VALU_DEP_1) | instskip(NEXT) | instid1(VALU_DEP_1)
	v_div_fmas_f64 v[13:14], v[13:14], v[15:16], v[21:22]
	v_div_fixup_f64 v[13:14], v[13:14], v[11:12], -v[1:2]
	s_delay_alu instid0(VALU_DEP_1) | instskip(NEXT) | instid1(VALU_DEP_1)
	v_fma_f64 v[15:16], v[13:14], v[13:14], 1.0
	v_cmp_gt_f64_e32 vcc_lo, 0x10000000, v[15:16]
	v_cndmask_b32_e64 v21, 0, 1, vcc_lo
	s_delay_alu instid0(VALU_DEP_1) | instskip(NEXT) | instid1(VALU_DEP_1)
	v_lshlrev_b32_e32 v21, 8, v21
	v_ldexp_f64 v[15:16], v[15:16], v21
	s_delay_alu instid0(VALU_DEP_1) | instskip(SKIP_3) | instid1(VALU_DEP_1)
	v_rsq_f64_e32 v[21:22], v[15:16]
	s_waitcnt_depctr 0xfff
	v_mul_f64 v[23:24], v[15:16], v[21:22]
	v_mul_f64 v[21:22], v[21:22], 0.5
	v_fma_f64 v[25:26], -v[21:22], v[23:24], 0.5
	s_delay_alu instid0(VALU_DEP_1) | instskip(SKIP_1) | instid1(VALU_DEP_2)
	v_fma_f64 v[23:24], v[23:24], v[25:26], v[23:24]
	v_fma_f64 v[21:22], v[21:22], v[25:26], v[21:22]
	v_fma_f64 v[25:26], -v[23:24], v[23:24], v[15:16]
	s_delay_alu instid0(VALU_DEP_1) | instskip(NEXT) | instid1(VALU_DEP_1)
	v_fma_f64 v[23:24], v[25:26], v[21:22], v[23:24]
	v_fma_f64 v[25:26], -v[23:24], v[23:24], v[15:16]
	s_delay_alu instid0(VALU_DEP_1) | instskip(SKIP_2) | instid1(VALU_DEP_2)
	v_fma_f64 v[21:22], v[25:26], v[21:22], v[23:24]
	v_cndmask_b32_e64 v23, 0, 0xffffff80, vcc_lo
	v_cmp_class_f64_e64 vcc_lo, v[15:16], 0x260
	v_ldexp_f64 v[21:22], v[21:22], v23
	s_delay_alu instid0(VALU_DEP_1) | instskip(NEXT) | instid1(VALU_DEP_1)
	v_dual_cndmask_b32 v16, v22, v16 :: v_dual_cndmask_b32 v15, v21, v15
	v_div_scale_f64 v[21:22], null, v[15:16], v[15:16], 1.0
	s_delay_alu instid0(VALU_DEP_1) | instskip(SKIP_2) | instid1(VALU_DEP_1)
	v_rcp_f64_e32 v[23:24], v[21:22]
	s_waitcnt_depctr 0xfff
	v_fma_f64 v[25:26], -v[21:22], v[23:24], 1.0
	v_fma_f64 v[23:24], v[23:24], v[25:26], v[23:24]
	s_delay_alu instid0(VALU_DEP_1) | instskip(NEXT) | instid1(VALU_DEP_1)
	v_fma_f64 v[25:26], -v[21:22], v[23:24], 1.0
	v_fma_f64 v[23:24], v[23:24], v[25:26], v[23:24]
	v_div_scale_f64 v[25:26], vcc_lo, 1.0, v[15:16], 1.0
	s_delay_alu instid0(VALU_DEP_1) | instskip(NEXT) | instid1(VALU_DEP_1)
	v_mul_f64 v[27:28], v[25:26], v[23:24]
	v_fma_f64 v[21:22], -v[21:22], v[27:28], v[25:26]
	s_delay_alu instid0(VALU_DEP_1) | instskip(NEXT) | instid1(VALU_DEP_1)
	v_div_fmas_f64 v[21:22], v[21:22], v[23:24], v[27:28]
	v_div_fixup_f64 v[15:16], v[21:22], v[15:16], 1.0
	s_delay_alu instid0(VALU_DEP_1)
	v_mul_f64 v[13:14], v[13:14], v[15:16]
.LBB93_19:                              ;   in Loop: Header=BB93_13 Depth=1
	s_or_b32 exec_lo, exec_lo, s11
	s_delay_alu instid0(VALU_DEP_1) | instskip(NEXT) | instid1(VALU_DEP_1)
	v_mul_f64 v[11:12], v[11:12], v[15:16]
	v_fma_f64 v[1:2], v[1:2], v[13:14], -v[11:12]
                                        ; implicit-def: $vgpr11_vgpr12
.LBB93_20:                              ;   in Loop: Header=BB93_13 Depth=1
	s_and_not1_saveexec_b32 s10, s10
	s_cbranch_execz .LBB93_11
; %bb.21:                               ;   in Loop: Header=BB93_13 Depth=1
	v_xor_b32_e32 v12, 0x80000000, v12
	v_mov_b32_e32 v13, 0
	v_dual_mov_b32 v14, 0 :: v_dual_mov_b32 v15, 0
	v_dual_mov_b32 v16, 0x3ff00000 :: v_dual_mov_b32 v1, v11
	s_delay_alu instid0(VALU_DEP_4)
	v_mov_b32_e32 v2, v12
	s_branch .LBB93_11
.LBB93_22:
	s_or_b32 exec_lo, exec_lo, s8
.LBB93_23:
	s_delay_alu instid0(SALU_CYCLE_1) | instskip(SKIP_3) | instid1(VALU_DEP_1)
	s_or_b32 exec_lo, exec_lo, s5
	ds_load_b32 v3, v18 offset:32768
	s_waitcnt lgkmcnt(0)
	v_ashrrev_i32_e32 v4, 31, v3
	v_lshlrev_b64 v[3:4], 3, v[3:4]
	s_delay_alu instid0(VALU_DEP_1) | instskip(NEXT) | instid1(VALU_DEP_2)
	v_add_co_u32 v3, vcc_lo, s3, v3
	v_add_co_ci_u32_e32 v4, vcc_lo, s4, v4, vcc_lo
	global_store_b64 v[3:4], v[1:2], off
.LBB93_24:
	s_nop 0
	s_sendmsg sendmsg(MSG_DEALLOC_VGPRS)
	s_endpgm
	.section	.rodata,"a",@progbits
	.p2align	6, 0x0
	.amdhsa_kernel _ZN9rocsolver6v33100L38stedc_mergePrepare_DeflateApply_kernelIdEEviiPT_lS3_Pi
		.amdhsa_group_segment_fixed_size 49152
		.amdhsa_private_segment_fixed_size 0
		.amdhsa_kernarg_size 296
		.amdhsa_user_sgpr_count 14
		.amdhsa_user_sgpr_dispatch_ptr 0
		.amdhsa_user_sgpr_queue_ptr 0
		.amdhsa_user_sgpr_kernarg_segment_ptr 1
		.amdhsa_user_sgpr_dispatch_id 0
		.amdhsa_user_sgpr_private_segment_size 0
		.amdhsa_wavefront_size32 1
		.amdhsa_uses_dynamic_stack 0
		.amdhsa_enable_private_segment 0
		.amdhsa_system_sgpr_workgroup_id_x 1
		.amdhsa_system_sgpr_workgroup_id_y 1
		.amdhsa_system_sgpr_workgroup_id_z 0
		.amdhsa_system_sgpr_workgroup_info 0
		.amdhsa_system_vgpr_workitem_id 0
		.amdhsa_next_free_vgpr 29
		.amdhsa_next_free_sgpr 22
		.amdhsa_reserve_vcc 1
		.amdhsa_float_round_mode_32 0
		.amdhsa_float_round_mode_16_64 0
		.amdhsa_float_denorm_mode_32 3
		.amdhsa_float_denorm_mode_16_64 3
		.amdhsa_dx10_clamp 1
		.amdhsa_ieee_mode 1
		.amdhsa_fp16_overflow 0
		.amdhsa_workgroup_processor_mode 1
		.amdhsa_memory_ordered 1
		.amdhsa_forward_progress 0
		.amdhsa_shared_vgpr_count 0
		.amdhsa_exception_fp_ieee_invalid_op 0
		.amdhsa_exception_fp_denorm_src 0
		.amdhsa_exception_fp_ieee_div_zero 0
		.amdhsa_exception_fp_ieee_overflow 0
		.amdhsa_exception_fp_ieee_underflow 0
		.amdhsa_exception_fp_ieee_inexact 0
		.amdhsa_exception_int_div_zero 0
	.end_amdhsa_kernel
	.section	.text._ZN9rocsolver6v33100L38stedc_mergePrepare_DeflateApply_kernelIdEEviiPT_lS3_Pi,"axG",@progbits,_ZN9rocsolver6v33100L38stedc_mergePrepare_DeflateApply_kernelIdEEviiPT_lS3_Pi,comdat
.Lfunc_end93:
	.size	_ZN9rocsolver6v33100L38stedc_mergePrepare_DeflateApply_kernelIdEEviiPT_lS3_Pi, .Lfunc_end93-_ZN9rocsolver6v33100L38stedc_mergePrepare_DeflateApply_kernelIdEEviiPT_lS3_Pi
                                        ; -- End function
	.section	.AMDGPU.csdata,"",@progbits
; Kernel info:
; codeLenInByte = 1920
; NumSgprs: 24
; NumVgprs: 29
; ScratchSize: 0
; MemoryBound: 0
; FloatMode: 240
; IeeeMode: 1
; LDSByteSize: 49152 bytes/workgroup (compile time only)
; SGPRBlocks: 2
; VGPRBlocks: 3
; NumSGPRsForWavesPerEU: 24
; NumVGPRsForWavesPerEU: 29
; Occupancy: 8
; WaveLimiterHint : 1
; COMPUTE_PGM_RSRC2:SCRATCH_EN: 0
; COMPUTE_PGM_RSRC2:USER_SGPR: 14
; COMPUTE_PGM_RSRC2:TRAP_HANDLER: 0
; COMPUTE_PGM_RSRC2:TGID_X_EN: 1
; COMPUTE_PGM_RSRC2:TGID_Y_EN: 1
; COMPUTE_PGM_RSRC2:TGID_Z_EN: 0
; COMPUTE_PGM_RSRC2:TIDIG_COMP_CNT: 0
	.section	.text._ZN9rocsolver6v33100L24stedc_mergeRotate_kernelIdEEviiPT_iilS3_Pi,"axG",@progbits,_ZN9rocsolver6v33100L24stedc_mergeRotate_kernelIdEEviiPT_iilS3_Pi,comdat
	.globl	_ZN9rocsolver6v33100L24stedc_mergeRotate_kernelIdEEviiPT_iilS3_Pi ; -- Begin function _ZN9rocsolver6v33100L24stedc_mergeRotate_kernelIdEEviiPT_iilS3_Pi
	.p2align	8
	.type	_ZN9rocsolver6v33100L24stedc_mergeRotate_kernelIdEEviiPT_iilS3_Pi,@function
_ZN9rocsolver6v33100L24stedc_mergeRotate_kernelIdEEviiPT_iilS3_Pi: ; @_ZN9rocsolver6v33100L24stedc_mergeRotate_kernelIdEEviiPT_iilS3_Pi
; %bb.0:
	s_clause 0x2
	s_load_b32 s24, s[0:1], 0x4
	s_load_b64 s[6:7], s[0:1], 0x28
	s_load_b32 s3, s[0:1], 0x3c
	s_mov_b32 s2, s14
	s_waitcnt lgkmcnt(0)
	s_mul_i32 s4, s15, s24
	s_delay_alu instid0(SALU_CYCLE_1) | instskip(NEXT) | instid1(SALU_CYCLE_1)
	s_mul_i32 s4, s4, 13
	s_ashr_i32 s5, s4, 31
	s_delay_alu instid0(SALU_CYCLE_1) | instskip(SKIP_4) | instid1(SALU_CYCLE_1)
	s_lshl_b64 s[8:9], s[4:5], 2
	s_mul_i32 s4, s24, 10
	s_add_u32 s8, s6, s8
	s_addc_u32 s9, s7, s9
	s_ashr_i32 s5, s4, 31
	s_lshl_b64 s[6:7], s[4:5], 2
	s_delay_alu instid0(SALU_CYCLE_1) | instskip(SKIP_2) | instid1(SALU_CYCLE_1)
	s_add_u32 s5, s8, s6
	s_addc_u32 s6, s9, s7
	s_ashr_i32 s25, s24, 31
	s_lshl_b64 s[8:9], s[24:25], 2
	s_delay_alu instid0(SALU_CYCLE_1)
	s_sub_u32 s7, s5, s8
	s_subb_u32 s9, s6, s9
	s_and_b32 s26, s3, 0xffff
	s_ashr_i32 s3, s14, 31
	s_lshl_b32 s27, s26, 4
	s_lshl_b64 s[2:3], s[2:3], 2
	v_cvt_f32_u32_e32 v1, s27
	s_add_u32 s8, s7, s2
	s_addc_u32 s9, s9, s3
	s_load_b32 s28, s[8:9], 0x0
	s_delay_alu instid0(VALU_DEP_1) | instskip(SKIP_2) | instid1(VALU_DEP_1)
	v_rcp_iflag_f32_e32 v1, v1
	s_waitcnt_depctr 0xfff
	v_mul_f32_e32 v1, 0x4f7ffffe, v1
	v_cvt_u32_f32_e32 v1, v1
	s_waitcnt lgkmcnt(0)
	s_cmp_eq_u32 s28, 0
	s_delay_alu instid0(VALU_DEP_1)
	v_readfirstlane_b32 s7, v1
	s_cbranch_scc1 .LBB94_136
; %bb.1:
	s_sub_i32 s8, 0, s27
	s_add_i32 s9, s24, -1
	s_delay_alu instid0(VALU_DEP_1) | instskip(SKIP_4) | instid1(SALU_CYCLE_1)
	s_mul_i32 s8, s8, s7
	s_abs_i32 s10, s9
	s_mul_hi_u32 s8, s7, s8
	s_ashr_i32 s9, s9, 31
	s_add_i32 s7, s7, s8
	s_mul_hi_u32 s7, s10, s7
	s_delay_alu instid0(SALU_CYCLE_1) | instskip(NEXT) | instid1(SALU_CYCLE_1)
	s_mul_i32 s8, s7, s27
	s_sub_i32 s8, s10, s8
	s_add_i32 s10, s7, 1
	s_sub_i32 s11, s8, s27
	s_cmp_ge_u32 s8, s27
	s_cselect_b32 s7, s10, s7
	s_cselect_b32 s8, s11, s8
	s_add_i32 s10, s7, 1
	s_cmp_ge_u32 s8, s27
	s_cselect_b32 s7, s10, s7
	s_delay_alu instid0(SALU_CYCLE_1) | instskip(NEXT) | instid1(SALU_CYCLE_1)
	s_xor_b32 s7, s7, s9
	s_sub_i32 s29, s7, s9
	s_delay_alu instid0(SALU_CYCLE_1)
	s_cmp_lt_i32 s29, 0
	s_cbranch_scc1 .LBB94_136
; %bb.2:
	s_load_b256 s[16:23], s[0:1], 0x8
	s_ashr_i32 s0, s15, 31
	s_mul_i32 s4, s4, s15
	v_mov_b32_e32 v165, 0
	s_mov_b32 s34, 0
                                        ; implicit-def: $vgpr33_vgpr34_vgpr35_vgpr36_vgpr37_vgpr38_vgpr39_vgpr40_vgpr41_vgpr42_vgpr43_vgpr44_vgpr45_vgpr46_vgpr47_vgpr48_vgpr49_vgpr50_vgpr51_vgpr52_vgpr53_vgpr54_vgpr55_vgpr56_vgpr57_vgpr58_vgpr59_vgpr60_vgpr61_vgpr62_vgpr63_vgpr64
                                        ; implicit-def: $vgpr1_vgpr2_vgpr3_vgpr4_vgpr5_vgpr6_vgpr7_vgpr8_vgpr9_vgpr10_vgpr11_vgpr12_vgpr13_vgpr14_vgpr15_vgpr16_vgpr17_vgpr18_vgpr19_vgpr20_vgpr21_vgpr22_vgpr23_vgpr24_vgpr25_vgpr26_vgpr27_vgpr28_vgpr29_vgpr30_vgpr31_vgpr32
	s_waitcnt lgkmcnt(0)
	s_mul_i32 s1, s15, s21
	s_mul_hi_u32 s7, s15, s20
	s_mul_i32 s8, s0, s20
	s_add_i32 s1, s7, s1
	s_mul_i32 s0, s15, s20
	s_add_i32 s1, s1, s8
	s_ashr_i32 s9, s18, 31
	s_lshl_b64 s[0:1], s[0:1], 3
	s_mov_b32 s8, s18
	s_add_u32 s7, s16, s0
	s_addc_u32 s10, s17, s1
	s_lshl_b64 s[0:1], s[8:9], 3
	s_delay_alu instid0(SALU_CYCLE_1)
	s_add_u32 s18, s7, s0
	s_addc_u32 s30, s10, s1
	s_add_u32 s0, s5, s2
	s_addc_u32 s1, s6, s3
	s_load_b32 s2, s[0:1], 0x0
	s_waitcnt lgkmcnt(0)
	s_mul_i32 s2, s2, s19
	s_delay_alu instid0(SALU_CYCLE_1) | instskip(NEXT) | instid1(SALU_CYCLE_1)
	s_ashr_i32 s3, s2, 31
	s_lshl_b64 s[2:3], s[2:3], 3
	s_delay_alu instid0(SALU_CYCLE_1) | instskip(SKIP_2) | instid1(SALU_CYCLE_1)
	s_add_u32 s31, s18, s2
	s_addc_u32 s33, s30, s3
	s_ashr_i32 s5, s4, 31
	s_lshl_b64 s[2:3], s[4:5], 3
	s_delay_alu instid0(SALU_CYCLE_1) | instskip(SKIP_2) | instid1(SALU_CYCLE_1)
	s_add_u32 s4, s22, s2
	s_addc_u32 s5, s23, s3
	s_lshl_b32 s2, s24, 1
	s_ashr_i32 s3, s2, 31
	s_delay_alu instid0(SALU_CYCLE_1) | instskip(NEXT) | instid1(SALU_CYCLE_1)
	s_lshl_b64 s[2:3], s[2:3], 3
	s_add_u32 s22, s4, s2
	s_addc_u32 s23, s5, s3
	s_lshl_b64 s[2:3], s[24:25], 3
	s_delay_alu instid0(SALU_CYCLE_1)
	s_add_u32 s25, s22, s2
	s_addc_u32 s35, s23, s3
	s_cmp_gt_i32 s28, 0
	s_cselect_b32 s36, -1, 0
	s_add_u32 s16, s0, 4
	s_addc_u32 s17, s1, 0
	s_branch .LBB94_4
.LBB94_3:                               ;   in Loop: Header=BB94_4 Depth=1
	s_or_b32 exec_lo, exec_lo, s0
	s_add_i32 s0, s34, 1
	s_cmp_lg_u32 s34, s29
	s_mov_b32 s34, s0
	s_cbranch_scc0 .LBB94_136
.LBB94_4:                               ; =>This Loop Header: Depth=1
                                        ;     Child Loop BB94_39 Depth 2
	s_waitcnt vmcnt(0)
	v_mad_u64_u32 v[97:98], null, s34, s27, v[0:1]
	s_delay_alu instid0(VALU_DEP_1) | instskip(SKIP_1) | instid1(VALU_DEP_2)
	v_cmp_gt_i32_e64 s0, s24, v97
	v_ashrrev_i32_e32 v98, 31, v97
	s_and_saveexec_b32 s1, s0
	s_cbranch_execz .LBB94_6
; %bb.5:                                ;   in Loop: Header=BB94_4 Depth=1
	s_delay_alu instid0(VALU_DEP_1) | instskip(NEXT) | instid1(VALU_DEP_1)
	v_lshlrev_b64 v[1:2], 3, v[97:98]
	v_add_co_u32 v1, vcc_lo, s31, v1
	s_delay_alu instid0(VALU_DEP_2)
	v_add_co_ci_u32_e32 v2, vcc_lo, s33, v2, vcc_lo
	global_load_b64 v[1:2], v[1:2], off
.LBB94_6:                               ;   in Loop: Header=BB94_4 Depth=1
	s_or_b32 exec_lo, exec_lo, s1
	v_add_nc_u32_e32 v99, s26, v97
	s_delay_alu instid0(VALU_DEP_1) | instskip(SKIP_1) | instid1(VALU_DEP_2)
	v_cmp_gt_i32_e64 s1, s24, v99
	v_ashrrev_i32_e32 v100, 31, v99
	s_and_saveexec_b32 s2, s1
	s_cbranch_execz .LBB94_8
; %bb.7:                                ;   in Loop: Header=BB94_4 Depth=1
	s_delay_alu instid0(VALU_DEP_1) | instskip(NEXT) | instid1(VALU_DEP_1)
	v_lshlrev_b64 v[3:4], 3, v[99:100]
	v_add_co_u32 v3, vcc_lo, s31, v3
	s_delay_alu instid0(VALU_DEP_2)
	v_add_co_ci_u32_e32 v4, vcc_lo, s33, v4, vcc_lo
	global_load_b64 v[3:4], v[3:4], off
.LBB94_8:                               ;   in Loop: Header=BB94_4 Depth=1
	s_or_b32 exec_lo, exec_lo, s2
	v_add_nc_u32_e32 v101, s26, v99
	s_delay_alu instid0(VALU_DEP_1) | instskip(SKIP_1) | instid1(VALU_DEP_2)
	v_cmp_gt_i32_e64 s2, s24, v101
	v_ashrrev_i32_e32 v102, 31, v101
	s_and_saveexec_b32 s3, s2
	s_cbranch_execz .LBB94_10
; %bb.9:                                ;   in Loop: Header=BB94_4 Depth=1
	s_delay_alu instid0(VALU_DEP_1) | instskip(NEXT) | instid1(VALU_DEP_1)
	v_lshlrev_b64 v[5:6], 3, v[101:102]
	v_add_co_u32 v5, vcc_lo, s31, v5
	s_delay_alu instid0(VALU_DEP_2)
	v_add_co_ci_u32_e32 v6, vcc_lo, s33, v6, vcc_lo
	global_load_b64 v[5:6], v[5:6], off
.LBB94_10:                              ;   in Loop: Header=BB94_4 Depth=1
	s_or_b32 exec_lo, exec_lo, s3
	v_add_nc_u32_e32 v103, s26, v101
	s_delay_alu instid0(VALU_DEP_1) | instskip(SKIP_1) | instid1(VALU_DEP_2)
	v_cmp_gt_i32_e64 s3, s24, v103
	v_ashrrev_i32_e32 v104, 31, v103
	s_and_saveexec_b32 s4, s3
	s_cbranch_execz .LBB94_12
; %bb.11:                               ;   in Loop: Header=BB94_4 Depth=1
	s_delay_alu instid0(VALU_DEP_1) | instskip(NEXT) | instid1(VALU_DEP_1)
	v_lshlrev_b64 v[7:8], 3, v[103:104]
	v_add_co_u32 v7, vcc_lo, s31, v7
	s_delay_alu instid0(VALU_DEP_2)
	v_add_co_ci_u32_e32 v8, vcc_lo, s33, v8, vcc_lo
	global_load_b64 v[7:8], v[7:8], off
.LBB94_12:                              ;   in Loop: Header=BB94_4 Depth=1
	s_or_b32 exec_lo, exec_lo, s4
	v_add_nc_u32_e32 v105, s26, v103
	s_delay_alu instid0(VALU_DEP_1) | instskip(SKIP_1) | instid1(VALU_DEP_2)
	v_cmp_gt_i32_e64 s4, s24, v105
	v_ashrrev_i32_e32 v106, 31, v105
	s_and_saveexec_b32 s5, s4
	s_cbranch_execz .LBB94_14
; %bb.13:                               ;   in Loop: Header=BB94_4 Depth=1
	s_delay_alu instid0(VALU_DEP_1) | instskip(NEXT) | instid1(VALU_DEP_1)
	v_lshlrev_b64 v[9:10], 3, v[105:106]
	v_add_co_u32 v9, vcc_lo, s31, v9
	s_delay_alu instid0(VALU_DEP_2)
	v_add_co_ci_u32_e32 v10, vcc_lo, s33, v10, vcc_lo
	global_load_b64 v[9:10], v[9:10], off
.LBB94_14:                              ;   in Loop: Header=BB94_4 Depth=1
	;; [unrolled: 15-line block ×13, first 2 shown]
	s_or_b32 exec_lo, exec_lo, s20
	s_delay_alu instid0(SALU_CYCLE_1)
	s_and_b32 vcc_lo, exec_lo, s36
	s_cbranch_vccz .LBB94_104
; %bb.37:                               ;   in Loop: Header=BB94_4 Depth=1
	v_lshlrev_b64 v[129:130], 3, v[97:98]
	v_lshlrev_b64 v[131:132], 3, v[99:100]
	;; [unrolled: 1-line block ×16, first 2 shown]
	s_mov_b32 s37, s28
	s_mov_b64 s[20:21], s[16:17]
	s_branch .LBB94_39
.LBB94_38:                              ;   in Loop: Header=BB94_39 Depth=2
	s_or_b32 exec_lo, exec_lo, s40
	v_mul_f64 v[33:34], v[163:164], v[33:34]
	v_mul_f64 v[35:36], v[163:164], v[35:36]
	;; [unrolled: 1-line block ×16, first 2 shown]
	s_add_u32 s20, s20, 4
	s_addc_u32 s21, s21, 0
	s_add_i32 s37, s37, -1
	s_waitcnt_vscnt null, 0x0
	s_cmp_eq_u32 s37, 0
	s_barrier
	buffer_gl0_inv
	v_fma_f64 v[1:2], v[161:162], v[1:2], -v[33:34]
	v_fma_f64 v[3:4], v[161:162], v[3:4], -v[35:36]
	;; [unrolled: 1-line block ×16, first 2 shown]
	v_dual_mov_b32 v33, v65 :: v_dual_mov_b32 v34, v66
	v_dual_mov_b32 v35, v67 :: v_dual_mov_b32 v36, v68
	;; [unrolled: 1-line block ×16, first 2 shown]
	s_cbranch_scc1 .LBB94_103
.LBB94_39:                              ;   Parent Loop BB94_4 Depth=1
                                        ; =>  This Inner Loop Header: Depth=2
	global_load_b32 v65, v165, s[20:21]
	s_waitcnt vmcnt(0)
	v_ashrrev_i32_e32 v66, 31, v65
	v_readfirstlane_b32 s38, v65
	s_delay_alu instid0(VALU_DEP_2) | instskip(NEXT) | instid1(VALU_DEP_2)
	v_lshlrev_b64 v[66:67], 3, v[65:66]
	s_mul_i32 s38, s38, s19
	s_delay_alu instid0(SALU_CYCLE_1) | instskip(NEXT) | instid1(SALU_CYCLE_1)
	s_ashr_i32 s39, s38, 31
	s_lshl_b64 s[38:39], s[38:39], 3
	s_delay_alu instid0(VALU_DEP_1) | instskip(NEXT) | instid1(VALU_DEP_2)
	v_add_co_u32 v68, vcc_lo, s22, v66
	v_add_co_ci_u32_e32 v69, vcc_lo, s23, v67, vcc_lo
	v_add_co_u32 v66, vcc_lo, s25, v66
	v_add_co_ci_u32_e32 v67, vcc_lo, s35, v67, vcc_lo
	s_add_u32 s38, s18, s38
	s_clause 0x1
	global_load_b64 v[161:162], v[68:69], off
	global_load_b64 v[163:164], v[66:67], off
	s_addc_u32 s39, s30, s39
	s_and_saveexec_b32 s40, s0
	s_cbranch_execnz .LBB94_88
; %bb.40:                               ;   in Loop: Header=BB94_39 Depth=2
	s_or_b32 exec_lo, exec_lo, s40
	s_and_saveexec_b32 s40, s1
	s_cbranch_execnz .LBB94_89
.LBB94_41:                              ;   in Loop: Header=BB94_39 Depth=2
	s_or_b32 exec_lo, exec_lo, s40
	s_and_saveexec_b32 s40, s2
	s_cbranch_execnz .LBB94_90
.LBB94_42:                              ;   in Loop: Header=BB94_39 Depth=2
	s_or_b32 exec_lo, exec_lo, s40
	s_and_saveexec_b32 s40, s3
	s_cbranch_execnz .LBB94_91
.LBB94_43:                              ;   in Loop: Header=BB94_39 Depth=2
	s_or_b32 exec_lo, exec_lo, s40
	s_and_saveexec_b32 s40, s4
	s_cbranch_execnz .LBB94_92
.LBB94_44:                              ;   in Loop: Header=BB94_39 Depth=2
	s_or_b32 exec_lo, exec_lo, s40
	s_and_saveexec_b32 s40, s5
	s_cbranch_execnz .LBB94_93
.LBB94_45:                              ;   in Loop: Header=BB94_39 Depth=2
	s_or_b32 exec_lo, exec_lo, s40
	s_and_saveexec_b32 s40, s6
	s_cbranch_execnz .LBB94_94
.LBB94_46:                              ;   in Loop: Header=BB94_39 Depth=2
	s_or_b32 exec_lo, exec_lo, s40
	s_and_saveexec_b32 s40, s7
	s_cbranch_execnz .LBB94_95
.LBB94_47:                              ;   in Loop: Header=BB94_39 Depth=2
	s_or_b32 exec_lo, exec_lo, s40
	s_and_saveexec_b32 s40, s8
	s_cbranch_execnz .LBB94_96
.LBB94_48:                              ;   in Loop: Header=BB94_39 Depth=2
	s_or_b32 exec_lo, exec_lo, s40
	s_and_saveexec_b32 s40, s9
	s_cbranch_execnz .LBB94_97
.LBB94_49:                              ;   in Loop: Header=BB94_39 Depth=2
	s_or_b32 exec_lo, exec_lo, s40
	s_and_saveexec_b32 s40, s10
	s_cbranch_execnz .LBB94_98
.LBB94_50:                              ;   in Loop: Header=BB94_39 Depth=2
	s_or_b32 exec_lo, exec_lo, s40
	s_and_saveexec_b32 s40, s11
	s_cbranch_execnz .LBB94_99
.LBB94_51:                              ;   in Loop: Header=BB94_39 Depth=2
	s_or_b32 exec_lo, exec_lo, s40
	s_and_saveexec_b32 s40, s12
	s_cbranch_execnz .LBB94_100
.LBB94_52:                              ;   in Loop: Header=BB94_39 Depth=2
	s_or_b32 exec_lo, exec_lo, s40
	s_and_saveexec_b32 s40, s13
	s_cbranch_execnz .LBB94_101
.LBB94_53:                              ;   in Loop: Header=BB94_39 Depth=2
	s_or_b32 exec_lo, exec_lo, s40
	s_and_saveexec_b32 s40, s14
	s_cbranch_execnz .LBB94_102
.LBB94_54:                              ;   in Loop: Header=BB94_39 Depth=2
	s_or_b32 exec_lo, exec_lo, s40
	s_and_saveexec_b32 s40, s15
	s_cbranch_execz .LBB94_56
.LBB94_55:                              ;   in Loop: Header=BB94_39 Depth=2
	v_add_co_u32 v63, vcc_lo, s38, v159
	v_add_co_ci_u32_e32 v64, vcc_lo, s39, v160, vcc_lo
	global_load_b64 v[63:64], v[63:64], off
.LBB94_56:                              ;   in Loop: Header=BB94_39 Depth=2
	s_or_b32 exec_lo, exec_lo, s40
	s_waitcnt vmcnt(0)
	v_mul_f64 v[65:66], v[161:162], v[33:34]
	s_delay_alu instid0(VALU_DEP_1)
	v_fma_f64 v[65:66], v[163:164], v[1:2], v[65:66]
	s_and_saveexec_b32 s40, s0
	s_cbranch_execz .LBB94_58
; %bb.57:                               ;   in Loop: Header=BB94_39 Depth=2
	v_add_co_u32 v67, vcc_lo, s38, v129
	v_add_co_ci_u32_e32 v68, vcc_lo, s39, v130, vcc_lo
	global_store_b64 v[67:68], v[65:66], off
.LBB94_58:                              ;   in Loop: Header=BB94_39 Depth=2
	s_or_b32 exec_lo, exec_lo, s40
	v_mul_f64 v[67:68], v[161:162], v[35:36]
	s_delay_alu instid0(VALU_DEP_1)
	v_fma_f64 v[67:68], v[163:164], v[3:4], v[67:68]
	s_and_saveexec_b32 s40, s1
	s_cbranch_execz .LBB94_60
; %bb.59:                               ;   in Loop: Header=BB94_39 Depth=2
	v_add_co_u32 v69, vcc_lo, s38, v131
	v_add_co_ci_u32_e32 v70, vcc_lo, s39, v132, vcc_lo
	global_store_b64 v[69:70], v[67:68], off
.LBB94_60:                              ;   in Loop: Header=BB94_39 Depth=2
	s_or_b32 exec_lo, exec_lo, s40
	;; [unrolled: 11-line block ×15, first 2 shown]
	v_mul_f64 v[95:96], v[161:162], v[63:64]
	s_delay_alu instid0(VALU_DEP_1)
	v_fma_f64 v[95:96], v[163:164], v[31:32], v[95:96]
	s_and_saveexec_b32 s40, s15
	s_cbranch_execz .LBB94_38
; %bb.87:                               ;   in Loop: Header=BB94_39 Depth=2
	v_add_co_u32 v166, vcc_lo, s38, v159
	v_add_co_ci_u32_e32 v167, vcc_lo, s39, v160, vcc_lo
	global_store_b64 v[166:167], v[95:96], off
	s_branch .LBB94_38
.LBB94_88:                              ;   in Loop: Header=BB94_39 Depth=2
	v_add_co_u32 v33, vcc_lo, s38, v129
	v_add_co_ci_u32_e32 v34, vcc_lo, s39, v130, vcc_lo
	global_load_b64 v[33:34], v[33:34], off
	s_or_b32 exec_lo, exec_lo, s40
	s_and_saveexec_b32 s40, s1
	s_cbranch_execz .LBB94_41
.LBB94_89:                              ;   in Loop: Header=BB94_39 Depth=2
	v_add_co_u32 v35, vcc_lo, s38, v131
	v_add_co_ci_u32_e32 v36, vcc_lo, s39, v132, vcc_lo
	global_load_b64 v[35:36], v[35:36], off
	s_or_b32 exec_lo, exec_lo, s40
	s_and_saveexec_b32 s40, s2
	s_cbranch_execz .LBB94_42
.LBB94_90:                              ;   in Loop: Header=BB94_39 Depth=2
	v_add_co_u32 v37, vcc_lo, s38, v133
	v_add_co_ci_u32_e32 v38, vcc_lo, s39, v134, vcc_lo
	global_load_b64 v[37:38], v[37:38], off
	s_or_b32 exec_lo, exec_lo, s40
	s_and_saveexec_b32 s40, s3
	s_cbranch_execz .LBB94_43
.LBB94_91:                              ;   in Loop: Header=BB94_39 Depth=2
	v_add_co_u32 v39, vcc_lo, s38, v135
	v_add_co_ci_u32_e32 v40, vcc_lo, s39, v136, vcc_lo
	global_load_b64 v[39:40], v[39:40], off
	s_or_b32 exec_lo, exec_lo, s40
	s_and_saveexec_b32 s40, s4
	s_cbranch_execz .LBB94_44
.LBB94_92:                              ;   in Loop: Header=BB94_39 Depth=2
	v_add_co_u32 v41, vcc_lo, s38, v137
	v_add_co_ci_u32_e32 v42, vcc_lo, s39, v138, vcc_lo
	global_load_b64 v[41:42], v[41:42], off
	s_or_b32 exec_lo, exec_lo, s40
	s_and_saveexec_b32 s40, s5
	s_cbranch_execz .LBB94_45
.LBB94_93:                              ;   in Loop: Header=BB94_39 Depth=2
	v_add_co_u32 v43, vcc_lo, s38, v139
	v_add_co_ci_u32_e32 v44, vcc_lo, s39, v140, vcc_lo
	global_load_b64 v[43:44], v[43:44], off
	s_or_b32 exec_lo, exec_lo, s40
	s_and_saveexec_b32 s40, s6
	s_cbranch_execz .LBB94_46
.LBB94_94:                              ;   in Loop: Header=BB94_39 Depth=2
	v_add_co_u32 v45, vcc_lo, s38, v141
	v_add_co_ci_u32_e32 v46, vcc_lo, s39, v142, vcc_lo
	global_load_b64 v[45:46], v[45:46], off
	s_or_b32 exec_lo, exec_lo, s40
	s_and_saveexec_b32 s40, s7
	s_cbranch_execz .LBB94_47
.LBB94_95:                              ;   in Loop: Header=BB94_39 Depth=2
	v_add_co_u32 v47, vcc_lo, s38, v143
	v_add_co_ci_u32_e32 v48, vcc_lo, s39, v144, vcc_lo
	global_load_b64 v[47:48], v[47:48], off
	s_or_b32 exec_lo, exec_lo, s40
	s_and_saveexec_b32 s40, s8
	s_cbranch_execz .LBB94_48
.LBB94_96:                              ;   in Loop: Header=BB94_39 Depth=2
	v_add_co_u32 v49, vcc_lo, s38, v145
	v_add_co_ci_u32_e32 v50, vcc_lo, s39, v146, vcc_lo
	global_load_b64 v[49:50], v[49:50], off
	s_or_b32 exec_lo, exec_lo, s40
	s_and_saveexec_b32 s40, s9
	s_cbranch_execz .LBB94_49
.LBB94_97:                              ;   in Loop: Header=BB94_39 Depth=2
	v_add_co_u32 v51, vcc_lo, s38, v147
	v_add_co_ci_u32_e32 v52, vcc_lo, s39, v148, vcc_lo
	global_load_b64 v[51:52], v[51:52], off
	s_or_b32 exec_lo, exec_lo, s40
	s_and_saveexec_b32 s40, s10
	s_cbranch_execz .LBB94_50
.LBB94_98:                              ;   in Loop: Header=BB94_39 Depth=2
	v_add_co_u32 v53, vcc_lo, s38, v149
	v_add_co_ci_u32_e32 v54, vcc_lo, s39, v150, vcc_lo
	global_load_b64 v[53:54], v[53:54], off
	s_or_b32 exec_lo, exec_lo, s40
	s_and_saveexec_b32 s40, s11
	s_cbranch_execz .LBB94_51
.LBB94_99:                              ;   in Loop: Header=BB94_39 Depth=2
	v_add_co_u32 v55, vcc_lo, s38, v151
	v_add_co_ci_u32_e32 v56, vcc_lo, s39, v152, vcc_lo
	global_load_b64 v[55:56], v[55:56], off
	s_or_b32 exec_lo, exec_lo, s40
	s_and_saveexec_b32 s40, s12
	s_cbranch_execz .LBB94_52
.LBB94_100:                             ;   in Loop: Header=BB94_39 Depth=2
	v_add_co_u32 v57, vcc_lo, s38, v153
	v_add_co_ci_u32_e32 v58, vcc_lo, s39, v154, vcc_lo
	global_load_b64 v[57:58], v[57:58], off
	s_or_b32 exec_lo, exec_lo, s40
	s_and_saveexec_b32 s40, s13
	s_cbranch_execz .LBB94_53
.LBB94_101:                             ;   in Loop: Header=BB94_39 Depth=2
	v_add_co_u32 v59, vcc_lo, s38, v155
	v_add_co_ci_u32_e32 v60, vcc_lo, s39, v156, vcc_lo
	global_load_b64 v[59:60], v[59:60], off
	s_or_b32 exec_lo, exec_lo, s40
	s_and_saveexec_b32 s40, s14
	s_cbranch_execz .LBB94_54
.LBB94_102:                             ;   in Loop: Header=BB94_39 Depth=2
	v_add_co_u32 v61, vcc_lo, s38, v157
	v_add_co_ci_u32_e32 v62, vcc_lo, s39, v158, vcc_lo
	global_load_b64 v[61:62], v[61:62], off
	s_or_b32 exec_lo, exec_lo, s40
	s_and_saveexec_b32 s40, s15
	s_cbranch_execnz .LBB94_55
	s_branch .LBB94_56
.LBB94_103:                             ;   in Loop: Header=BB94_4 Depth=1
	v_dual_mov_b32 v33, v65 :: v_dual_mov_b32 v34, v66
	v_dual_mov_b32 v35, v67 :: v_dual_mov_b32 v36, v68
	;; [unrolled: 1-line block ×16, first 2 shown]
.LBB94_104:                             ;   in Loop: Header=BB94_4 Depth=1
	s_and_saveexec_b32 s20, s0
	s_cbranch_execnz .LBB94_120
; %bb.105:                              ;   in Loop: Header=BB94_4 Depth=1
	s_or_b32 exec_lo, exec_lo, s20
	s_and_saveexec_b32 s0, s1
	s_cbranch_execnz .LBB94_121
.LBB94_106:                             ;   in Loop: Header=BB94_4 Depth=1
	s_or_b32 exec_lo, exec_lo, s0
	s_and_saveexec_b32 s0, s2
	s_cbranch_execnz .LBB94_122
.LBB94_107:                             ;   in Loop: Header=BB94_4 Depth=1
	s_or_b32 exec_lo, exec_lo, s0
	s_and_saveexec_b32 s0, s3
	s_cbranch_execnz .LBB94_123
.LBB94_108:                             ;   in Loop: Header=BB94_4 Depth=1
	s_or_b32 exec_lo, exec_lo, s0
	s_and_saveexec_b32 s0, s4
	s_cbranch_execnz .LBB94_124
.LBB94_109:                             ;   in Loop: Header=BB94_4 Depth=1
	s_or_b32 exec_lo, exec_lo, s0
	s_and_saveexec_b32 s0, s5
	s_cbranch_execnz .LBB94_125
.LBB94_110:                             ;   in Loop: Header=BB94_4 Depth=1
	s_or_b32 exec_lo, exec_lo, s0
	s_and_saveexec_b32 s0, s6
	s_cbranch_execnz .LBB94_126
.LBB94_111:                             ;   in Loop: Header=BB94_4 Depth=1
	s_or_b32 exec_lo, exec_lo, s0
	s_and_saveexec_b32 s0, s7
	s_cbranch_execnz .LBB94_127
.LBB94_112:                             ;   in Loop: Header=BB94_4 Depth=1
	s_or_b32 exec_lo, exec_lo, s0
	s_and_saveexec_b32 s0, s8
	s_cbranch_execnz .LBB94_128
.LBB94_113:                             ;   in Loop: Header=BB94_4 Depth=1
	s_or_b32 exec_lo, exec_lo, s0
	s_and_saveexec_b32 s0, s9
	s_cbranch_execnz .LBB94_129
.LBB94_114:                             ;   in Loop: Header=BB94_4 Depth=1
	s_or_b32 exec_lo, exec_lo, s0
	s_and_saveexec_b32 s0, s10
	s_cbranch_execnz .LBB94_130
.LBB94_115:                             ;   in Loop: Header=BB94_4 Depth=1
	s_or_b32 exec_lo, exec_lo, s0
	s_and_saveexec_b32 s0, s11
	s_cbranch_execnz .LBB94_131
.LBB94_116:                             ;   in Loop: Header=BB94_4 Depth=1
	s_or_b32 exec_lo, exec_lo, s0
	s_and_saveexec_b32 s0, s12
	s_cbranch_execnz .LBB94_132
.LBB94_117:                             ;   in Loop: Header=BB94_4 Depth=1
	s_or_b32 exec_lo, exec_lo, s0
	s_and_saveexec_b32 s0, s13
	s_cbranch_execnz .LBB94_133
.LBB94_118:                             ;   in Loop: Header=BB94_4 Depth=1
	s_or_b32 exec_lo, exec_lo, s0
	s_and_saveexec_b32 s0, s14
	s_cbranch_execnz .LBB94_134
.LBB94_119:                             ;   in Loop: Header=BB94_4 Depth=1
	s_or_b32 exec_lo, exec_lo, s0
	s_and_saveexec_b32 s0, s15
	s_cbranch_execz .LBB94_3
	s_branch .LBB94_135
.LBB94_120:                             ;   in Loop: Header=BB94_4 Depth=1
	v_lshlrev_b64 v[65:66], 3, v[97:98]
	s_delay_alu instid0(VALU_DEP_1) | instskip(NEXT) | instid1(VALU_DEP_2)
	v_add_co_u32 v65, vcc_lo, s31, v65
	v_add_co_ci_u32_e32 v66, vcc_lo, s33, v66, vcc_lo
	s_waitcnt vmcnt(0)
	global_store_b64 v[65:66], v[1:2], off
	s_or_b32 exec_lo, exec_lo, s20
	s_and_saveexec_b32 s0, s1
	s_cbranch_execz .LBB94_106
.LBB94_121:                             ;   in Loop: Header=BB94_4 Depth=1
	v_lshlrev_b64 v[65:66], 3, v[99:100]
	s_delay_alu instid0(VALU_DEP_1) | instskip(NEXT) | instid1(VALU_DEP_2)
	v_add_co_u32 v65, vcc_lo, s31, v65
	v_add_co_ci_u32_e32 v66, vcc_lo, s33, v66, vcc_lo
	s_waitcnt vmcnt(0)
	global_store_b64 v[65:66], v[3:4], off
	s_or_b32 exec_lo, exec_lo, s0
	s_and_saveexec_b32 s0, s2
	s_cbranch_execz .LBB94_107
.LBB94_122:                             ;   in Loop: Header=BB94_4 Depth=1
	v_lshlrev_b64 v[65:66], 3, v[101:102]
	s_delay_alu instid0(VALU_DEP_1) | instskip(NEXT) | instid1(VALU_DEP_2)
	v_add_co_u32 v65, vcc_lo, s31, v65
	v_add_co_ci_u32_e32 v66, vcc_lo, s33, v66, vcc_lo
	s_waitcnt vmcnt(0)
	global_store_b64 v[65:66], v[5:6], off
	s_or_b32 exec_lo, exec_lo, s0
	s_and_saveexec_b32 s0, s3
	s_cbranch_execz .LBB94_108
.LBB94_123:                             ;   in Loop: Header=BB94_4 Depth=1
	v_lshlrev_b64 v[65:66], 3, v[103:104]
	s_delay_alu instid0(VALU_DEP_1) | instskip(NEXT) | instid1(VALU_DEP_2)
	v_add_co_u32 v65, vcc_lo, s31, v65
	v_add_co_ci_u32_e32 v66, vcc_lo, s33, v66, vcc_lo
	s_waitcnt vmcnt(0)
	global_store_b64 v[65:66], v[7:8], off
	s_or_b32 exec_lo, exec_lo, s0
	s_and_saveexec_b32 s0, s4
	s_cbranch_execz .LBB94_109
.LBB94_124:                             ;   in Loop: Header=BB94_4 Depth=1
	v_lshlrev_b64 v[65:66], 3, v[105:106]
	s_delay_alu instid0(VALU_DEP_1) | instskip(NEXT) | instid1(VALU_DEP_2)
	v_add_co_u32 v65, vcc_lo, s31, v65
	v_add_co_ci_u32_e32 v66, vcc_lo, s33, v66, vcc_lo
	s_waitcnt vmcnt(0)
	global_store_b64 v[65:66], v[9:10], off
	s_or_b32 exec_lo, exec_lo, s0
	s_and_saveexec_b32 s0, s5
	s_cbranch_execz .LBB94_110
.LBB94_125:                             ;   in Loop: Header=BB94_4 Depth=1
	v_lshlrev_b64 v[65:66], 3, v[107:108]
	s_delay_alu instid0(VALU_DEP_1) | instskip(NEXT) | instid1(VALU_DEP_2)
	v_add_co_u32 v65, vcc_lo, s31, v65
	v_add_co_ci_u32_e32 v66, vcc_lo, s33, v66, vcc_lo
	s_waitcnt vmcnt(0)
	global_store_b64 v[65:66], v[11:12], off
	s_or_b32 exec_lo, exec_lo, s0
	s_and_saveexec_b32 s0, s6
	s_cbranch_execz .LBB94_111
.LBB94_126:                             ;   in Loop: Header=BB94_4 Depth=1
	v_lshlrev_b64 v[65:66], 3, v[109:110]
	s_delay_alu instid0(VALU_DEP_1) | instskip(NEXT) | instid1(VALU_DEP_2)
	v_add_co_u32 v65, vcc_lo, s31, v65
	v_add_co_ci_u32_e32 v66, vcc_lo, s33, v66, vcc_lo
	s_waitcnt vmcnt(0)
	global_store_b64 v[65:66], v[13:14], off
	s_or_b32 exec_lo, exec_lo, s0
	s_and_saveexec_b32 s0, s7
	s_cbranch_execz .LBB94_112
.LBB94_127:                             ;   in Loop: Header=BB94_4 Depth=1
	v_lshlrev_b64 v[65:66], 3, v[111:112]
	s_delay_alu instid0(VALU_DEP_1) | instskip(NEXT) | instid1(VALU_DEP_2)
	v_add_co_u32 v65, vcc_lo, s31, v65
	v_add_co_ci_u32_e32 v66, vcc_lo, s33, v66, vcc_lo
	s_waitcnt vmcnt(0)
	global_store_b64 v[65:66], v[15:16], off
	s_or_b32 exec_lo, exec_lo, s0
	s_and_saveexec_b32 s0, s8
	s_cbranch_execz .LBB94_113
.LBB94_128:                             ;   in Loop: Header=BB94_4 Depth=1
	v_lshlrev_b64 v[65:66], 3, v[113:114]
	s_delay_alu instid0(VALU_DEP_1) | instskip(NEXT) | instid1(VALU_DEP_2)
	v_add_co_u32 v65, vcc_lo, s31, v65
	v_add_co_ci_u32_e32 v66, vcc_lo, s33, v66, vcc_lo
	s_waitcnt vmcnt(0)
	global_store_b64 v[65:66], v[17:18], off
	s_or_b32 exec_lo, exec_lo, s0
	s_and_saveexec_b32 s0, s9
	s_cbranch_execz .LBB94_114
.LBB94_129:                             ;   in Loop: Header=BB94_4 Depth=1
	v_lshlrev_b64 v[65:66], 3, v[115:116]
	s_delay_alu instid0(VALU_DEP_1) | instskip(NEXT) | instid1(VALU_DEP_2)
	v_add_co_u32 v65, vcc_lo, s31, v65
	v_add_co_ci_u32_e32 v66, vcc_lo, s33, v66, vcc_lo
	s_waitcnt vmcnt(0)
	global_store_b64 v[65:66], v[19:20], off
	s_or_b32 exec_lo, exec_lo, s0
	s_and_saveexec_b32 s0, s10
	s_cbranch_execz .LBB94_115
.LBB94_130:                             ;   in Loop: Header=BB94_4 Depth=1
	v_lshlrev_b64 v[65:66], 3, v[117:118]
	s_delay_alu instid0(VALU_DEP_1) | instskip(NEXT) | instid1(VALU_DEP_2)
	v_add_co_u32 v65, vcc_lo, s31, v65
	v_add_co_ci_u32_e32 v66, vcc_lo, s33, v66, vcc_lo
	s_waitcnt vmcnt(0)
	global_store_b64 v[65:66], v[21:22], off
	s_or_b32 exec_lo, exec_lo, s0
	s_and_saveexec_b32 s0, s11
	s_cbranch_execz .LBB94_116
.LBB94_131:                             ;   in Loop: Header=BB94_4 Depth=1
	v_lshlrev_b64 v[65:66], 3, v[119:120]
	s_delay_alu instid0(VALU_DEP_1) | instskip(NEXT) | instid1(VALU_DEP_2)
	v_add_co_u32 v65, vcc_lo, s31, v65
	v_add_co_ci_u32_e32 v66, vcc_lo, s33, v66, vcc_lo
	s_waitcnt vmcnt(0)
	global_store_b64 v[65:66], v[23:24], off
	s_or_b32 exec_lo, exec_lo, s0
	s_and_saveexec_b32 s0, s12
	s_cbranch_execz .LBB94_117
.LBB94_132:                             ;   in Loop: Header=BB94_4 Depth=1
	v_lshlrev_b64 v[65:66], 3, v[121:122]
	s_delay_alu instid0(VALU_DEP_1) | instskip(NEXT) | instid1(VALU_DEP_2)
	v_add_co_u32 v65, vcc_lo, s31, v65
	v_add_co_ci_u32_e32 v66, vcc_lo, s33, v66, vcc_lo
	s_waitcnt vmcnt(0)
	global_store_b64 v[65:66], v[25:26], off
	s_or_b32 exec_lo, exec_lo, s0
	s_and_saveexec_b32 s0, s13
	s_cbranch_execz .LBB94_118
.LBB94_133:                             ;   in Loop: Header=BB94_4 Depth=1
	v_lshlrev_b64 v[65:66], 3, v[123:124]
	s_delay_alu instid0(VALU_DEP_1) | instskip(NEXT) | instid1(VALU_DEP_2)
	v_add_co_u32 v65, vcc_lo, s31, v65
	v_add_co_ci_u32_e32 v66, vcc_lo, s33, v66, vcc_lo
	s_waitcnt vmcnt(0)
	global_store_b64 v[65:66], v[27:28], off
	s_or_b32 exec_lo, exec_lo, s0
	s_and_saveexec_b32 s0, s14
	s_cbranch_execz .LBB94_119
.LBB94_134:                             ;   in Loop: Header=BB94_4 Depth=1
	v_lshlrev_b64 v[65:66], 3, v[125:126]
	s_delay_alu instid0(VALU_DEP_1) | instskip(NEXT) | instid1(VALU_DEP_2)
	v_add_co_u32 v65, vcc_lo, s31, v65
	v_add_co_ci_u32_e32 v66, vcc_lo, s33, v66, vcc_lo
	s_waitcnt vmcnt(0)
	global_store_b64 v[65:66], v[29:30], off
	s_or_b32 exec_lo, exec_lo, s0
	s_and_saveexec_b32 s0, s15
	s_cbranch_execz .LBB94_3
.LBB94_135:                             ;   in Loop: Header=BB94_4 Depth=1
	v_lshlrev_b64 v[65:66], 3, v[127:128]
	s_delay_alu instid0(VALU_DEP_1) | instskip(NEXT) | instid1(VALU_DEP_2)
	v_add_co_u32 v65, vcc_lo, s31, v65
	v_add_co_ci_u32_e32 v66, vcc_lo, s33, v66, vcc_lo
	s_waitcnt vmcnt(0)
	global_store_b64 v[65:66], v[31:32], off
	s_branch .LBB94_3
.LBB94_136:
	s_nop 0
	s_sendmsg sendmsg(MSG_DEALLOC_VGPRS)
	s_endpgm
	.section	.rodata,"a",@progbits
	.p2align	6, 0x0
	.amdhsa_kernel _ZN9rocsolver6v33100L24stedc_mergeRotate_kernelIdEEviiPT_iilS3_Pi
		.amdhsa_group_segment_fixed_size 0
		.amdhsa_private_segment_fixed_size 0
		.amdhsa_kernarg_size 304
		.amdhsa_user_sgpr_count 14
		.amdhsa_user_sgpr_dispatch_ptr 0
		.amdhsa_user_sgpr_queue_ptr 0
		.amdhsa_user_sgpr_kernarg_segment_ptr 1
		.amdhsa_user_sgpr_dispatch_id 0
		.amdhsa_user_sgpr_private_segment_size 0
		.amdhsa_wavefront_size32 1
		.amdhsa_uses_dynamic_stack 0
		.amdhsa_enable_private_segment 0
		.amdhsa_system_sgpr_workgroup_id_x 1
		.amdhsa_system_sgpr_workgroup_id_y 1
		.amdhsa_system_sgpr_workgroup_id_z 0
		.amdhsa_system_sgpr_workgroup_info 0
		.amdhsa_system_vgpr_workitem_id 0
		.amdhsa_next_free_vgpr 168
		.amdhsa_next_free_sgpr 41
		.amdhsa_reserve_vcc 1
		.amdhsa_float_round_mode_32 0
		.amdhsa_float_round_mode_16_64 0
		.amdhsa_float_denorm_mode_32 3
		.amdhsa_float_denorm_mode_16_64 3
		.amdhsa_dx10_clamp 1
		.amdhsa_ieee_mode 1
		.amdhsa_fp16_overflow 0
		.amdhsa_workgroup_processor_mode 1
		.amdhsa_memory_ordered 1
		.amdhsa_forward_progress 0
		.amdhsa_shared_vgpr_count 0
		.amdhsa_exception_fp_ieee_invalid_op 0
		.amdhsa_exception_fp_denorm_src 0
		.amdhsa_exception_fp_ieee_div_zero 0
		.amdhsa_exception_fp_ieee_overflow 0
		.amdhsa_exception_fp_ieee_underflow 0
		.amdhsa_exception_fp_ieee_inexact 0
		.amdhsa_exception_int_div_zero 0
	.end_amdhsa_kernel
	.section	.text._ZN9rocsolver6v33100L24stedc_mergeRotate_kernelIdEEviiPT_iilS3_Pi,"axG",@progbits,_ZN9rocsolver6v33100L24stedc_mergeRotate_kernelIdEEviiPT_iilS3_Pi,comdat
.Lfunc_end94:
	.size	_ZN9rocsolver6v33100L24stedc_mergeRotate_kernelIdEEviiPT_iilS3_Pi, .Lfunc_end94-_ZN9rocsolver6v33100L24stedc_mergeRotate_kernelIdEEviiPT_iilS3_Pi
                                        ; -- End function
	.section	.AMDGPU.csdata,"",@progbits
; Kernel info:
; codeLenInByte = 4936
; NumSgprs: 43
; NumVgprs: 168
; ScratchSize: 0
; MemoryBound: 0
; FloatMode: 240
; IeeeMode: 1
; LDSByteSize: 0 bytes/workgroup (compile time only)
; SGPRBlocks: 5
; VGPRBlocks: 20
; NumSGPRsForWavesPerEU: 43
; NumVGPRsForWavesPerEU: 168
; Occupancy: 9
; WaveLimiterHint : 1
; COMPUTE_PGM_RSRC2:SCRATCH_EN: 0
; COMPUTE_PGM_RSRC2:USER_SGPR: 14
; COMPUTE_PGM_RSRC2:TRAP_HANDLER: 0
; COMPUTE_PGM_RSRC2:TGID_X_EN: 1
; COMPUTE_PGM_RSRC2:TGID_Y_EN: 1
; COMPUTE_PGM_RSRC2:TGID_Z_EN: 0
; COMPUTE_PGM_RSRC2:TIDIG_COMP_CNT: 0
	.section	.text._ZN9rocsolver6v33100L31stedc_mergeValues_SortDZ_kernelIdEEviiPT_lS3_Pi,"axG",@progbits,_ZN9rocsolver6v33100L31stedc_mergeValues_SortDZ_kernelIdEEviiPT_lS3_Pi,comdat
	.globl	_ZN9rocsolver6v33100L31stedc_mergeValues_SortDZ_kernelIdEEviiPT_lS3_Pi ; -- Begin function _ZN9rocsolver6v33100L31stedc_mergeValues_SortDZ_kernelIdEEviiPT_lS3_Pi
	.p2align	8
	.type	_ZN9rocsolver6v33100L31stedc_mergeValues_SortDZ_kernelIdEEviiPT_lS3_Pi,@function
_ZN9rocsolver6v33100L31stedc_mergeValues_SortDZ_kernelIdEEviiPT_lS3_Pi: ; @_ZN9rocsolver6v33100L31stedc_mergeValues_SortDZ_kernelIdEEviiPT_lS3_Pi
; %bb.0:
	s_clause 0x1
	s_load_b32 s12, s[0:1], 0x4
	s_load_b256 s[4:11], s[0:1], 0x8
	s_ashr_i32 s2, s15, 31
	s_load_b32 s20, s[0:1], 0x34
	s_mov_b32 s0, 0xbff00000
	v_mov_b32_e32 v27, 0
	s_waitcnt lgkmcnt(0)
	s_ashr_i32 s13, s12, 31
	s_mul_i32 s3, s15, s7
	s_mul_hi_u32 s7, s15, s6
	s_mul_i32 s16, s2, s6
	s_add_i32 s3, s7, s3
	s_mul_i32 s2, s15, s6
	s_add_i32 s3, s3, s16
	s_mul_i32 s15, s12, s15
	s_lshl_b64 s[2:3], s[2:3], 3
	s_mul_i32 s6, s15, 13
	s_add_u32 s33, s4, s2
	s_addc_u32 s34, s5, s3
	s_ashr_i32 s7, s6, 31
	s_delay_alu instid0(SALU_CYCLE_1) | instskip(SKIP_4) | instid1(SALU_CYCLE_1)
	s_lshl_b64 s[2:3], s[6:7], 2
	s_mul_hi_i32 s6, s12, 0xffffffec
	s_add_u32 s4, s10, s2
	s_addc_u32 s5, s11, s3
	s_lshl_b32 s2, s12, 3
	s_ashr_i32 s3, s2, 31
	s_delay_alu instid0(SALU_CYCLE_1) | instskip(NEXT) | instid1(SALU_CYCLE_1)
	s_lshl_b64 s[2:3], s[2:3], 2
	s_add_u32 s35, s4, s2
	s_addc_u32 s36, s5, s3
	s_lshl_b64 s[2:3], s[12:13], 3
	s_mul_i32 s4, s12, 0xffffffec
	s_add_u32 s24, s35, s2
	s_addc_u32 s25, s36, s3
	s_add_u32 s16, s24, s4
	s_addc_u32 s17, s25, s6
	s_lshl_b64 s[10:11], s[12:13], 2
	s_mul_i32 s4, s15, 10
	s_add_u32 s28, s16, s10
	s_addc_u32 s29, s17, s11
	s_ashr_i32 s5, s4, 31
	s_mul_i32 s6, s12, 7
	s_lshl_b64 s[4:5], s[4:5], 3
	s_ashr_i32 s7, s6, 31
	s_add_u32 s18, s8, s4
	s_addc_u32 s19, s9, s5
	s_lshl_b64 s[4:5], s[6:7], 3
	s_delay_alu instid0(SALU_CYCLE_1)
	s_add_u32 s22, s18, s4
	s_addc_u32 s23, s19, s5
	s_add_u32 s26, s22, s2
	s_addc_u32 s27, s23, s3
	;; [unrolled: 2-line block ×3, first 2 shown]
	s_ashr_i32 s15, s14, 31
	s_delay_alu instid0(SALU_CYCLE_1) | instskip(NEXT) | instid1(SALU_CYCLE_1)
	s_lshl_b64 s[8:9], s[14:15], 3
	s_add_u32 s2, s30, s8
	s_addc_u32 s3, s31, s9
	s_load_b64 s[2:3], s[2:3], 0x0
	s_waitcnt lgkmcnt(0)
	v_cmp_lt_f64_e64 s2, s[2:3], 0
	s_delay_alu instid0(VALU_DEP_1)
	s_and_b32 s1, s2, exec_lo
	s_cselect_b32 s21, s0, 0x3ff00000
	s_add_u32 s2, s33, s8
	s_addc_u32 s3, s34, s9
	s_add_u32 s4, s18, s8
	s_addc_u32 s5, s19, s9
	s_lshl_b64 s[0:1], s[14:15], 2
	s_delay_alu instid0(SALU_CYCLE_1)
	s_add_u32 s6, s16, s0
	s_addc_u32 s7, s17, s1
	s_add_u32 s18, s28, s0
	s_addc_u32 s19, s29, s1
	s_and_b32 s37, s20, 0xffff
	s_load_b64 s[16:17], s[2:3], 0x0
	s_lshl_b32 s38, s37, 3
	s_clause 0x1
	s_load_b32 s39, s[6:7], 0x0
	s_load_b32 s15, s[18:19], 0x0
	v_cvt_f32_u32_e32 v1, s38
	s_mov_b32 s20, 0
	s_sub_i32 s3, 0, s38
	s_load_b64 s[18:19], s[4:5], 0x0
	s_delay_alu instid0(VALU_DEP_1)
	v_rcp_iflag_f32_e32 v1, v1
	s_waitcnt_depctr 0xfff
	v_mul_f32_e32 v1, 0x4f7ffffe, v1
	s_waitcnt lgkmcnt(0)
	v_mul_f64 v[25:26], s[16:17], s[20:21]
	s_add_i32 s6, s39, -1
	s_delay_alu instid0(VALU_DEP_2) | instskip(SKIP_2) | instid1(VALU_DEP_1)
	v_cvt_u32_f32_e32 v1, v1
	s_abs_i32 s7, s6
	s_ashr_i32 s4, s6, 31
	v_readfirstlane_b32 s2, v1
	v_mov_b32_e32 v1, 0
	s_delay_alu instid0(VALU_DEP_2) | instskip(NEXT) | instid1(SALU_CYCLE_1)
	s_mul_i32 s3, s3, s2
	s_mul_hi_u32 s3, s2, s3
	s_delay_alu instid0(SALU_CYCLE_1) | instskip(NEXT) | instid1(SALU_CYCLE_1)
	s_add_i32 s2, s2, s3
	s_mul_hi_u32 s2, s7, s2
	s_delay_alu instid0(SALU_CYCLE_1) | instskip(SKIP_2) | instid1(SALU_CYCLE_1)
	s_mul_i32 s3, s2, s38
	s_add_i32 s5, s2, 1
	s_sub_i32 s3, s7, s3
	s_sub_i32 s6, s3, s38
	s_cmp_ge_u32 s3, s38
	s_cselect_b32 s2, s5, s2
	s_cselect_b32 s3, s6, s3
	s_add_i32 s5, s2, 1
	s_cmp_ge_u32 s3, s38
	s_cselect_b32 s2, s5, s2
	s_delay_alu instid0(SALU_CYCLE_1) | instskip(NEXT) | instid1(SALU_CYCLE_1)
	s_xor_b32 s2, s2, s4
	s_sub_i32 s3, s2, s4
	s_mov_b32 s2, -1
	s_cmp_lt_i32 s3, 0
	s_cbranch_scc1 .LBB95_68
; %bb.1:
	s_add_u32 s0, s35, s0
	s_addc_u32 s1, s36, s1
	v_dual_mov_b32 v28, 0 :: v_dual_mov_b32 v29, v0
	s_load_b32 s40, s[0:1], 0x0
	s_lshl_b32 s0, s37, 1
	s_mul_i32 s1, s37, 3
	s_add_i32 s42, s15, s0
	s_add_i32 s43, s15, s1
	s_lshl_b32 s0, s37, 2
	s_mul_i32 s1, s37, 5
	v_dual_mov_b32 v30, 0 :: v_dual_mov_b32 v27, 0
	v_mov_b32_e32 v31, 0
	s_add_i32 s44, s15, s0
	s_add_i32 s45, s15, s1
	s_mul_i32 s0, s37, 6
	s_mul_i32 s1, s37, 7
	s_add_i32 s41, s3, 1
	s_add_i32 s46, s15, s0
	;; [unrolled: 1-line block ×4, first 2 shown]
                                        ; implicit-def: $vgpr1_vgpr2_vgpr3_vgpr4_vgpr5_vgpr6_vgpr7_vgpr8_vgpr9_vgpr10_vgpr11_vgpr12_vgpr13_vgpr14_vgpr15_vgpr16
                                        ; implicit-def: $vgpr17_vgpr18_vgpr19_vgpr20_vgpr21_vgpr22_vgpr23_vgpr24
	s_branch .LBB95_4
.LBB95_2:                               ;   in Loop: Header=BB95_4 Depth=1
	s_or_b32 exec_lo, exec_lo, s3
	v_cmp_u_f64_e32 vcc_lo, v[15:16], v[15:16]
	v_cndmask_b32_e64 v32, 0, 1, s2
	v_cndmask_b32_e64 v33, 0, 1, s0
	s_delay_alu instid0(VALU_DEP_2) | instskip(NEXT) | instid1(VALU_DEP_2)
	v_add_nc_u32_e32 v30, v30, v32
	v_add_nc_u32_e32 v31, v31, v33
	v_add_co_ci_u32_e32 v28, vcc_lo, 0, v28, vcc_lo
	v_cmp_lt_i32_e32 vcc_lo, 0, v24
	v_add_co_ci_u32_e32 v27, vcc_lo, 0, v27, vcc_lo
.LBB95_3:                               ;   in Loop: Header=BB95_4 Depth=1
	s_or_b32 exec_lo, exec_lo, s1
	v_add_nc_u32_e32 v29, s38, v29
	s_add_i32 s41, s41, -1
	s_delay_alu instid0(SALU_CYCLE_1)
	s_cmp_eq_u32 s41, 0
	s_cbranch_scc1 .LBB95_67
.LBB95_4:                               ; =>This Inner Loop Header: Depth=1
	s_delay_alu instid0(VALU_DEP_1) | instskip(NEXT) | instid1(VALU_DEP_1)
	v_cmp_gt_i32_e64 s6, s39, v29
	s_and_saveexec_b32 s0, s6
	s_cbranch_execz .LBB95_6
; %bb.5:                                ;   in Loop: Header=BB95_4 Depth=1
	v_add_nc_u32_e32 v1, s15, v29
	s_delay_alu instid0(VALU_DEP_1) | instskip(NEXT) | instid1(VALU_DEP_1)
	v_ashrrev_i32_e32 v2, 31, v1
	v_lshlrev_b64 v[32:33], 3, v[1:2]
	v_lshlrev_b64 v[1:2], 2, v[1:2]
	s_delay_alu instid0(VALU_DEP_2) | instskip(NEXT) | instid1(VALU_DEP_3)
	v_add_co_u32 v32, vcc_lo, s33, v32
	v_add_co_ci_u32_e32 v33, vcc_lo, s34, v33, vcc_lo
	s_delay_alu instid0(VALU_DEP_3) | instskip(NEXT) | instid1(VALU_DEP_4)
	v_add_co_u32 v1, vcc_lo, s35, v1
	v_add_co_ci_u32_e32 v2, vcc_lo, s36, v2, vcc_lo
	global_load_b64 v[32:33], v[32:33], off
	global_load_b32 v17, v[1:2], off
	s_waitcnt vmcnt(1)
	v_mul_f64 v[1:2], s[20:21], v[32:33]
.LBB95_6:                               ;   in Loop: Header=BB95_4 Depth=1
	s_or_b32 exec_lo, exec_lo, s0
	v_add_nc_u32_e32 v32, s37, v29
	s_delay_alu instid0(VALU_DEP_1) | instskip(NEXT) | instid1(VALU_DEP_1)
	v_cmp_gt_i32_e64 s5, s39, v32
	s_and_saveexec_b32 s0, s5
	s_cbranch_execz .LBB95_8
; %bb.7:                                ;   in Loop: Header=BB95_4 Depth=1
	v_add_nc_u32_e32 v3, s48, v29
	s_delay_alu instid0(VALU_DEP_1) | instskip(NEXT) | instid1(VALU_DEP_1)
	v_ashrrev_i32_e32 v4, 31, v3
	v_lshlrev_b64 v[33:34], 3, v[3:4]
	v_lshlrev_b64 v[3:4], 2, v[3:4]
	s_delay_alu instid0(VALU_DEP_2) | instskip(NEXT) | instid1(VALU_DEP_3)
	v_add_co_u32 v33, vcc_lo, s33, v33
	v_add_co_ci_u32_e32 v34, vcc_lo, s34, v34, vcc_lo
	s_delay_alu instid0(VALU_DEP_3) | instskip(NEXT) | instid1(VALU_DEP_4)
	v_add_co_u32 v3, vcc_lo, s35, v3
	v_add_co_ci_u32_e32 v4, vcc_lo, s36, v4, vcc_lo
	global_load_b64 v[33:34], v[33:34], off
	global_load_b32 v18, v[3:4], off
	s_waitcnt vmcnt(1)
	v_mul_f64 v[3:4], s[20:21], v[33:34]
.LBB95_8:                               ;   in Loop: Header=BB95_4 Depth=1
	s_or_b32 exec_lo, exec_lo, s0
	v_add_nc_u32_e32 v32, s37, v32
	s_delay_alu instid0(VALU_DEP_1) | instskip(NEXT) | instid1(VALU_DEP_1)
	v_cmp_gt_i32_e64 s4, s39, v32
	s_and_saveexec_b32 s0, s4
	s_cbranch_execz .LBB95_10
; %bb.9:                                ;   in Loop: Header=BB95_4 Depth=1
	v_add_nc_u32_e32 v5, s42, v29
	s_delay_alu instid0(VALU_DEP_1) | instskip(NEXT) | instid1(VALU_DEP_1)
	v_ashrrev_i32_e32 v6, 31, v5
	v_lshlrev_b64 v[33:34], 3, v[5:6]
	v_lshlrev_b64 v[5:6], 2, v[5:6]
	s_delay_alu instid0(VALU_DEP_2) | instskip(NEXT) | instid1(VALU_DEP_3)
	v_add_co_u32 v33, vcc_lo, s33, v33
	v_add_co_ci_u32_e32 v34, vcc_lo, s34, v34, vcc_lo
	s_delay_alu instid0(VALU_DEP_3) | instskip(NEXT) | instid1(VALU_DEP_4)
	v_add_co_u32 v5, vcc_lo, s35, v5
	v_add_co_ci_u32_e32 v6, vcc_lo, s36, v6, vcc_lo
	global_load_b64 v[33:34], v[33:34], off
	global_load_b32 v19, v[5:6], off
	s_waitcnt vmcnt(1)
	v_mul_f64 v[5:6], s[20:21], v[33:34]
.LBB95_10:                              ;   in Loop: Header=BB95_4 Depth=1
	s_or_b32 exec_lo, exec_lo, s0
	v_add_nc_u32_e32 v32, s37, v32
	s_delay_alu instid0(VALU_DEP_1) | instskip(NEXT) | instid1(VALU_DEP_1)
	v_cmp_gt_i32_e64 s3, s39, v32
	s_and_saveexec_b32 s0, s3
	s_cbranch_execz .LBB95_12
; %bb.11:                               ;   in Loop: Header=BB95_4 Depth=1
	v_add_nc_u32_e32 v7, s43, v29
	s_delay_alu instid0(VALU_DEP_1) | instskip(NEXT) | instid1(VALU_DEP_1)
	v_ashrrev_i32_e32 v8, 31, v7
	v_lshlrev_b64 v[33:34], 3, v[7:8]
	v_lshlrev_b64 v[7:8], 2, v[7:8]
	s_delay_alu instid0(VALU_DEP_2) | instskip(NEXT) | instid1(VALU_DEP_3)
	v_add_co_u32 v33, vcc_lo, s33, v33
	v_add_co_ci_u32_e32 v34, vcc_lo, s34, v34, vcc_lo
	s_delay_alu instid0(VALU_DEP_3) | instskip(NEXT) | instid1(VALU_DEP_4)
	v_add_co_u32 v7, vcc_lo, s35, v7
	v_add_co_ci_u32_e32 v8, vcc_lo, s36, v8, vcc_lo
	global_load_b64 v[33:34], v[33:34], off
	global_load_b32 v20, v[7:8], off
	s_waitcnt vmcnt(1)
	v_mul_f64 v[7:8], s[20:21], v[33:34]
.LBB95_12:                              ;   in Loop: Header=BB95_4 Depth=1
	s_or_b32 exec_lo, exec_lo, s0
	v_add_nc_u32_e32 v32, s37, v32
	s_delay_alu instid0(VALU_DEP_1) | instskip(NEXT) | instid1(VALU_DEP_1)
	v_cmp_gt_i32_e64 s2, s39, v32
	s_and_saveexec_b32 s0, s2
	s_cbranch_execz .LBB95_14
; %bb.13:                               ;   in Loop: Header=BB95_4 Depth=1
	v_add_nc_u32_e32 v9, s44, v29
	s_delay_alu instid0(VALU_DEP_1) | instskip(NEXT) | instid1(VALU_DEP_1)
	v_ashrrev_i32_e32 v10, 31, v9
	v_lshlrev_b64 v[33:34], 3, v[9:10]
	v_lshlrev_b64 v[9:10], 2, v[9:10]
	s_delay_alu instid0(VALU_DEP_2) | instskip(NEXT) | instid1(VALU_DEP_3)
	v_add_co_u32 v33, vcc_lo, s33, v33
	v_add_co_ci_u32_e32 v34, vcc_lo, s34, v34, vcc_lo
	s_delay_alu instid0(VALU_DEP_3) | instskip(NEXT) | instid1(VALU_DEP_4)
	v_add_co_u32 v9, vcc_lo, s35, v9
	v_add_co_ci_u32_e32 v10, vcc_lo, s36, v10, vcc_lo
	global_load_b64 v[33:34], v[33:34], off
	global_load_b32 v21, v[9:10], off
	s_waitcnt vmcnt(1)
	v_mul_f64 v[9:10], s[20:21], v[33:34]
.LBB95_14:                              ;   in Loop: Header=BB95_4 Depth=1
	;; [unrolled: 23-line block ×4, first 2 shown]
	s_or_b32 exec_lo, exec_lo, s7
	v_add_nc_u32_e32 v32, s37, v32
	s_delay_alu instid0(VALU_DEP_1)
	v_cmp_gt_i32_e32 vcc_lo, s39, v32
	s_and_saveexec_b32 s49, vcc_lo
	s_cbranch_execnz .LBB95_27
; %bb.19:                               ;   in Loop: Header=BB95_4 Depth=1
	s_or_b32 exec_lo, exec_lo, s49
	s_and_saveexec_b32 s49, s6
	s_cbranch_execnz .LBB95_28
.LBB95_20:                              ;   in Loop: Header=BB95_4 Depth=1
	s_or_b32 exec_lo, exec_lo, s49
	s_and_saveexec_b32 s7, s5
	s_cbranch_execnz .LBB95_33
.LBB95_21:                              ;   in Loop: Header=BB95_4 Depth=1
	s_or_b32 exec_lo, exec_lo, s7
	s_and_saveexec_b32 s6, s4
	s_cbranch_execnz .LBB95_38
.LBB95_22:                              ;   in Loop: Header=BB95_4 Depth=1
	s_or_b32 exec_lo, exec_lo, s6
	s_and_saveexec_b32 s5, s3
	s_cbranch_execnz .LBB95_43
.LBB95_23:                              ;   in Loop: Header=BB95_4 Depth=1
	s_or_b32 exec_lo, exec_lo, s5
	s_and_saveexec_b32 s4, s2
	s_cbranch_execnz .LBB95_48
.LBB95_24:                              ;   in Loop: Header=BB95_4 Depth=1
	s_or_b32 exec_lo, exec_lo, s4
	s_and_saveexec_b32 s3, s1
	s_cbranch_execnz .LBB95_53
.LBB95_25:                              ;   in Loop: Header=BB95_4 Depth=1
	s_or_b32 exec_lo, exec_lo, s3
	s_and_saveexec_b32 s2, s0
	s_cbranch_execnz .LBB95_58
.LBB95_26:                              ;   in Loop: Header=BB95_4 Depth=1
	s_or_b32 exec_lo, exec_lo, s2
	s_and_saveexec_b32 s1, vcc_lo
	s_cbranch_execz .LBB95_3
	s_branch .LBB95_63
.LBB95_27:                              ;   in Loop: Header=BB95_4 Depth=1
	v_add_nc_u32_e32 v15, s47, v29
	s_delay_alu instid0(VALU_DEP_1) | instskip(NEXT) | instid1(VALU_DEP_1)
	v_ashrrev_i32_e32 v16, 31, v15
	v_lshlrev_b64 v[32:33], 3, v[15:16]
	v_lshlrev_b64 v[15:16], 2, v[15:16]
	s_delay_alu instid0(VALU_DEP_2) | instskip(NEXT) | instid1(VALU_DEP_1)
	v_add_co_u32 v32, s7, s33, v32
	v_add_co_ci_u32_e64 v33, s7, s34, v33, s7
	s_delay_alu instid0(VALU_DEP_3) | instskip(NEXT) | instid1(VALU_DEP_1)
	v_add_co_u32 v15, s7, s35, v15
	v_add_co_ci_u32_e64 v16, s7, s36, v16, s7
	global_load_b64 v[32:33], v[32:33], off
	global_load_b32 v24, v[15:16], off
	s_waitcnt vmcnt(1)
	v_mul_f64 v[15:16], s[20:21], v[32:33]
	s_or_b32 exec_lo, exec_lo, s49
	s_and_saveexec_b32 s49, s6
	s_cbranch_execz .LBB95_20
.LBB95_28:                              ;   in Loop: Header=BB95_4 Depth=1
	s_mov_b32 s50, -1
	s_mov_b32 s51, exec_lo
	s_waitcnt vmcnt(0) lgkmcnt(0)
	v_cmpx_ge_i32_e64 s40, v17
; %bb.29:                               ;   in Loop: Header=BB95_4 Depth=1
	v_cmp_lt_f64_e64 s6, v[1:2], v[25:26]
	v_cmp_eq_u32_e64 s7, s40, v17
	s_delay_alu instid0(VALU_DEP_1) | instskip(NEXT) | instid1(SALU_CYCLE_1)
	s_and_b32 s6, s7, s6
	s_or_not1_b32 s50, s6, exec_lo
; %bb.30:                               ;   in Loop: Header=BB95_4 Depth=1
	s_or_b32 exec_lo, exec_lo, s51
	v_cmp_eq_f64_e64 s6, v[1:2], v[25:26]
	v_cmp_eq_u32_e64 s7, s40, v17
	s_delay_alu instid0(VALU_DEP_1)
	s_and_b32 s6, s7, s6
	s_mov_b32 s7, 0
	s_and_saveexec_b32 s51, s6
; %bb.31:                               ;   in Loop: Header=BB95_4 Depth=1
	v_add_nc_u32_e32 v32, s15, v29
	s_delay_alu instid0(VALU_DEP_1) | instskip(NEXT) | instid1(VALU_DEP_1)
	v_cmp_gt_i32_e64 s6, s14, v32
	s_and_b32 s7, s6, exec_lo
; %bb.32:                               ;   in Loop: Header=BB95_4 Depth=1
	s_or_b32 exec_lo, exec_lo, s51
	v_cmp_u_f64_e64 s6, v[1:2], v[1:2]
	v_cndmask_b32_e64 v32, 0, 1, s50
	v_cndmask_b32_e64 v33, 0, 1, s7
	s_delay_alu instid0(VALU_DEP_2) | instskip(NEXT) | instid1(VALU_DEP_2)
	v_add_nc_u32_e32 v30, v30, v32
	v_add_nc_u32_e32 v31, v31, v33
	v_add_co_ci_u32_e64 v28, s6, 0, v28, s6
	v_cmp_lt_i32_e64 s6, 0, v17
	s_delay_alu instid0(VALU_DEP_1)
	v_add_co_ci_u32_e64 v27, s6, 0, v27, s6
	s_or_b32 exec_lo, exec_lo, s49
	s_and_saveexec_b32 s7, s5
	s_cbranch_execz .LBB95_21
.LBB95_33:                              ;   in Loop: Header=BB95_4 Depth=1
	s_mov_b32 s49, -1
	s_mov_b32 s50, exec_lo
	s_waitcnt vmcnt(0) lgkmcnt(0)
	v_cmpx_ge_i32_e64 s40, v18
; %bb.34:                               ;   in Loop: Header=BB95_4 Depth=1
	v_cmp_lt_f64_e64 s5, v[3:4], v[25:26]
	v_cmp_eq_u32_e64 s6, s40, v18
	s_delay_alu instid0(VALU_DEP_1) | instskip(NEXT) | instid1(SALU_CYCLE_1)
	s_and_b32 s5, s6, s5
	s_or_not1_b32 s49, s5, exec_lo
; %bb.35:                               ;   in Loop: Header=BB95_4 Depth=1
	s_or_b32 exec_lo, exec_lo, s50
	v_cmp_eq_f64_e64 s5, v[3:4], v[25:26]
	v_cmp_eq_u32_e64 s6, s40, v18
	s_delay_alu instid0(VALU_DEP_1)
	s_and_b32 s5, s6, s5
	s_mov_b32 s6, 0
	s_and_saveexec_b32 s50, s5
; %bb.36:                               ;   in Loop: Header=BB95_4 Depth=1
	v_add_nc_u32_e32 v32, s48, v29
	s_delay_alu instid0(VALU_DEP_1) | instskip(NEXT) | instid1(VALU_DEP_1)
	v_cmp_gt_i32_e64 s5, s14, v32
	s_and_b32 s6, s5, exec_lo
; %bb.37:                               ;   in Loop: Header=BB95_4 Depth=1
	s_or_b32 exec_lo, exec_lo, s50
	v_cmp_u_f64_e64 s5, v[3:4], v[3:4]
	v_cndmask_b32_e64 v32, 0, 1, s49
	v_cndmask_b32_e64 v33, 0, 1, s6
	s_delay_alu instid0(VALU_DEP_2) | instskip(NEXT) | instid1(VALU_DEP_2)
	v_add_nc_u32_e32 v30, v30, v32
	v_add_nc_u32_e32 v31, v31, v33
	v_add_co_ci_u32_e64 v28, s5, 0, v28, s5
	v_cmp_lt_i32_e64 s5, 0, v18
	s_delay_alu instid0(VALU_DEP_1)
	v_add_co_ci_u32_e64 v27, s5, 0, v27, s5
	s_or_b32 exec_lo, exec_lo, s7
	s_and_saveexec_b32 s6, s4
	s_cbranch_execz .LBB95_22
.LBB95_38:                              ;   in Loop: Header=BB95_4 Depth=1
	s_mov_b32 s7, -1
	s_mov_b32 s49, exec_lo
	s_waitcnt vmcnt(0) lgkmcnt(0)
	v_cmpx_ge_i32_e64 s40, v19
; %bb.39:                               ;   in Loop: Header=BB95_4 Depth=1
	v_cmp_lt_f64_e64 s4, v[5:6], v[25:26]
	v_cmp_eq_u32_e64 s5, s40, v19
	s_delay_alu instid0(VALU_DEP_1) | instskip(NEXT) | instid1(SALU_CYCLE_1)
	s_and_b32 s4, s5, s4
	s_or_not1_b32 s7, s4, exec_lo
; %bb.40:                               ;   in Loop: Header=BB95_4 Depth=1
	s_or_b32 exec_lo, exec_lo, s49
	v_cmp_eq_f64_e64 s4, v[5:6], v[25:26]
	v_cmp_eq_u32_e64 s5, s40, v19
	s_delay_alu instid0(VALU_DEP_1)
	s_and_b32 s4, s5, s4
	s_mov_b32 s5, 0
	s_and_saveexec_b32 s49, s4
; %bb.41:                               ;   in Loop: Header=BB95_4 Depth=1
	v_add_nc_u32_e32 v32, s42, v29
	s_delay_alu instid0(VALU_DEP_1) | instskip(NEXT) | instid1(VALU_DEP_1)
	v_cmp_gt_i32_e64 s4, s14, v32
	s_and_b32 s5, s4, exec_lo
; %bb.42:                               ;   in Loop: Header=BB95_4 Depth=1
	s_or_b32 exec_lo, exec_lo, s49
	v_cmp_u_f64_e64 s4, v[5:6], v[5:6]
	v_cndmask_b32_e64 v32, 0, 1, s7
	v_cndmask_b32_e64 v33, 0, 1, s5
	s_delay_alu instid0(VALU_DEP_2) | instskip(NEXT) | instid1(VALU_DEP_2)
	v_add_nc_u32_e32 v30, v30, v32
	v_add_nc_u32_e32 v31, v31, v33
	v_add_co_ci_u32_e64 v28, s4, 0, v28, s4
	v_cmp_lt_i32_e64 s4, 0, v19
	s_delay_alu instid0(VALU_DEP_1)
	v_add_co_ci_u32_e64 v27, s4, 0, v27, s4
	s_or_b32 exec_lo, exec_lo, s6
	s_and_saveexec_b32 s5, s3
	s_cbranch_execz .LBB95_23
.LBB95_43:                              ;   in Loop: Header=BB95_4 Depth=1
	s_mov_b32 s6, -1
	s_mov_b32 s7, exec_lo
	s_waitcnt vmcnt(0) lgkmcnt(0)
	v_cmpx_ge_i32_e64 s40, v20
; %bb.44:                               ;   in Loop: Header=BB95_4 Depth=1
	v_cmp_lt_f64_e64 s3, v[7:8], v[25:26]
	v_cmp_eq_u32_e64 s4, s40, v20
	s_delay_alu instid0(VALU_DEP_1) | instskip(NEXT) | instid1(SALU_CYCLE_1)
	s_and_b32 s3, s4, s3
	s_or_not1_b32 s6, s3, exec_lo
; %bb.45:                               ;   in Loop: Header=BB95_4 Depth=1
	s_or_b32 exec_lo, exec_lo, s7
	v_cmp_eq_f64_e64 s3, v[7:8], v[25:26]
	v_cmp_eq_u32_e64 s4, s40, v20
	s_delay_alu instid0(VALU_DEP_1)
	s_and_b32 s3, s4, s3
	s_mov_b32 s4, 0
	s_and_saveexec_b32 s7, s3
; %bb.46:                               ;   in Loop: Header=BB95_4 Depth=1
	v_add_nc_u32_e32 v32, s43, v29
	s_delay_alu instid0(VALU_DEP_1) | instskip(NEXT) | instid1(VALU_DEP_1)
	v_cmp_gt_i32_e64 s3, s14, v32
	s_and_b32 s4, s3, exec_lo
; %bb.47:                               ;   in Loop: Header=BB95_4 Depth=1
	s_or_b32 exec_lo, exec_lo, s7
	v_cmp_u_f64_e64 s3, v[7:8], v[7:8]
	v_cndmask_b32_e64 v32, 0, 1, s6
	v_cndmask_b32_e64 v33, 0, 1, s4
	s_delay_alu instid0(VALU_DEP_2) | instskip(NEXT) | instid1(VALU_DEP_2)
	v_add_nc_u32_e32 v30, v30, v32
	v_add_nc_u32_e32 v31, v31, v33
	v_add_co_ci_u32_e64 v28, s3, 0, v28, s3
	v_cmp_lt_i32_e64 s3, 0, v20
	s_delay_alu instid0(VALU_DEP_1)
	v_add_co_ci_u32_e64 v27, s3, 0, v27, s3
	s_or_b32 exec_lo, exec_lo, s5
	s_and_saveexec_b32 s4, s2
	s_cbranch_execz .LBB95_24
.LBB95_48:                              ;   in Loop: Header=BB95_4 Depth=1
	s_mov_b32 s5, -1
	s_mov_b32 s6, exec_lo
	s_waitcnt vmcnt(0) lgkmcnt(0)
	v_cmpx_ge_i32_e64 s40, v21
; %bb.49:                               ;   in Loop: Header=BB95_4 Depth=1
	v_cmp_lt_f64_e64 s2, v[9:10], v[25:26]
	v_cmp_eq_u32_e64 s3, s40, v21
	s_delay_alu instid0(VALU_DEP_1) | instskip(NEXT) | instid1(SALU_CYCLE_1)
	s_and_b32 s2, s3, s2
	s_or_not1_b32 s5, s2, exec_lo
; %bb.50:                               ;   in Loop: Header=BB95_4 Depth=1
	s_or_b32 exec_lo, exec_lo, s6
	v_cmp_eq_f64_e64 s2, v[9:10], v[25:26]
	v_cmp_eq_u32_e64 s3, s40, v21
	s_delay_alu instid0(VALU_DEP_1)
	s_and_b32 s2, s3, s2
	s_mov_b32 s3, 0
	s_and_saveexec_b32 s6, s2
; %bb.51:                               ;   in Loop: Header=BB95_4 Depth=1
	v_add_nc_u32_e32 v32, s44, v29
	s_delay_alu instid0(VALU_DEP_1) | instskip(NEXT) | instid1(VALU_DEP_1)
	v_cmp_gt_i32_e64 s2, s14, v32
	s_and_b32 s3, s2, exec_lo
; %bb.52:                               ;   in Loop: Header=BB95_4 Depth=1
	s_or_b32 exec_lo, exec_lo, s6
	v_cmp_u_f64_e64 s2, v[9:10], v[9:10]
	v_cndmask_b32_e64 v32, 0, 1, s5
	v_cndmask_b32_e64 v33, 0, 1, s3
	s_delay_alu instid0(VALU_DEP_2) | instskip(NEXT) | instid1(VALU_DEP_2)
	v_add_nc_u32_e32 v30, v30, v32
	v_add_nc_u32_e32 v31, v31, v33
	v_add_co_ci_u32_e64 v28, s2, 0, v28, s2
	v_cmp_lt_i32_e64 s2, 0, v21
	s_delay_alu instid0(VALU_DEP_1)
	v_add_co_ci_u32_e64 v27, s2, 0, v27, s2
	s_or_b32 exec_lo, exec_lo, s4
	s_and_saveexec_b32 s3, s1
	s_cbranch_execz .LBB95_25
.LBB95_53:                              ;   in Loop: Header=BB95_4 Depth=1
	s_mov_b32 s4, -1
	s_mov_b32 s5, exec_lo
	s_waitcnt vmcnt(0) lgkmcnt(0)
	v_cmpx_ge_i32_e64 s40, v22
; %bb.54:                               ;   in Loop: Header=BB95_4 Depth=1
	v_cmp_lt_f64_e64 s1, v[11:12], v[25:26]
	v_cmp_eq_u32_e64 s2, s40, v22
	s_delay_alu instid0(VALU_DEP_1) | instskip(NEXT) | instid1(SALU_CYCLE_1)
	s_and_b32 s1, s2, s1
	s_or_not1_b32 s4, s1, exec_lo
; %bb.55:                               ;   in Loop: Header=BB95_4 Depth=1
	s_or_b32 exec_lo, exec_lo, s5
	v_cmp_eq_f64_e64 s1, v[11:12], v[25:26]
	v_cmp_eq_u32_e64 s2, s40, v22
	s_delay_alu instid0(VALU_DEP_1)
	s_and_b32 s1, s2, s1
	s_mov_b32 s2, 0
	s_and_saveexec_b32 s5, s1
; %bb.56:                               ;   in Loop: Header=BB95_4 Depth=1
	v_add_nc_u32_e32 v32, s45, v29
	s_delay_alu instid0(VALU_DEP_1) | instskip(NEXT) | instid1(VALU_DEP_1)
	v_cmp_gt_i32_e64 s1, s14, v32
	s_and_b32 s2, s1, exec_lo
; %bb.57:                               ;   in Loop: Header=BB95_4 Depth=1
	s_or_b32 exec_lo, exec_lo, s5
	v_cmp_u_f64_e64 s1, v[11:12], v[11:12]
	v_cndmask_b32_e64 v32, 0, 1, s4
	v_cndmask_b32_e64 v33, 0, 1, s2
	s_delay_alu instid0(VALU_DEP_2) | instskip(NEXT) | instid1(VALU_DEP_2)
	v_add_nc_u32_e32 v30, v30, v32
	v_add_nc_u32_e32 v31, v31, v33
	v_add_co_ci_u32_e64 v28, s1, 0, v28, s1
	v_cmp_lt_i32_e64 s1, 0, v22
	s_delay_alu instid0(VALU_DEP_1)
	v_add_co_ci_u32_e64 v27, s1, 0, v27, s1
	s_or_b32 exec_lo, exec_lo, s3
	s_and_saveexec_b32 s2, s0
	s_cbranch_execz .LBB95_26
.LBB95_58:                              ;   in Loop: Header=BB95_4 Depth=1
	s_mov_b32 s3, -1
	s_mov_b32 s4, exec_lo
	s_waitcnt vmcnt(0) lgkmcnt(0)
	v_cmpx_ge_i32_e64 s40, v23
; %bb.59:                               ;   in Loop: Header=BB95_4 Depth=1
	s_delay_alu instid0(VALU_DEP_4) | instskip(SKIP_1) | instid1(VALU_DEP_1)
	v_cmp_lt_f64_e64 s0, v[13:14], v[25:26]
	v_cmp_eq_u32_e64 s1, s40, v23
	s_and_b32 s0, s1, s0
	s_delay_alu instid0(SALU_CYCLE_1)
	s_or_not1_b32 s3, s0, exec_lo
; %bb.60:                               ;   in Loop: Header=BB95_4 Depth=1
	s_or_b32 exec_lo, exec_lo, s4
	v_cmp_eq_f64_e64 s0, v[13:14], v[25:26]
	v_cmp_eq_u32_e64 s1, s40, v23
	s_delay_alu instid0(VALU_DEP_1)
	s_and_b32 s0, s1, s0
	s_mov_b32 s1, 0
	s_and_saveexec_b32 s4, s0
; %bb.61:                               ;   in Loop: Header=BB95_4 Depth=1
	v_add_nc_u32_e32 v32, s46, v29
	s_delay_alu instid0(VALU_DEP_1) | instskip(NEXT) | instid1(VALU_DEP_1)
	v_cmp_gt_i32_e64 s0, s14, v32
	s_and_b32 s1, s0, exec_lo
; %bb.62:                               ;   in Loop: Header=BB95_4 Depth=1
	s_or_b32 exec_lo, exec_lo, s4
	v_cmp_u_f64_e64 s0, v[13:14], v[13:14]
	v_cndmask_b32_e64 v32, 0, 1, s3
	v_cndmask_b32_e64 v33, 0, 1, s1
	s_delay_alu instid0(VALU_DEP_2) | instskip(NEXT) | instid1(VALU_DEP_2)
	v_add_nc_u32_e32 v30, v30, v32
	v_add_nc_u32_e32 v31, v31, v33
	v_add_co_ci_u32_e64 v28, s0, 0, v28, s0
	v_cmp_lt_i32_e64 s0, 0, v23
	s_delay_alu instid0(VALU_DEP_1)
	v_add_co_ci_u32_e64 v27, s0, 0, v27, s0
	s_or_b32 exec_lo, exec_lo, s2
	s_and_saveexec_b32 s1, vcc_lo
	s_cbranch_execz .LBB95_3
.LBB95_63:                              ;   in Loop: Header=BB95_4 Depth=1
	s_mov_b32 s2, -1
	s_mov_b32 s3, exec_lo
	s_waitcnt vmcnt(0) lgkmcnt(0)
	v_cmpx_ge_i32_e64 s40, v24
; %bb.64:                               ;   in Loop: Header=BB95_4 Depth=1
	s_delay_alu instid0(VALU_DEP_2) | instskip(SKIP_1) | instid1(VALU_DEP_1)
	v_cmp_lt_f64_e32 vcc_lo, v[15:16], v[25:26]
	v_cmp_eq_u32_e64 s0, s40, v24
	s_and_b32 s0, s0, vcc_lo
	s_delay_alu instid0(SALU_CYCLE_1)
	s_or_not1_b32 s2, s0, exec_lo
; %bb.65:                               ;   in Loop: Header=BB95_4 Depth=1
	s_or_b32 exec_lo, exec_lo, s3
	v_cmp_eq_f64_e32 vcc_lo, v[15:16], v[25:26]
	v_cmp_eq_u32_e64 s0, s40, v24
	s_delay_alu instid0(VALU_DEP_1)
	s_and_b32 s4, s0, vcc_lo
	s_mov_b32 s0, 0
	s_and_saveexec_b32 s3, s4
	s_cbranch_execz .LBB95_2
; %bb.66:                               ;   in Loop: Header=BB95_4 Depth=1
	v_add_nc_u32_e32 v32, s47, v29
	s_delay_alu instid0(VALU_DEP_1)
	v_cmp_gt_i32_e32 vcc_lo, s14, v32
	s_and_b32 s0, vcc_lo, exec_lo
	s_branch .LBB95_2
.LBB95_67:
	v_add_nc_u32_e32 v1, v30, v31
	v_cmp_eq_u32_e64 s2, 0, v28
.LBB95_68:
	v_lshlrev_b32_e32 v2, 2, v0
	s_cmp_lt_u32 s37, 2
	ds_store_2addr_stride64_b32 v2, v27, v1 offset1:8
	s_waitcnt vmcnt(0) lgkmcnt(0)
	s_barrier
	buffer_gl0_inv
	s_cbranch_scc1 .LBB95_73
; %bb.69:
	v_or_b32_e32 v3, 0x800, v2
	s_lshr_b32 s0, s37, 1
	s_mov_b32 s1, exec_lo
	v_cmpx_gt_u32_e64 s0, v0
	s_cbranch_execz .LBB95_71
	.p2align	6
.LBB95_70:
	s_lshl_b32 s3, s0, 2
	s_delay_alu instid0(SALU_CYCLE_1)
	v_add_nc_u32_e32 v4, s3, v3
	v_add_nc_u32_e32 v5, s3, v2
	ds_load_b32 v4, v4
	ds_load_b32 v5, v5
	s_waitcnt lgkmcnt(1)
	v_add_nc_u32_e32 v1, v4, v1
	s_waitcnt lgkmcnt(0)
	v_add_nc_u32_e32 v27, v5, v27
	ds_store_b32 v3, v1
	ds_store_b32 v2, v27
.LBB95_71:                              ; =>This Inner Loop Header: Depth=1
	s_or_b32 exec_lo, exec_lo, s1
	s_cmp_gt_u32 s37, 3
	s_waitcnt lgkmcnt(0)
	s_barrier
	buffer_gl0_inv
	s_cbranch_scc0 .LBB95_73
; %bb.72:                               ;   in Loop: Header=BB95_71 Depth=1
	s_mov_b32 s37, s0
	s_delay_alu instid0(SALU_CYCLE_1)
	s_lshr_b32 s0, s37, 1
	s_mov_b32 s1, exec_lo
	v_cmpx_gt_u32_e64 s0, v0
	s_cbranch_execnz .LBB95_70
	s_branch .LBB95_71
.LBB95_73:
	s_xor_b32 s0, s2, -1
	s_mov_b32 s1, exec_lo
	v_cmpx_eq_u32_e32 0, v0
	s_cbranch_execz .LBB95_75
; %bb.74:
	v_add_nc_u32_e32 v0, s15, v1
	v_dual_mov_b32 v10, s18 :: v_dual_mov_b32 v11, s19
	s_add_u32 s4, s28, s10
	s_addc_u32 s5, s29, s11
	s_delay_alu instid0(VALU_DEP_2)
	v_ashrrev_i32_e32 v1, 31, v0
	s_lshl_b64 s[2:3], s[12:13], 6
	v_mov_b32_e32 v14, s14
	s_sub_u32 s2, s30, s2
	s_subb_u32 s3, s31, s3
	v_lshlrev_b64 v[2:3], 2, v[0:1]
	v_lshlrev_b64 v[0:1], 3, v[0:1]
	v_dual_mov_b32 v12, s16 :: v_dual_mov_b32 v13, s17
	s_delay_alu instid0(VALU_DEP_3) | instskip(NEXT) | instid1(VALU_DEP_4)
	v_add_co_u32 v4, vcc_lo, s4, v2
	v_add_co_ci_u32_e32 v5, vcc_lo, s5, v3, vcc_lo
	v_add_co_u32 v2, vcc_lo, s24, v2
	v_add_co_ci_u32_e32 v3, vcc_lo, s25, v3, vcc_lo
	;; [unrolled: 2-line block ×5, first 2 shown]
	global_store_b32 v[4:5], v27, off
	global_store_b32 v[2:3], v14, off
	s_clause 0x2
	global_store_b64 v[6:7], v[25:26], off
	global_store_b64 v[8:9], v[10:11], off
	;; [unrolled: 1-line block ×3, first 2 shown]
.LBB95_75:
	s_or_b32 exec_lo, exec_lo, s1
	s_waitcnt_vscnt null, 0x0
	s_barrier
	buffer_gl0_inv
	s_and_saveexec_b32 s1, s0
	s_cbranch_execz .LBB95_77
; %bb.76:
	v_dual_mov_b32 v0, 0 :: v_dual_mov_b32 v1, 0x7ff80000
	s_add_u32 s0, s22, s8
	s_addc_u32 s1, s23, s9
	global_store_b64 v0, v[0:1], s[0:1]
.LBB95_77:
	s_nop 0
	s_sendmsg sendmsg(MSG_DEALLOC_VGPRS)
	s_endpgm
	.section	.rodata,"a",@progbits
	.p2align	6, 0x0
	.amdhsa_kernel _ZN9rocsolver6v33100L31stedc_mergeValues_SortDZ_kernelIdEEviiPT_lS3_Pi
		.amdhsa_group_segment_fixed_size 4096
		.amdhsa_private_segment_fixed_size 0
		.amdhsa_kernarg_size 296
		.amdhsa_user_sgpr_count 14
		.amdhsa_user_sgpr_dispatch_ptr 0
		.amdhsa_user_sgpr_queue_ptr 0
		.amdhsa_user_sgpr_kernarg_segment_ptr 1
		.amdhsa_user_sgpr_dispatch_id 0
		.amdhsa_user_sgpr_private_segment_size 0
		.amdhsa_wavefront_size32 1
		.amdhsa_uses_dynamic_stack 0
		.amdhsa_enable_private_segment 0
		.amdhsa_system_sgpr_workgroup_id_x 1
		.amdhsa_system_sgpr_workgroup_id_y 1
		.amdhsa_system_sgpr_workgroup_id_z 0
		.amdhsa_system_sgpr_workgroup_info 0
		.amdhsa_system_vgpr_workitem_id 0
		.amdhsa_next_free_vgpr 35
		.amdhsa_next_free_sgpr 52
		.amdhsa_reserve_vcc 1
		.amdhsa_float_round_mode_32 0
		.amdhsa_float_round_mode_16_64 0
		.amdhsa_float_denorm_mode_32 3
		.amdhsa_float_denorm_mode_16_64 3
		.amdhsa_dx10_clamp 1
		.amdhsa_ieee_mode 1
		.amdhsa_fp16_overflow 0
		.amdhsa_workgroup_processor_mode 1
		.amdhsa_memory_ordered 1
		.amdhsa_forward_progress 0
		.amdhsa_shared_vgpr_count 0
		.amdhsa_exception_fp_ieee_invalid_op 0
		.amdhsa_exception_fp_denorm_src 0
		.amdhsa_exception_fp_ieee_div_zero 0
		.amdhsa_exception_fp_ieee_overflow 0
		.amdhsa_exception_fp_ieee_underflow 0
		.amdhsa_exception_fp_ieee_inexact 0
		.amdhsa_exception_int_div_zero 0
	.end_amdhsa_kernel
	.section	.text._ZN9rocsolver6v33100L31stedc_mergeValues_SortDZ_kernelIdEEviiPT_lS3_Pi,"axG",@progbits,_ZN9rocsolver6v33100L31stedc_mergeValues_SortDZ_kernelIdEEviiPT_lS3_Pi,comdat
.Lfunc_end95:
	.size	_ZN9rocsolver6v33100L31stedc_mergeValues_SortDZ_kernelIdEEviiPT_lS3_Pi, .Lfunc_end95-_ZN9rocsolver6v33100L31stedc_mergeValues_SortDZ_kernelIdEEviiPT_lS3_Pi
                                        ; -- End function
	.section	.AMDGPU.csdata,"",@progbits
; Kernel info:
; codeLenInByte = 3616
; NumSgprs: 54
; NumVgprs: 35
; ScratchSize: 0
; MemoryBound: 0
; FloatMode: 240
; IeeeMode: 1
; LDSByteSize: 4096 bytes/workgroup (compile time only)
; SGPRBlocks: 6
; VGPRBlocks: 4
; NumSGPRsForWavesPerEU: 54
; NumVGPRsForWavesPerEU: 35
; Occupancy: 16
; WaveLimiterHint : 1
; COMPUTE_PGM_RSRC2:SCRATCH_EN: 0
; COMPUTE_PGM_RSRC2:USER_SGPR: 14
; COMPUTE_PGM_RSRC2:TRAP_HANDLER: 0
; COMPUTE_PGM_RSRC2:TGID_X_EN: 1
; COMPUTE_PGM_RSRC2:TGID_Y_EN: 1
; COMPUTE_PGM_RSRC2:TGID_Z_EN: 0
; COMPUTE_PGM_RSRC2:TIDIG_COMP_CNT: 0
	.section	.text._ZN9rocsolver6v33100L30stedc_mergeValues_copyD_kernelIdEEviiPT_lS3_S3_Pi,"axG",@progbits,_ZN9rocsolver6v33100L30stedc_mergeValues_copyD_kernelIdEEviiPT_lS3_S3_Pi,comdat
	.globl	_ZN9rocsolver6v33100L30stedc_mergeValues_copyD_kernelIdEEviiPT_lS3_S3_Pi ; -- Begin function _ZN9rocsolver6v33100L30stedc_mergeValues_copyD_kernelIdEEviiPT_lS3_S3_Pi
	.p2align	8
	.type	_ZN9rocsolver6v33100L30stedc_mergeValues_copyD_kernelIdEEviiPT_lS3_S3_Pi,@function
_ZN9rocsolver6v33100L30stedc_mergeValues_copyD_kernelIdEEviiPT_lS3_S3_Pi: ; @_ZN9rocsolver6v33100L30stedc_mergeValues_copyD_kernelIdEEviiPT_lS3_S3_Pi
; %bb.0:
	s_clause 0x3
	s_load_b32 s12, s[0:1], 0x4
	s_load_b64 s[18:19], s[0:1], 0x28
	s_load_b256 s[4:11], s[0:1], 0x8
	s_load_b32 s17, s[0:1], 0x3c
	s_mov_b32 s2, s15
	s_waitcnt lgkmcnt(0)
	s_mul_i32 s16, s15, s12
	s_delay_alu instid0(SALU_CYCLE_1) | instskip(NEXT) | instid1(SALU_CYCLE_1)
	s_mul_i32 s20, s16, 13
	s_ashr_i32 s21, s20, 31
	s_delay_alu instid0(SALU_CYCLE_1)
	s_lshl_b64 s[0:1], s[20:21], 2
	s_mul_i32 s20, s12, 7
	s_add_u32 s3, s18, s0
	s_addc_u32 s13, s19, s1
	s_ashr_i32 s21, s20, 31
	s_mul_i32 s18, s16, 10
	s_lshl_b64 s[0:1], s[20:21], 2
	s_delay_alu instid0(SALU_CYCLE_1)
	s_add_u32 s22, s3, s0
	s_addc_u32 s23, s13, s1
	s_ashr_i32 s19, s18, 31
	s_ashr_i32 s13, s12, 31
	s_lshl_b64 s[0:1], s[18:19], 3
	s_lshl_b64 s[18:19], s[12:13], 2
	s_add_u32 s3, s8, s0
	s_addc_u32 s8, s9, s1
	s_lshl_b64 s[0:1], s[20:21], 3
	s_delay_alu instid0(SALU_CYCLE_1) | instskip(SKIP_2) | instid1(SALU_CYCLE_1)
	s_add_u32 s3, s3, s0
	s_addc_u32 s8, s8, s1
	s_ashr_i32 s15, s14, 31
	s_lshl_b64 s[0:1], s[14:15], 2
	s_delay_alu instid0(SALU_CYCLE_1)
	s_add_u32 s0, s22, s0
	s_addc_u32 s1, s23, s1
	s_sub_u32 s18, s0, s18
	s_subb_u32 s19, s1, s19
	s_clause 0x1
	s_load_b32 s9, s[0:1], 0x0
	s_load_b32 s13, s[18:19], 0x0
	s_and_b32 s15, s17, 0xffff
	s_mov_b32 s0, exec_lo
	v_mad_u64_u32 v[1:2], null, s14, s15, v[0:1]
	s_delay_alu instid0(VALU_DEP_1)
	v_cmpx_gt_i32_e64 s12, v1
	s_cbranch_execz .LBB96_2
; %bb.1:
	v_ashrrev_i32_e32 v2, 31, v1
	s_mul_i32 s1, s12, 0xffffffd0
	s_mul_hi_i32 s17, s12, 0xffffffd0
	s_add_u32 s1, s3, s1
	s_addc_u32 s17, s8, s17
	v_lshlrev_b64 v[1:2], 3, v[1:2]
	s_delay_alu instid0(VALU_DEP_1) | instskip(NEXT) | instid1(VALU_DEP_2)
	v_add_co_u32 v3, vcc_lo, s1, v1
	v_add_co_ci_u32_e32 v4, vcc_lo, s17, v2, vcc_lo
	s_mul_i32 s1, s2, s7
	s_mul_hi_u32 s7, s2, s6
	s_ashr_i32 s17, s2, 31
	global_load_b64 v[3:4], v[3:4], off
	s_add_i32 s1, s7, s1
	s_mul_i32 s17, s17, s6
	s_mul_i32 s6, s2, s6
	s_add_i32 s7, s1, s17
	s_delay_alu instid0(SALU_CYCLE_1) | instskip(NEXT) | instid1(SALU_CYCLE_1)
	s_lshl_b64 s[6:7], s[6:7], 3
	s_add_u32 s1, s4, s6
	s_addc_u32 s2, s5, s7
	v_add_co_u32 v1, vcc_lo, s1, v1
	v_add_co_ci_u32_e32 v2, vcc_lo, s2, v2, vcc_lo
	s_waitcnt vmcnt(0)
	global_store_b64 v[1:2], v[3:4], off
.LBB96_2:
	s_or_b32 exec_lo, exec_lo, s0
	s_delay_alu instid0(SALU_CYCLE_1)
	s_mov_b32 s0, exec_lo
	s_waitcnt lgkmcnt(0)
	v_cmpx_gt_i32_e64 s9, v0
	s_cbranch_execz .LBB96_5
; %bb.3:
	s_mul_i32 s16, s16, s12
	s_mul_i32 s0, s12, s12
	s_lshl_b32 s4, s16, 1
	s_mov_b32 s1, 0
	s_ashr_i32 s5, s4, 31
	s_delay_alu instid0(SALU_CYCLE_1) | instskip(NEXT) | instid1(SALU_CYCLE_1)
	s_lshl_b64 s[4:5], s[4:5], 3
	s_add_u32 s2, s10, s4
	s_addc_u32 s6, s11, s5
	s_lshl_b64 s[4:5], s[0:1], 3
	s_delay_alu instid0(SALU_CYCLE_1)
	s_add_u32 s2, s2, s4
	s_addc_u32 s4, s6, s5
	s_mul_i32 s5, s14, s12
	.p2align	6
.LBB96_4:                               ; =>This Inner Loop Header: Depth=1
	v_add_nc_u32_e32 v1, s13, v0
	v_add_nc_u32_e32 v3, s5, v0
	;; [unrolled: 1-line block ×3, first 2 shown]
	s_delay_alu instid0(VALU_DEP_3) | instskip(NEXT) | instid1(VALU_DEP_3)
	v_ashrrev_i32_e32 v2, 31, v1
	v_ashrrev_i32_e32 v4, 31, v3
	s_delay_alu instid0(VALU_DEP_2) | instskip(NEXT) | instid1(VALU_DEP_2)
	v_lshlrev_b64 v[1:2], 3, v[1:2]
	v_lshlrev_b64 v[3:4], 3, v[3:4]
	s_delay_alu instid0(VALU_DEP_2) | instskip(NEXT) | instid1(VALU_DEP_3)
	v_add_co_u32 v1, vcc_lo, s3, v1
	v_add_co_ci_u32_e32 v2, vcc_lo, s8, v2, vcc_lo
	v_cmp_le_i32_e32 vcc_lo, s9, v0
	s_delay_alu instid0(VALU_DEP_4)
	v_add_co_u32 v3, s0, s2, v3
	global_load_b64 v[1:2], v[1:2], off
	v_add_co_ci_u32_e64 v4, s0, s4, v4, s0
	s_or_b32 s1, vcc_lo, s1
	s_waitcnt vmcnt(0)
	global_store_b64 v[3:4], v[1:2], off
	s_and_not1_b32 exec_lo, exec_lo, s1
	s_cbranch_execnz .LBB96_4
.LBB96_5:
	s_nop 0
	s_sendmsg sendmsg(MSG_DEALLOC_VGPRS)
	s_endpgm
	.section	.rodata,"a",@progbits
	.p2align	6, 0x0
	.amdhsa_kernel _ZN9rocsolver6v33100L30stedc_mergeValues_copyD_kernelIdEEviiPT_lS3_S3_Pi
		.amdhsa_group_segment_fixed_size 0
		.amdhsa_private_segment_fixed_size 0
		.amdhsa_kernarg_size 304
		.amdhsa_user_sgpr_count 14
		.amdhsa_user_sgpr_dispatch_ptr 0
		.amdhsa_user_sgpr_queue_ptr 0
		.amdhsa_user_sgpr_kernarg_segment_ptr 1
		.amdhsa_user_sgpr_dispatch_id 0
		.amdhsa_user_sgpr_private_segment_size 0
		.amdhsa_wavefront_size32 1
		.amdhsa_uses_dynamic_stack 0
		.amdhsa_enable_private_segment 0
		.amdhsa_system_sgpr_workgroup_id_x 1
		.amdhsa_system_sgpr_workgroup_id_y 1
		.amdhsa_system_sgpr_workgroup_id_z 0
		.amdhsa_system_sgpr_workgroup_info 0
		.amdhsa_system_vgpr_workitem_id 0
		.amdhsa_next_free_vgpr 5
		.amdhsa_next_free_sgpr 24
		.amdhsa_reserve_vcc 1
		.amdhsa_float_round_mode_32 0
		.amdhsa_float_round_mode_16_64 0
		.amdhsa_float_denorm_mode_32 3
		.amdhsa_float_denorm_mode_16_64 3
		.amdhsa_dx10_clamp 1
		.amdhsa_ieee_mode 1
		.amdhsa_fp16_overflow 0
		.amdhsa_workgroup_processor_mode 1
		.amdhsa_memory_ordered 1
		.amdhsa_forward_progress 0
		.amdhsa_shared_vgpr_count 0
		.amdhsa_exception_fp_ieee_invalid_op 0
		.amdhsa_exception_fp_denorm_src 0
		.amdhsa_exception_fp_ieee_div_zero 0
		.amdhsa_exception_fp_ieee_overflow 0
		.amdhsa_exception_fp_ieee_underflow 0
		.amdhsa_exception_fp_ieee_inexact 0
		.amdhsa_exception_int_div_zero 0
	.end_amdhsa_kernel
	.section	.text._ZN9rocsolver6v33100L30stedc_mergeValues_copyD_kernelIdEEviiPT_lS3_S3_Pi,"axG",@progbits,_ZN9rocsolver6v33100L30stedc_mergeValues_copyD_kernelIdEEviiPT_lS3_S3_Pi,comdat
.Lfunc_end96:
	.size	_ZN9rocsolver6v33100L30stedc_mergeValues_copyD_kernelIdEEviiPT_lS3_S3_Pi, .Lfunc_end96-_ZN9rocsolver6v33100L30stedc_mergeValues_copyD_kernelIdEEviiPT_lS3_S3_Pi
                                        ; -- End function
	.section	.AMDGPU.csdata,"",@progbits
; Kernel info:
; codeLenInByte = 568
; NumSgprs: 26
; NumVgprs: 5
; ScratchSize: 0
; MemoryBound: 0
; FloatMode: 240
; IeeeMode: 1
; LDSByteSize: 0 bytes/workgroup (compile time only)
; SGPRBlocks: 3
; VGPRBlocks: 0
; NumSGPRsForWavesPerEU: 26
; NumVGPRsForWavesPerEU: 5
; Occupancy: 16
; WaveLimiterHint : 1
; COMPUTE_PGM_RSRC2:SCRATCH_EN: 0
; COMPUTE_PGM_RSRC2:USER_SGPR: 14
; COMPUTE_PGM_RSRC2:TRAP_HANDLER: 0
; COMPUTE_PGM_RSRC2:TGID_X_EN: 1
; COMPUTE_PGM_RSRC2:TGID_Y_EN: 1
; COMPUTE_PGM_RSRC2:TGID_Z_EN: 0
; COMPUTE_PGM_RSRC2:TIDIG_COMP_CNT: 0
	.section	.text._ZN9rocsolver6v33100L11stedc_copyCIdPdS2_EEviT0_iilT1_iil,"axG",@progbits,_ZN9rocsolver6v33100L11stedc_copyCIdPdS2_EEviT0_iilT1_iil,comdat
	.globl	_ZN9rocsolver6v33100L11stedc_copyCIdPdS2_EEviT0_iilT1_iil ; -- Begin function _ZN9rocsolver6v33100L11stedc_copyCIdPdS2_EEviT0_iilT1_iil
	.p2align	8
	.type	_ZN9rocsolver6v33100L11stedc_copyCIdPdS2_EEviT0_iilT1_iil,@function
_ZN9rocsolver6v33100L11stedc_copyCIdPdS2_EEviT0_iilT1_iil: ; @_ZN9rocsolver6v33100L11stedc_copyCIdPdS2_EEviT0_iilT1_iil
; %bb.0:
	s_clause 0x1
	s_load_b32 s2, s[0:1], 0x44
	s_load_b32 s18, s[0:1], 0x0
	s_waitcnt lgkmcnt(0)
	s_and_b32 s16, s2, 0xffff
	s_add_i32 s4, s18, -1
	s_lshl_b32 s17, s16, 4
	s_abs_i32 s5, s4
	v_cvt_f32_u32_e32 v1, s17
	s_sub_i32 s3, 0, s17
	s_ashr_i32 s4, s4, 31
	s_delay_alu instid0(VALU_DEP_1) | instskip(SKIP_2) | instid1(VALU_DEP_1)
	v_rcp_iflag_f32_e32 v1, v1
	s_waitcnt_depctr 0xfff
	v_mul_f32_e32 v1, 0x4f7ffffe, v1
	v_cvt_u32_f32_e32 v1, v1
	s_delay_alu instid0(VALU_DEP_1) | instskip(NEXT) | instid1(VALU_DEP_1)
	v_readfirstlane_b32 s2, v1
	s_mul_i32 s3, s3, s2
	s_delay_alu instid0(SALU_CYCLE_1) | instskip(NEXT) | instid1(SALU_CYCLE_1)
	s_mul_hi_u32 s3, s2, s3
	s_add_i32 s2, s2, s3
	s_delay_alu instid0(SALU_CYCLE_1) | instskip(NEXT) | instid1(SALU_CYCLE_1)
	s_mul_hi_u32 s2, s5, s2
	s_mul_i32 s3, s2, s17
	s_delay_alu instid0(SALU_CYCLE_1)
	s_sub_i32 s3, s5, s3
	s_add_i32 s5, s2, 1
	s_sub_i32 s6, s3, s17
	s_cmp_ge_u32 s3, s17
	s_cselect_b32 s2, s5, s2
	s_cselect_b32 s3, s6, s3
	s_add_i32 s5, s2, 1
	s_cmp_ge_u32 s3, s17
	s_cselect_b32 s2, s5, s2
	s_delay_alu instid0(SALU_CYCLE_1) | instskip(NEXT) | instid1(SALU_CYCLE_1)
	s_xor_b32 s2, s2, s4
	s_sub_i32 s12, s2, s4
	s_delay_alu instid0(SALU_CYCLE_1)
	s_cmp_lt_i32 s12, 0
	s_cbranch_scc1 .LBB97_67
; %bb.1:
	s_clause 0x1
	s_load_b256 s[4:11], s[0:1], 0x8
	s_load_b128 s[0:3], s[0:1], 0x28
	s_ashr_i32 s13, s15, 31
	s_mul_i32 s19, s16, 3
	s_mul_i32 s20, s16, 5
	;; [unrolled: 1-line block ×10, first 2 shown]
                                        ; implicit-def: $vgpr2_vgpr3_vgpr4_vgpr5_vgpr6_vgpr7_vgpr8_vgpr9_vgpr10_vgpr11_vgpr12_vgpr13_vgpr14_vgpr15_vgpr16_vgpr17_vgpr18_vgpr19_vgpr20_vgpr21_vgpr22_vgpr23_vgpr24_vgpr25_vgpr26_vgpr27_vgpr28_vgpr29_vgpr30_vgpr31_vgpr32_vgpr33
	s_waitcnt lgkmcnt(0)
	s_ashr_i32 s25, s6, 31
	s_mov_b32 s24, s6
	s_mul_i32 s6, s15, s9
	s_mul_hi_u32 s9, s15, s8
	s_mul_i32 s26, s13, s8
	s_add_i32 s6, s9, s6
	s_mul_i32 s8, s15, s8
	s_add_i32 s9, s6, s26
	s_mul_i32 s3, s15, s3
	s_lshl_b64 s[8:9], s[8:9], 3
	s_mul_hi_u32 s6, s15, s2
	s_add_u32 s8, s4, s8
	s_addc_u32 s9, s5, s9
	s_lshl_b64 s[4:5], s[24:25], 3
	s_mul_i32 s13, s13, s2
	s_add_u32 s8, s8, s4
	s_addc_u32 s9, s9, s5
	s_add_i32 s3, s6, s3
	s_mul_i32 s2, s15, s2
	s_add_i32 s3, s3, s13
	s_mov_b32 s4, s0
	s_lshl_b64 s[2:3], s[2:3], 3
	s_ashr_i32 s5, s0, 31
	s_add_u32 s0, s10, s2
	s_addc_u32 s6, s11, s3
	s_lshl_b64 s[2:3], s[4:5], 3
	s_mul_i32 s4, s14, s7
	s_add_u32 s7, s0, s2
	s_addc_u32 s6, s6, s3
	s_ashr_i32 s5, s4, 31
	s_mul_i32 s0, s14, s1
	s_lshl_b64 s[2:3], s[4:5], 3
	s_mul_i32 s24, s16, 10
	s_add_u32 s25, s8, s2
	s_addc_u32 s26, s9, s3
	s_ashr_i32 s1, s0, 31
	s_delay_alu instid0(SALU_CYCLE_1) | instskip(NEXT) | instid1(SALU_CYCLE_1)
	s_lshl_b64 s[0:1], s[0:1], 3
	s_add_u32 s29, s7, s0
	s_addc_u32 s30, s6, s1
	s_add_i32 s31, s12, 1
	s_lshl_b32 s33, s16, 1
	s_lshl_b32 s34, s16, 2
	;; [unrolled: 1-line block ×3, first 2 shown]
	s_branch .LBB97_3
.LBB97_2:                               ;   in Loop: Header=BB97_3 Depth=1
	s_or_b32 exec_lo, exec_lo, s0
	v_add_nc_u32_e32 v0, s17, v0
	s_add_i32 s31, s31, -1
	s_delay_alu instid0(SALU_CYCLE_1)
	s_cmp_eq_u32 s31, 0
	s_cbranch_scc1 .LBB97_67
.LBB97_3:                               ; =>This Inner Loop Header: Depth=1
	s_delay_alu instid0(VALU_DEP_1)
	v_cmp_gt_i32_e32 vcc_lo, s18, v0
	v_ashrrev_i32_e32 v1, 31, v0
	s_and_saveexec_b32 s1, vcc_lo
	s_cbranch_execz .LBB97_5
; %bb.4:                                ;   in Loop: Header=BB97_3 Depth=1
	s_waitcnt vmcnt(0)
	s_delay_alu instid0(VALU_DEP_1) | instskip(NEXT) | instid1(VALU_DEP_1)
	v_lshlrev_b64 v[2:3], 3, v[0:1]
	v_add_co_u32 v2, s0, s25, v2
	s_delay_alu instid0(VALU_DEP_1)
	v_add_co_ci_u32_e64 v3, s0, s26, v3, s0
	global_load_b64 v[2:3], v[2:3], off
.LBB97_5:                               ;   in Loop: Header=BB97_3 Depth=1
	s_or_b32 exec_lo, exec_lo, s1
	v_add_nc_u32_e32 v34, s16, v0
	s_delay_alu instid0(VALU_DEP_1) | instskip(SKIP_1) | instid1(VALU_DEP_2)
	v_cmp_gt_i32_e64 s0, s18, v34
	v_ashrrev_i32_e32 v35, 31, v34
	s_and_saveexec_b32 s2, s0
	s_cbranch_execz .LBB97_7
; %bb.6:                                ;   in Loop: Header=BB97_3 Depth=1
	s_waitcnt vmcnt(0)
	s_delay_alu instid0(VALU_DEP_1) | instskip(NEXT) | instid1(VALU_DEP_1)
	v_lshlrev_b64 v[4:5], 3, v[34:35]
	v_add_co_u32 v4, s1, s25, v4
	s_delay_alu instid0(VALU_DEP_1)
	v_add_co_ci_u32_e64 v5, s1, s26, v5, s1
	global_load_b64 v[4:5], v[4:5], off
.LBB97_7:                               ;   in Loop: Header=BB97_3 Depth=1
	s_or_b32 exec_lo, exec_lo, s2
	v_add_nc_u32_e32 v38, s16, v34
	v_add_nc_u32_e32 v36, s33, v0
	s_delay_alu instid0(VALU_DEP_2) | instskip(NEXT) | instid1(VALU_DEP_2)
	v_cmp_gt_i32_e64 s1, s18, v38
	v_ashrrev_i32_e32 v37, 31, v36
	s_delay_alu instid0(VALU_DEP_2)
	s_and_saveexec_b32 s3, s1
	s_cbranch_execz .LBB97_9
; %bb.8:                                ;   in Loop: Header=BB97_3 Depth=1
	s_waitcnt vmcnt(0)
	s_delay_alu instid0(VALU_DEP_1) | instskip(NEXT) | instid1(VALU_DEP_1)
	v_lshlrev_b64 v[6:7], 3, v[36:37]
	v_add_co_u32 v6, s2, s25, v6
	s_delay_alu instid0(VALU_DEP_1)
	v_add_co_ci_u32_e64 v7, s2, s26, v7, s2
	global_load_b64 v[6:7], v[6:7], off
.LBB97_9:                               ;   in Loop: Header=BB97_3 Depth=1
	s_or_b32 exec_lo, exec_lo, s3
	v_add_nc_u32_e32 v40, s16, v38
	v_add_nc_u32_e32 v38, s19, v0
	s_delay_alu instid0(VALU_DEP_2) | instskip(NEXT) | instid1(VALU_DEP_2)
	v_cmp_gt_i32_e64 s2, s18, v40
	v_ashrrev_i32_e32 v39, 31, v38
	s_delay_alu instid0(VALU_DEP_2)
	s_and_saveexec_b32 s4, s2
	s_cbranch_execz .LBB97_11
; %bb.10:                               ;   in Loop: Header=BB97_3 Depth=1
	s_waitcnt vmcnt(0)
	s_delay_alu instid0(VALU_DEP_1) | instskip(NEXT) | instid1(VALU_DEP_1)
	v_lshlrev_b64 v[8:9], 3, v[38:39]
	v_add_co_u32 v8, s3, s25, v8
	s_delay_alu instid0(VALU_DEP_1)
	v_add_co_ci_u32_e64 v9, s3, s26, v9, s3
	global_load_b64 v[8:9], v[8:9], off
.LBB97_11:                              ;   in Loop: Header=BB97_3 Depth=1
	s_or_b32 exec_lo, exec_lo, s4
	v_add_nc_u32_e32 v42, s16, v40
	v_add_nc_u32_e32 v40, s34, v0
	s_delay_alu instid0(VALU_DEP_2) | instskip(NEXT) | instid1(VALU_DEP_2)
	v_cmp_gt_i32_e64 s3, s18, v42
	v_ashrrev_i32_e32 v41, 31, v40
	s_delay_alu instid0(VALU_DEP_2)
	s_and_saveexec_b32 s5, s3
	s_cbranch_execz .LBB97_13
; %bb.12:                               ;   in Loop: Header=BB97_3 Depth=1
	s_waitcnt vmcnt(0)
	s_delay_alu instid0(VALU_DEP_1) | instskip(NEXT) | instid1(VALU_DEP_1)
	v_lshlrev_b64 v[10:11], 3, v[40:41]
	v_add_co_u32 v10, s4, s25, v10
	s_delay_alu instid0(VALU_DEP_1)
	v_add_co_ci_u32_e64 v11, s4, s26, v11, s4
	global_load_b64 v[10:11], v[10:11], off
.LBB97_13:                              ;   in Loop: Header=BB97_3 Depth=1
	;; [unrolled: 18-line block ×12, first 2 shown]
	s_or_b32 exec_lo, exec_lo, s15
	v_add_nc_u32_e32 v63, s16, v62
	v_add_nc_u32_e32 v62, s38, v0
	s_delay_alu instid0(VALU_DEP_2) | instskip(NEXT) | instid1(VALU_DEP_2)
	v_cmp_gt_i32_e64 s14, s18, v63
	v_ashrrev_i32_e32 v63, 31, v62
	s_delay_alu instid0(VALU_DEP_2)
	s_and_saveexec_b32 s39, s14
	s_cbranch_execnz .LBB97_50
; %bb.34:                               ;   in Loop: Header=BB97_3 Depth=1
	s_or_b32 exec_lo, exec_lo, s39
	s_and_saveexec_b32 s15, vcc_lo
	s_cbranch_execnz .LBB97_51
.LBB97_35:                              ;   in Loop: Header=BB97_3 Depth=1
	s_or_b32 exec_lo, exec_lo, s15
	s_and_saveexec_b32 s15, s0
	s_cbranch_execnz .LBB97_52
.LBB97_36:                              ;   in Loop: Header=BB97_3 Depth=1
	s_or_b32 exec_lo, exec_lo, s15
	s_and_saveexec_b32 s0, s1
	s_cbranch_execnz .LBB97_53
.LBB97_37:                              ;   in Loop: Header=BB97_3 Depth=1
	s_or_b32 exec_lo, exec_lo, s0
	s_and_saveexec_b32 s0, s2
	s_cbranch_execnz .LBB97_54
.LBB97_38:                              ;   in Loop: Header=BB97_3 Depth=1
	s_or_b32 exec_lo, exec_lo, s0
	s_and_saveexec_b32 s0, s3
	s_cbranch_execnz .LBB97_55
.LBB97_39:                              ;   in Loop: Header=BB97_3 Depth=1
	s_or_b32 exec_lo, exec_lo, s0
	s_and_saveexec_b32 s0, s4
	s_cbranch_execnz .LBB97_56
.LBB97_40:                              ;   in Loop: Header=BB97_3 Depth=1
	s_or_b32 exec_lo, exec_lo, s0
	s_and_saveexec_b32 s0, s5
	s_cbranch_execnz .LBB97_57
.LBB97_41:                              ;   in Loop: Header=BB97_3 Depth=1
	s_or_b32 exec_lo, exec_lo, s0
	s_and_saveexec_b32 s0, s6
	s_cbranch_execnz .LBB97_58
.LBB97_42:                              ;   in Loop: Header=BB97_3 Depth=1
	s_or_b32 exec_lo, exec_lo, s0
	s_and_saveexec_b32 s0, s7
	s_cbranch_execnz .LBB97_59
.LBB97_43:                              ;   in Loop: Header=BB97_3 Depth=1
	s_or_b32 exec_lo, exec_lo, s0
	s_and_saveexec_b32 s0, s8
	s_cbranch_execnz .LBB97_60
.LBB97_44:                              ;   in Loop: Header=BB97_3 Depth=1
	s_or_b32 exec_lo, exec_lo, s0
	s_and_saveexec_b32 s0, s9
	s_cbranch_execnz .LBB97_61
.LBB97_45:                              ;   in Loop: Header=BB97_3 Depth=1
	s_or_b32 exec_lo, exec_lo, s0
	s_and_saveexec_b32 s0, s10
	s_cbranch_execnz .LBB97_62
.LBB97_46:                              ;   in Loop: Header=BB97_3 Depth=1
	s_or_b32 exec_lo, exec_lo, s0
	s_and_saveexec_b32 s0, s11
	s_cbranch_execnz .LBB97_63
.LBB97_47:                              ;   in Loop: Header=BB97_3 Depth=1
	s_or_b32 exec_lo, exec_lo, s0
	s_and_saveexec_b32 s0, s12
	s_cbranch_execnz .LBB97_64
.LBB97_48:                              ;   in Loop: Header=BB97_3 Depth=1
	s_or_b32 exec_lo, exec_lo, s0
	s_and_saveexec_b32 s0, s13
	s_cbranch_execnz .LBB97_65
.LBB97_49:                              ;   in Loop: Header=BB97_3 Depth=1
	s_or_b32 exec_lo, exec_lo, s0
	s_and_saveexec_b32 s0, s14
	s_cbranch_execz .LBB97_2
	s_branch .LBB97_66
.LBB97_50:                              ;   in Loop: Header=BB97_3 Depth=1
	s_waitcnt vmcnt(0)
	s_delay_alu instid0(VALU_DEP_1) | instskip(NEXT) | instid1(VALU_DEP_1)
	v_lshlrev_b64 v[32:33], 3, v[62:63]
	v_add_co_u32 v32, s15, s25, v32
	s_delay_alu instid0(VALU_DEP_1)
	v_add_co_ci_u32_e64 v33, s15, s26, v33, s15
	global_load_b64 v[32:33], v[32:33], off
	s_or_b32 exec_lo, exec_lo, s39
	s_and_saveexec_b32 s15, vcc_lo
	s_cbranch_execz .LBB97_35
.LBB97_51:                              ;   in Loop: Header=BB97_3 Depth=1
	v_lshlrev_b64 v[64:65], 3, v[0:1]
	s_delay_alu instid0(VALU_DEP_1) | instskip(NEXT) | instid1(VALU_DEP_2)
	v_add_co_u32 v64, vcc_lo, s29, v64
	v_add_co_ci_u32_e32 v65, vcc_lo, s30, v65, vcc_lo
	s_waitcnt vmcnt(0)
	global_store_b64 v[64:65], v[2:3], off
	s_or_b32 exec_lo, exec_lo, s15
	s_and_saveexec_b32 s15, s0
	s_cbranch_execz .LBB97_36
.LBB97_52:                              ;   in Loop: Header=BB97_3 Depth=1
	v_lshlrev_b64 v[34:35], 3, v[34:35]
	s_delay_alu instid0(VALU_DEP_1) | instskip(NEXT) | instid1(VALU_DEP_2)
	v_add_co_u32 v34, vcc_lo, s29, v34
	v_add_co_ci_u32_e32 v35, vcc_lo, s30, v35, vcc_lo
	s_waitcnt vmcnt(0)
	global_store_b64 v[34:35], v[4:5], off
	s_or_b32 exec_lo, exec_lo, s15
	s_and_saveexec_b32 s0, s1
	s_cbranch_execz .LBB97_37
.LBB97_53:                              ;   in Loop: Header=BB97_3 Depth=1
	v_lshlrev_b64 v[34:35], 3, v[36:37]
	s_delay_alu instid0(VALU_DEP_1) | instskip(NEXT) | instid1(VALU_DEP_2)
	v_add_co_u32 v34, vcc_lo, s29, v34
	v_add_co_ci_u32_e32 v35, vcc_lo, s30, v35, vcc_lo
	s_waitcnt vmcnt(0)
	global_store_b64 v[34:35], v[6:7], off
	s_or_b32 exec_lo, exec_lo, s0
	s_and_saveexec_b32 s0, s2
	s_cbranch_execz .LBB97_38
.LBB97_54:                              ;   in Loop: Header=BB97_3 Depth=1
	v_lshlrev_b64 v[34:35], 3, v[38:39]
	s_delay_alu instid0(VALU_DEP_1) | instskip(NEXT) | instid1(VALU_DEP_2)
	v_add_co_u32 v34, vcc_lo, s29, v34
	v_add_co_ci_u32_e32 v35, vcc_lo, s30, v35, vcc_lo
	s_waitcnt vmcnt(0)
	global_store_b64 v[34:35], v[8:9], off
	s_or_b32 exec_lo, exec_lo, s0
	s_and_saveexec_b32 s0, s3
	s_cbranch_execz .LBB97_39
.LBB97_55:                              ;   in Loop: Header=BB97_3 Depth=1
	v_lshlrev_b64 v[34:35], 3, v[40:41]
	s_delay_alu instid0(VALU_DEP_1) | instskip(NEXT) | instid1(VALU_DEP_2)
	v_add_co_u32 v34, vcc_lo, s29, v34
	v_add_co_ci_u32_e32 v35, vcc_lo, s30, v35, vcc_lo
	s_waitcnt vmcnt(0)
	global_store_b64 v[34:35], v[10:11], off
	s_or_b32 exec_lo, exec_lo, s0
	s_and_saveexec_b32 s0, s4
	s_cbranch_execz .LBB97_40
.LBB97_56:                              ;   in Loop: Header=BB97_3 Depth=1
	v_lshlrev_b64 v[34:35], 3, v[42:43]
	s_delay_alu instid0(VALU_DEP_1) | instskip(NEXT) | instid1(VALU_DEP_2)
	v_add_co_u32 v34, vcc_lo, s29, v34
	v_add_co_ci_u32_e32 v35, vcc_lo, s30, v35, vcc_lo
	s_waitcnt vmcnt(0)
	global_store_b64 v[34:35], v[12:13], off
	s_or_b32 exec_lo, exec_lo, s0
	s_and_saveexec_b32 s0, s5
	s_cbranch_execz .LBB97_41
.LBB97_57:                              ;   in Loop: Header=BB97_3 Depth=1
	v_lshlrev_b64 v[34:35], 3, v[44:45]
	s_delay_alu instid0(VALU_DEP_1) | instskip(NEXT) | instid1(VALU_DEP_2)
	v_add_co_u32 v34, vcc_lo, s29, v34
	v_add_co_ci_u32_e32 v35, vcc_lo, s30, v35, vcc_lo
	s_waitcnt vmcnt(0)
	global_store_b64 v[34:35], v[14:15], off
	s_or_b32 exec_lo, exec_lo, s0
	s_and_saveexec_b32 s0, s6
	s_cbranch_execz .LBB97_42
.LBB97_58:                              ;   in Loop: Header=BB97_3 Depth=1
	v_lshlrev_b64 v[34:35], 3, v[46:47]
	s_delay_alu instid0(VALU_DEP_1) | instskip(NEXT) | instid1(VALU_DEP_2)
	v_add_co_u32 v34, vcc_lo, s29, v34
	v_add_co_ci_u32_e32 v35, vcc_lo, s30, v35, vcc_lo
	s_waitcnt vmcnt(0)
	global_store_b64 v[34:35], v[16:17], off
	s_or_b32 exec_lo, exec_lo, s0
	s_and_saveexec_b32 s0, s7
	s_cbranch_execz .LBB97_43
.LBB97_59:                              ;   in Loop: Header=BB97_3 Depth=1
	v_lshlrev_b64 v[34:35], 3, v[48:49]
	s_delay_alu instid0(VALU_DEP_1) | instskip(NEXT) | instid1(VALU_DEP_2)
	v_add_co_u32 v34, vcc_lo, s29, v34
	v_add_co_ci_u32_e32 v35, vcc_lo, s30, v35, vcc_lo
	s_waitcnt vmcnt(0)
	global_store_b64 v[34:35], v[18:19], off
	s_or_b32 exec_lo, exec_lo, s0
	s_and_saveexec_b32 s0, s8
	s_cbranch_execz .LBB97_44
.LBB97_60:                              ;   in Loop: Header=BB97_3 Depth=1
	v_lshlrev_b64 v[34:35], 3, v[50:51]
	s_delay_alu instid0(VALU_DEP_1) | instskip(NEXT) | instid1(VALU_DEP_2)
	v_add_co_u32 v34, vcc_lo, s29, v34
	v_add_co_ci_u32_e32 v35, vcc_lo, s30, v35, vcc_lo
	s_waitcnt vmcnt(0)
	global_store_b64 v[34:35], v[20:21], off
	s_or_b32 exec_lo, exec_lo, s0
	s_and_saveexec_b32 s0, s9
	s_cbranch_execz .LBB97_45
.LBB97_61:                              ;   in Loop: Header=BB97_3 Depth=1
	v_lshlrev_b64 v[34:35], 3, v[52:53]
	s_delay_alu instid0(VALU_DEP_1) | instskip(NEXT) | instid1(VALU_DEP_2)
	v_add_co_u32 v34, vcc_lo, s29, v34
	v_add_co_ci_u32_e32 v35, vcc_lo, s30, v35, vcc_lo
	s_waitcnt vmcnt(0)
	global_store_b64 v[34:35], v[22:23], off
	s_or_b32 exec_lo, exec_lo, s0
	s_and_saveexec_b32 s0, s10
	s_cbranch_execz .LBB97_46
.LBB97_62:                              ;   in Loop: Header=BB97_3 Depth=1
	v_lshlrev_b64 v[34:35], 3, v[54:55]
	s_delay_alu instid0(VALU_DEP_1) | instskip(NEXT) | instid1(VALU_DEP_2)
	v_add_co_u32 v34, vcc_lo, s29, v34
	v_add_co_ci_u32_e32 v35, vcc_lo, s30, v35, vcc_lo
	s_waitcnt vmcnt(0)
	global_store_b64 v[34:35], v[24:25], off
	s_or_b32 exec_lo, exec_lo, s0
	s_and_saveexec_b32 s0, s11
	s_cbranch_execz .LBB97_47
.LBB97_63:                              ;   in Loop: Header=BB97_3 Depth=1
	v_lshlrev_b64 v[34:35], 3, v[56:57]
	s_delay_alu instid0(VALU_DEP_1) | instskip(NEXT) | instid1(VALU_DEP_2)
	v_add_co_u32 v34, vcc_lo, s29, v34
	v_add_co_ci_u32_e32 v35, vcc_lo, s30, v35, vcc_lo
	s_waitcnt vmcnt(0)
	global_store_b64 v[34:35], v[26:27], off
	s_or_b32 exec_lo, exec_lo, s0
	s_and_saveexec_b32 s0, s12
	s_cbranch_execz .LBB97_48
.LBB97_64:                              ;   in Loop: Header=BB97_3 Depth=1
	v_lshlrev_b64 v[34:35], 3, v[58:59]
	s_delay_alu instid0(VALU_DEP_1) | instskip(NEXT) | instid1(VALU_DEP_2)
	v_add_co_u32 v34, vcc_lo, s29, v34
	v_add_co_ci_u32_e32 v35, vcc_lo, s30, v35, vcc_lo
	s_waitcnt vmcnt(0)
	global_store_b64 v[34:35], v[28:29], off
	s_or_b32 exec_lo, exec_lo, s0
	s_and_saveexec_b32 s0, s13
	s_cbranch_execz .LBB97_49
.LBB97_65:                              ;   in Loop: Header=BB97_3 Depth=1
	v_lshlrev_b64 v[34:35], 3, v[60:61]
	s_delay_alu instid0(VALU_DEP_1) | instskip(NEXT) | instid1(VALU_DEP_2)
	v_add_co_u32 v34, vcc_lo, s29, v34
	v_add_co_ci_u32_e32 v35, vcc_lo, s30, v35, vcc_lo
	s_waitcnt vmcnt(0)
	global_store_b64 v[34:35], v[30:31], off
	s_or_b32 exec_lo, exec_lo, s0
	s_and_saveexec_b32 s0, s14
	s_cbranch_execz .LBB97_2
.LBB97_66:                              ;   in Loop: Header=BB97_3 Depth=1
	v_lshlrev_b64 v[34:35], 3, v[62:63]
	s_delay_alu instid0(VALU_DEP_1) | instskip(NEXT) | instid1(VALU_DEP_2)
	v_add_co_u32 v34, vcc_lo, s29, v34
	v_add_co_ci_u32_e32 v35, vcc_lo, s30, v35, vcc_lo
	s_waitcnt vmcnt(0)
	global_store_b64 v[34:35], v[32:33], off
	s_branch .LBB97_2
.LBB97_67:
	s_nop 0
	s_sendmsg sendmsg(MSG_DEALLOC_VGPRS)
	s_endpgm
	.section	.rodata,"a",@progbits
	.p2align	6, 0x0
	.amdhsa_kernel _ZN9rocsolver6v33100L11stedc_copyCIdPdS2_EEviT0_iilT1_iil
		.amdhsa_group_segment_fixed_size 0
		.amdhsa_private_segment_fixed_size 0
		.amdhsa_kernarg_size 312
		.amdhsa_user_sgpr_count 14
		.amdhsa_user_sgpr_dispatch_ptr 0
		.amdhsa_user_sgpr_queue_ptr 0
		.amdhsa_user_sgpr_kernarg_segment_ptr 1
		.amdhsa_user_sgpr_dispatch_id 0
		.amdhsa_user_sgpr_private_segment_size 0
		.amdhsa_wavefront_size32 1
		.amdhsa_uses_dynamic_stack 0
		.amdhsa_enable_private_segment 0
		.amdhsa_system_sgpr_workgroup_id_x 1
		.amdhsa_system_sgpr_workgroup_id_y 1
		.amdhsa_system_sgpr_workgroup_id_z 0
		.amdhsa_system_sgpr_workgroup_info 0
		.amdhsa_system_vgpr_workitem_id 0
		.amdhsa_next_free_vgpr 66
		.amdhsa_next_free_sgpr 40
		.amdhsa_reserve_vcc 1
		.amdhsa_float_round_mode_32 0
		.amdhsa_float_round_mode_16_64 0
		.amdhsa_float_denorm_mode_32 3
		.amdhsa_float_denorm_mode_16_64 3
		.amdhsa_dx10_clamp 1
		.amdhsa_ieee_mode 1
		.amdhsa_fp16_overflow 0
		.amdhsa_workgroup_processor_mode 1
		.amdhsa_memory_ordered 1
		.amdhsa_forward_progress 0
		.amdhsa_shared_vgpr_count 0
		.amdhsa_exception_fp_ieee_invalid_op 0
		.amdhsa_exception_fp_denorm_src 0
		.amdhsa_exception_fp_ieee_div_zero 0
		.amdhsa_exception_fp_ieee_overflow 0
		.amdhsa_exception_fp_ieee_underflow 0
		.amdhsa_exception_fp_ieee_inexact 0
		.amdhsa_exception_int_div_zero 0
	.end_amdhsa_kernel
	.section	.text._ZN9rocsolver6v33100L11stedc_copyCIdPdS2_EEviT0_iilT1_iil,"axG",@progbits,_ZN9rocsolver6v33100L11stedc_copyCIdPdS2_EEviT0_iilT1_iil,comdat
.Lfunc_end97:
	.size	_ZN9rocsolver6v33100L11stedc_copyCIdPdS2_EEviT0_iilT1_iil, .Lfunc_end97-_ZN9rocsolver6v33100L11stedc_copyCIdPdS2_EEviT0_iilT1_iil
                                        ; -- End function
	.section	.AMDGPU.csdata,"",@progbits
; Kernel info:
; codeLenInByte = 2748
; NumSgprs: 42
; NumVgprs: 66
; ScratchSize: 0
; MemoryBound: 0
; FloatMode: 240
; IeeeMode: 1
; LDSByteSize: 0 bytes/workgroup (compile time only)
; SGPRBlocks: 5
; VGPRBlocks: 8
; NumSGPRsForWavesPerEU: 42
; NumVGPRsForWavesPerEU: 66
; Occupancy: 16
; WaveLimiterHint : 0
; COMPUTE_PGM_RSRC2:SCRATCH_EN: 0
; COMPUTE_PGM_RSRC2:USER_SGPR: 14
; COMPUTE_PGM_RSRC2:TRAP_HANDLER: 0
; COMPUTE_PGM_RSRC2:TGID_X_EN: 1
; COMPUTE_PGM_RSRC2:TGID_Y_EN: 1
; COMPUTE_PGM_RSRC2:TGID_Z_EN: 0
; COMPUTE_PGM_RSRC2:TIDIG_COMP_CNT: 0
	.section	.text._ZN9rocsolver6v33100L16stedc_reshuffleCIdPdS2_EEviT0_iilT1_iilPi,"axG",@progbits,_ZN9rocsolver6v33100L16stedc_reshuffleCIdPdS2_EEviT0_iilT1_iilPi,comdat
	.globl	_ZN9rocsolver6v33100L16stedc_reshuffleCIdPdS2_EEviT0_iilT1_iilPi ; -- Begin function _ZN9rocsolver6v33100L16stedc_reshuffleCIdPdS2_EEviT0_iilT1_iilPi
	.p2align	8
	.type	_ZN9rocsolver6v33100L16stedc_reshuffleCIdPdS2_EEviT0_iilT1_iilPi,@function
_ZN9rocsolver6v33100L16stedc_reshuffleCIdPdS2_EEviT0_iilT1_iilPi: ; @_ZN9rocsolver6v33100L16stedc_reshuffleCIdPdS2_EEviT0_iilT1_iilPi
; %bb.0:
	s_clause 0x1
	s_load_b32 s2, s[0:1], 0x4c
	s_load_b32 s22, s[0:1], 0x0
	s_waitcnt lgkmcnt(0)
	s_and_b32 s20, s2, 0xffff
	s_add_i32 s4, s22, -1
	s_lshl_b32 s21, s20, 4
	s_abs_i32 s5, s4
	v_cvt_f32_u32_e32 v1, s21
	s_sub_i32 s3, 0, s21
	s_ashr_i32 s4, s4, 31
	s_delay_alu instid0(VALU_DEP_1) | instskip(SKIP_2) | instid1(VALU_DEP_1)
	v_rcp_iflag_f32_e32 v1, v1
	s_waitcnt_depctr 0xfff
	v_mul_f32_e32 v1, 0x4f7ffffe, v1
	v_cvt_u32_f32_e32 v1, v1
	s_delay_alu instid0(VALU_DEP_1) | instskip(NEXT) | instid1(VALU_DEP_1)
	v_readfirstlane_b32 s2, v1
	s_mul_i32 s3, s3, s2
	s_delay_alu instid0(SALU_CYCLE_1) | instskip(NEXT) | instid1(SALU_CYCLE_1)
	s_mul_hi_u32 s3, s2, s3
	s_add_i32 s2, s2, s3
	s_delay_alu instid0(SALU_CYCLE_1) | instskip(NEXT) | instid1(SALU_CYCLE_1)
	s_mul_hi_u32 s2, s5, s2
	s_mul_i32 s3, s2, s21
	s_delay_alu instid0(SALU_CYCLE_1)
	s_sub_i32 s3, s5, s3
	s_add_i32 s5, s2, 1
	s_sub_i32 s6, s3, s21
	s_cmp_ge_u32 s3, s21
	s_cselect_b32 s2, s5, s2
	s_cselect_b32 s3, s6, s3
	s_add_i32 s5, s2, 1
	s_cmp_ge_u32 s3, s21
	s_cselect_b32 s2, s5, s2
	s_delay_alu instid0(SALU_CYCLE_1) | instskip(NEXT) | instid1(SALU_CYCLE_1)
	s_xor_b32 s2, s2, s4
	s_sub_i32 s2, s2, s4
	s_delay_alu instid0(SALU_CYCLE_1)
	s_cmp_lt_i32 s2, 0
	s_cbranch_scc1 .LBB98_67
; %bb.1:
	s_clause 0x1
	s_load_b128 s[16:19], s[0:1], 0x30
	s_load_b256 s[4:11], s[0:1], 0x8
	s_mul_i32 s3, s15, s22
	s_mul_i32 s24, s22, 10
	;; [unrolled: 1-line block ×3, first 2 shown]
	s_mov_b32 s26, s15
	s_ashr_i32 s13, s12, 31
	s_load_b64 s[0:1], s[0:1], 0x28
	s_lshl_b64 s[12:13], s[12:13], 2
	s_mul_i32 s31, s20, 9
	s_mul_i32 s33, s20, 10
	;; [unrolled: 1-line block ×7, first 2 shown]
                                        ; implicit-def: $vgpr2_vgpr3_vgpr4_vgpr5_vgpr6_vgpr7_vgpr8_vgpr9_vgpr10_vgpr11_vgpr12_vgpr13_vgpr14_vgpr15_vgpr16_vgpr17_vgpr18_vgpr19_vgpr20_vgpr21_vgpr22_vgpr23_vgpr24_vgpr25_vgpr26_vgpr27_vgpr28_vgpr29_vgpr30_vgpr31_vgpr32_vgpr33
	s_waitcnt lgkmcnt(0)
	s_add_u32 s3, s18, s12
	s_addc_u32 s13, s19, s13
	s_ashr_i32 s25, s24, 31
	s_mul_i32 s9, s15, s9
	s_lshl_b64 s[18:19], s[24:25], 2
	s_mul_hi_u32 s23, s15, s8
	s_add_u32 s3, s3, s18
	s_addc_u32 s13, s13, s19
	s_ashr_i32 s15, s14, 31
	s_mul_i32 s18, s26, s8
	s_lshl_b64 s[24:25], s[14:15], 2
	s_mov_b32 s12, s6
	s_add_u32 s24, s3, s24
	s_addc_u32 s25, s13, s25
	s_ashr_i32 s3, s26, 31
	s_add_i32 s9, s23, s9
	s_load_b32 s23, s[24:25], 0x0
	s_mul_i32 s8, s3, s8
	s_ashr_i32 s13, s6, 31
	s_add_i32 s19, s9, s8
	s_mul_i32 s15, s26, s17
	s_lshl_b64 s[8:9], s[18:19], 3
	s_mul_hi_u32 s17, s26, s16
	s_add_u32 s6, s4, s8
	s_addc_u32 s8, s5, s9
	s_lshl_b64 s[4:5], s[12:13], 3
	s_mul_i32 s3, s3, s16
	s_add_u32 s6, s6, s4
	s_addc_u32 s12, s8, s5
	s_add_i32 s5, s17, s15
	s_mul_i32 s4, s26, s16
	s_add_i32 s5, s5, s3
	s_mov_b32 s8, s0
	s_lshl_b64 s[4:5], s[4:5], 3
	s_ashr_i32 s9, s0, 31
	s_add_u32 s0, s10, s4
	s_addc_u32 s3, s11, s5
	s_lshl_b64 s[4:5], s[8:9], 3
	s_mul_i32 s16, s20, 3
	s_add_u32 s8, s0, s4
	s_waitcnt lgkmcnt(0)
	s_mul_i32 s4, s23, s7
	s_addc_u32 s3, s3, s5
	s_ashr_i32 s5, s4, 31
	s_mul_i32 s0, s14, s1
	s_lshl_b64 s[4:5], s[4:5], 3
	s_mul_i32 s17, s20, 5
	s_add_u32 s18, s6, s4
	s_addc_u32 s19, s12, s5
	s_ashr_i32 s1, s0, 31
	s_mul_i32 s23, s20, 6
	s_lshl_b64 s[0:1], s[0:1], 3
	s_mul_i32 s24, s20, 7
	s_add_u32 s25, s8, s0
	s_addc_u32 s26, s3, s1
	s_add_i32 s27, s2, 1
	s_lshl_b32 s28, s20, 1
	s_lshl_b32 s29, s20, 2
	;; [unrolled: 1-line block ×3, first 2 shown]
	s_branch .LBB98_3
.LBB98_2:                               ;   in Loop: Header=BB98_3 Depth=1
	s_or_b32 exec_lo, exec_lo, s0
	v_add_nc_u32_e32 v0, s21, v0
	s_add_i32 s27, s27, -1
	s_delay_alu instid0(SALU_CYCLE_1)
	s_cmp_eq_u32 s27, 0
	s_cbranch_scc1 .LBB98_67
.LBB98_3:                               ; =>This Inner Loop Header: Depth=1
	s_delay_alu instid0(VALU_DEP_1)
	v_cmp_gt_i32_e32 vcc_lo, s22, v0
	v_ashrrev_i32_e32 v1, 31, v0
	s_and_saveexec_b32 s1, vcc_lo
	s_cbranch_execz .LBB98_5
; %bb.4:                                ;   in Loop: Header=BB98_3 Depth=1
	s_waitcnt vmcnt(0)
	s_delay_alu instid0(VALU_DEP_1) | instskip(NEXT) | instid1(VALU_DEP_1)
	v_lshlrev_b64 v[2:3], 3, v[0:1]
	v_add_co_u32 v2, s0, s18, v2
	s_delay_alu instid0(VALU_DEP_1)
	v_add_co_ci_u32_e64 v3, s0, s19, v3, s0
	global_load_b64 v[2:3], v[2:3], off
.LBB98_5:                               ;   in Loop: Header=BB98_3 Depth=1
	s_or_b32 exec_lo, exec_lo, s1
	v_add_nc_u32_e32 v34, s20, v0
	s_delay_alu instid0(VALU_DEP_1) | instskip(SKIP_1) | instid1(VALU_DEP_2)
	v_cmp_gt_i32_e64 s0, s22, v34
	v_ashrrev_i32_e32 v35, 31, v34
	s_and_saveexec_b32 s2, s0
	s_cbranch_execz .LBB98_7
; %bb.6:                                ;   in Loop: Header=BB98_3 Depth=1
	s_waitcnt vmcnt(0)
	s_delay_alu instid0(VALU_DEP_1) | instskip(NEXT) | instid1(VALU_DEP_1)
	v_lshlrev_b64 v[4:5], 3, v[34:35]
	v_add_co_u32 v4, s1, s18, v4
	s_delay_alu instid0(VALU_DEP_1)
	v_add_co_ci_u32_e64 v5, s1, s19, v5, s1
	global_load_b64 v[4:5], v[4:5], off
.LBB98_7:                               ;   in Loop: Header=BB98_3 Depth=1
	s_or_b32 exec_lo, exec_lo, s2
	v_add_nc_u32_e32 v38, s20, v34
	v_add_nc_u32_e32 v36, s28, v0
	s_delay_alu instid0(VALU_DEP_2) | instskip(NEXT) | instid1(VALU_DEP_2)
	v_cmp_gt_i32_e64 s1, s22, v38
	v_ashrrev_i32_e32 v37, 31, v36
	s_delay_alu instid0(VALU_DEP_2)
	s_and_saveexec_b32 s3, s1
	s_cbranch_execz .LBB98_9
; %bb.8:                                ;   in Loop: Header=BB98_3 Depth=1
	s_waitcnt vmcnt(0)
	s_delay_alu instid0(VALU_DEP_1) | instskip(NEXT) | instid1(VALU_DEP_1)
	v_lshlrev_b64 v[6:7], 3, v[36:37]
	v_add_co_u32 v6, s2, s18, v6
	s_delay_alu instid0(VALU_DEP_1)
	v_add_co_ci_u32_e64 v7, s2, s19, v7, s2
	global_load_b64 v[6:7], v[6:7], off
.LBB98_9:                               ;   in Loop: Header=BB98_3 Depth=1
	s_or_b32 exec_lo, exec_lo, s3
	v_add_nc_u32_e32 v40, s20, v38
	v_add_nc_u32_e32 v38, s16, v0
	s_delay_alu instid0(VALU_DEP_2) | instskip(NEXT) | instid1(VALU_DEP_2)
	v_cmp_gt_i32_e64 s2, s22, v40
	v_ashrrev_i32_e32 v39, 31, v38
	s_delay_alu instid0(VALU_DEP_2)
	s_and_saveexec_b32 s4, s2
	s_cbranch_execz .LBB98_11
; %bb.10:                               ;   in Loop: Header=BB98_3 Depth=1
	s_waitcnt vmcnt(0)
	s_delay_alu instid0(VALU_DEP_1) | instskip(NEXT) | instid1(VALU_DEP_1)
	v_lshlrev_b64 v[8:9], 3, v[38:39]
	v_add_co_u32 v8, s3, s18, v8
	s_delay_alu instid0(VALU_DEP_1)
	v_add_co_ci_u32_e64 v9, s3, s19, v9, s3
	global_load_b64 v[8:9], v[8:9], off
.LBB98_11:                              ;   in Loop: Header=BB98_3 Depth=1
	s_or_b32 exec_lo, exec_lo, s4
	v_add_nc_u32_e32 v42, s20, v40
	v_add_nc_u32_e32 v40, s29, v0
	s_delay_alu instid0(VALU_DEP_2) | instskip(NEXT) | instid1(VALU_DEP_2)
	v_cmp_gt_i32_e64 s3, s22, v42
	v_ashrrev_i32_e32 v41, 31, v40
	s_delay_alu instid0(VALU_DEP_2)
	s_and_saveexec_b32 s5, s3
	s_cbranch_execz .LBB98_13
; %bb.12:                               ;   in Loop: Header=BB98_3 Depth=1
	s_waitcnt vmcnt(0)
	s_delay_alu instid0(VALU_DEP_1) | instskip(NEXT) | instid1(VALU_DEP_1)
	v_lshlrev_b64 v[10:11], 3, v[40:41]
	v_add_co_u32 v10, s4, s18, v10
	s_delay_alu instid0(VALU_DEP_1)
	v_add_co_ci_u32_e64 v11, s4, s19, v11, s4
	global_load_b64 v[10:11], v[10:11], off
.LBB98_13:                              ;   in Loop: Header=BB98_3 Depth=1
	;; [unrolled: 18-line block ×12, first 2 shown]
	s_or_b32 exec_lo, exec_lo, s15
	v_add_nc_u32_e32 v63, s20, v62
	v_add_nc_u32_e32 v62, s38, v0
	s_delay_alu instid0(VALU_DEP_2) | instskip(NEXT) | instid1(VALU_DEP_2)
	v_cmp_gt_i32_e64 s14, s22, v63
	v_ashrrev_i32_e32 v63, 31, v62
	s_delay_alu instid0(VALU_DEP_2)
	s_and_saveexec_b32 s39, s14
	s_cbranch_execnz .LBB98_50
; %bb.34:                               ;   in Loop: Header=BB98_3 Depth=1
	s_or_b32 exec_lo, exec_lo, s39
	s_and_saveexec_b32 s15, vcc_lo
	s_cbranch_execnz .LBB98_51
.LBB98_35:                              ;   in Loop: Header=BB98_3 Depth=1
	s_or_b32 exec_lo, exec_lo, s15
	s_and_saveexec_b32 s15, s0
	s_cbranch_execnz .LBB98_52
.LBB98_36:                              ;   in Loop: Header=BB98_3 Depth=1
	s_or_b32 exec_lo, exec_lo, s15
	s_and_saveexec_b32 s0, s1
	s_cbranch_execnz .LBB98_53
.LBB98_37:                              ;   in Loop: Header=BB98_3 Depth=1
	s_or_b32 exec_lo, exec_lo, s0
	s_and_saveexec_b32 s0, s2
	s_cbranch_execnz .LBB98_54
.LBB98_38:                              ;   in Loop: Header=BB98_3 Depth=1
	s_or_b32 exec_lo, exec_lo, s0
	s_and_saveexec_b32 s0, s3
	s_cbranch_execnz .LBB98_55
.LBB98_39:                              ;   in Loop: Header=BB98_3 Depth=1
	s_or_b32 exec_lo, exec_lo, s0
	s_and_saveexec_b32 s0, s4
	s_cbranch_execnz .LBB98_56
.LBB98_40:                              ;   in Loop: Header=BB98_3 Depth=1
	s_or_b32 exec_lo, exec_lo, s0
	s_and_saveexec_b32 s0, s5
	s_cbranch_execnz .LBB98_57
.LBB98_41:                              ;   in Loop: Header=BB98_3 Depth=1
	s_or_b32 exec_lo, exec_lo, s0
	s_and_saveexec_b32 s0, s6
	s_cbranch_execnz .LBB98_58
.LBB98_42:                              ;   in Loop: Header=BB98_3 Depth=1
	s_or_b32 exec_lo, exec_lo, s0
	s_and_saveexec_b32 s0, s7
	s_cbranch_execnz .LBB98_59
.LBB98_43:                              ;   in Loop: Header=BB98_3 Depth=1
	s_or_b32 exec_lo, exec_lo, s0
	s_and_saveexec_b32 s0, s8
	s_cbranch_execnz .LBB98_60
.LBB98_44:                              ;   in Loop: Header=BB98_3 Depth=1
	s_or_b32 exec_lo, exec_lo, s0
	s_and_saveexec_b32 s0, s9
	s_cbranch_execnz .LBB98_61
.LBB98_45:                              ;   in Loop: Header=BB98_3 Depth=1
	s_or_b32 exec_lo, exec_lo, s0
	s_and_saveexec_b32 s0, s10
	s_cbranch_execnz .LBB98_62
.LBB98_46:                              ;   in Loop: Header=BB98_3 Depth=1
	s_or_b32 exec_lo, exec_lo, s0
	s_and_saveexec_b32 s0, s11
	s_cbranch_execnz .LBB98_63
.LBB98_47:                              ;   in Loop: Header=BB98_3 Depth=1
	s_or_b32 exec_lo, exec_lo, s0
	s_and_saveexec_b32 s0, s12
	s_cbranch_execnz .LBB98_64
.LBB98_48:                              ;   in Loop: Header=BB98_3 Depth=1
	s_or_b32 exec_lo, exec_lo, s0
	s_and_saveexec_b32 s0, s13
	s_cbranch_execnz .LBB98_65
.LBB98_49:                              ;   in Loop: Header=BB98_3 Depth=1
	s_or_b32 exec_lo, exec_lo, s0
	s_and_saveexec_b32 s0, s14
	s_cbranch_execz .LBB98_2
	s_branch .LBB98_66
.LBB98_50:                              ;   in Loop: Header=BB98_3 Depth=1
	s_waitcnt vmcnt(0)
	s_delay_alu instid0(VALU_DEP_1) | instskip(NEXT) | instid1(VALU_DEP_1)
	v_lshlrev_b64 v[32:33], 3, v[62:63]
	v_add_co_u32 v32, s15, s18, v32
	s_delay_alu instid0(VALU_DEP_1)
	v_add_co_ci_u32_e64 v33, s15, s19, v33, s15
	global_load_b64 v[32:33], v[32:33], off
	s_or_b32 exec_lo, exec_lo, s39
	s_and_saveexec_b32 s15, vcc_lo
	s_cbranch_execz .LBB98_35
.LBB98_51:                              ;   in Loop: Header=BB98_3 Depth=1
	v_lshlrev_b64 v[64:65], 3, v[0:1]
	s_delay_alu instid0(VALU_DEP_1) | instskip(NEXT) | instid1(VALU_DEP_2)
	v_add_co_u32 v64, vcc_lo, s25, v64
	v_add_co_ci_u32_e32 v65, vcc_lo, s26, v65, vcc_lo
	s_waitcnt vmcnt(0)
	global_store_b64 v[64:65], v[2:3], off
	s_or_b32 exec_lo, exec_lo, s15
	s_and_saveexec_b32 s15, s0
	s_cbranch_execz .LBB98_36
.LBB98_52:                              ;   in Loop: Header=BB98_3 Depth=1
	v_lshlrev_b64 v[34:35], 3, v[34:35]
	s_delay_alu instid0(VALU_DEP_1) | instskip(NEXT) | instid1(VALU_DEP_2)
	v_add_co_u32 v34, vcc_lo, s25, v34
	v_add_co_ci_u32_e32 v35, vcc_lo, s26, v35, vcc_lo
	s_waitcnt vmcnt(0)
	global_store_b64 v[34:35], v[4:5], off
	s_or_b32 exec_lo, exec_lo, s15
	s_and_saveexec_b32 s0, s1
	s_cbranch_execz .LBB98_37
.LBB98_53:                              ;   in Loop: Header=BB98_3 Depth=1
	v_lshlrev_b64 v[34:35], 3, v[36:37]
	s_delay_alu instid0(VALU_DEP_1) | instskip(NEXT) | instid1(VALU_DEP_2)
	v_add_co_u32 v34, vcc_lo, s25, v34
	v_add_co_ci_u32_e32 v35, vcc_lo, s26, v35, vcc_lo
	s_waitcnt vmcnt(0)
	global_store_b64 v[34:35], v[6:7], off
	s_or_b32 exec_lo, exec_lo, s0
	s_and_saveexec_b32 s0, s2
	s_cbranch_execz .LBB98_38
.LBB98_54:                              ;   in Loop: Header=BB98_3 Depth=1
	v_lshlrev_b64 v[34:35], 3, v[38:39]
	s_delay_alu instid0(VALU_DEP_1) | instskip(NEXT) | instid1(VALU_DEP_2)
	v_add_co_u32 v34, vcc_lo, s25, v34
	v_add_co_ci_u32_e32 v35, vcc_lo, s26, v35, vcc_lo
	s_waitcnt vmcnt(0)
	global_store_b64 v[34:35], v[8:9], off
	s_or_b32 exec_lo, exec_lo, s0
	s_and_saveexec_b32 s0, s3
	s_cbranch_execz .LBB98_39
.LBB98_55:                              ;   in Loop: Header=BB98_3 Depth=1
	v_lshlrev_b64 v[34:35], 3, v[40:41]
	s_delay_alu instid0(VALU_DEP_1) | instskip(NEXT) | instid1(VALU_DEP_2)
	v_add_co_u32 v34, vcc_lo, s25, v34
	v_add_co_ci_u32_e32 v35, vcc_lo, s26, v35, vcc_lo
	s_waitcnt vmcnt(0)
	global_store_b64 v[34:35], v[10:11], off
	s_or_b32 exec_lo, exec_lo, s0
	s_and_saveexec_b32 s0, s4
	s_cbranch_execz .LBB98_40
.LBB98_56:                              ;   in Loop: Header=BB98_3 Depth=1
	v_lshlrev_b64 v[34:35], 3, v[42:43]
	s_delay_alu instid0(VALU_DEP_1) | instskip(NEXT) | instid1(VALU_DEP_2)
	v_add_co_u32 v34, vcc_lo, s25, v34
	v_add_co_ci_u32_e32 v35, vcc_lo, s26, v35, vcc_lo
	s_waitcnt vmcnt(0)
	global_store_b64 v[34:35], v[12:13], off
	s_or_b32 exec_lo, exec_lo, s0
	s_and_saveexec_b32 s0, s5
	s_cbranch_execz .LBB98_41
.LBB98_57:                              ;   in Loop: Header=BB98_3 Depth=1
	v_lshlrev_b64 v[34:35], 3, v[44:45]
	s_delay_alu instid0(VALU_DEP_1) | instskip(NEXT) | instid1(VALU_DEP_2)
	v_add_co_u32 v34, vcc_lo, s25, v34
	v_add_co_ci_u32_e32 v35, vcc_lo, s26, v35, vcc_lo
	s_waitcnt vmcnt(0)
	global_store_b64 v[34:35], v[14:15], off
	s_or_b32 exec_lo, exec_lo, s0
	s_and_saveexec_b32 s0, s6
	s_cbranch_execz .LBB98_42
.LBB98_58:                              ;   in Loop: Header=BB98_3 Depth=1
	v_lshlrev_b64 v[34:35], 3, v[46:47]
	s_delay_alu instid0(VALU_DEP_1) | instskip(NEXT) | instid1(VALU_DEP_2)
	v_add_co_u32 v34, vcc_lo, s25, v34
	v_add_co_ci_u32_e32 v35, vcc_lo, s26, v35, vcc_lo
	s_waitcnt vmcnt(0)
	global_store_b64 v[34:35], v[16:17], off
	s_or_b32 exec_lo, exec_lo, s0
	s_and_saveexec_b32 s0, s7
	s_cbranch_execz .LBB98_43
.LBB98_59:                              ;   in Loop: Header=BB98_3 Depth=1
	v_lshlrev_b64 v[34:35], 3, v[48:49]
	s_delay_alu instid0(VALU_DEP_1) | instskip(NEXT) | instid1(VALU_DEP_2)
	v_add_co_u32 v34, vcc_lo, s25, v34
	v_add_co_ci_u32_e32 v35, vcc_lo, s26, v35, vcc_lo
	s_waitcnt vmcnt(0)
	global_store_b64 v[34:35], v[18:19], off
	s_or_b32 exec_lo, exec_lo, s0
	s_and_saveexec_b32 s0, s8
	s_cbranch_execz .LBB98_44
.LBB98_60:                              ;   in Loop: Header=BB98_3 Depth=1
	v_lshlrev_b64 v[34:35], 3, v[50:51]
	s_delay_alu instid0(VALU_DEP_1) | instskip(NEXT) | instid1(VALU_DEP_2)
	v_add_co_u32 v34, vcc_lo, s25, v34
	v_add_co_ci_u32_e32 v35, vcc_lo, s26, v35, vcc_lo
	s_waitcnt vmcnt(0)
	global_store_b64 v[34:35], v[20:21], off
	s_or_b32 exec_lo, exec_lo, s0
	s_and_saveexec_b32 s0, s9
	s_cbranch_execz .LBB98_45
.LBB98_61:                              ;   in Loop: Header=BB98_3 Depth=1
	v_lshlrev_b64 v[34:35], 3, v[52:53]
	s_delay_alu instid0(VALU_DEP_1) | instskip(NEXT) | instid1(VALU_DEP_2)
	v_add_co_u32 v34, vcc_lo, s25, v34
	v_add_co_ci_u32_e32 v35, vcc_lo, s26, v35, vcc_lo
	s_waitcnt vmcnt(0)
	global_store_b64 v[34:35], v[22:23], off
	s_or_b32 exec_lo, exec_lo, s0
	s_and_saveexec_b32 s0, s10
	s_cbranch_execz .LBB98_46
.LBB98_62:                              ;   in Loop: Header=BB98_3 Depth=1
	v_lshlrev_b64 v[34:35], 3, v[54:55]
	s_delay_alu instid0(VALU_DEP_1) | instskip(NEXT) | instid1(VALU_DEP_2)
	v_add_co_u32 v34, vcc_lo, s25, v34
	v_add_co_ci_u32_e32 v35, vcc_lo, s26, v35, vcc_lo
	s_waitcnt vmcnt(0)
	global_store_b64 v[34:35], v[24:25], off
	s_or_b32 exec_lo, exec_lo, s0
	s_and_saveexec_b32 s0, s11
	s_cbranch_execz .LBB98_47
.LBB98_63:                              ;   in Loop: Header=BB98_3 Depth=1
	v_lshlrev_b64 v[34:35], 3, v[56:57]
	s_delay_alu instid0(VALU_DEP_1) | instskip(NEXT) | instid1(VALU_DEP_2)
	v_add_co_u32 v34, vcc_lo, s25, v34
	v_add_co_ci_u32_e32 v35, vcc_lo, s26, v35, vcc_lo
	s_waitcnt vmcnt(0)
	global_store_b64 v[34:35], v[26:27], off
	s_or_b32 exec_lo, exec_lo, s0
	s_and_saveexec_b32 s0, s12
	s_cbranch_execz .LBB98_48
.LBB98_64:                              ;   in Loop: Header=BB98_3 Depth=1
	v_lshlrev_b64 v[34:35], 3, v[58:59]
	s_delay_alu instid0(VALU_DEP_1) | instskip(NEXT) | instid1(VALU_DEP_2)
	v_add_co_u32 v34, vcc_lo, s25, v34
	v_add_co_ci_u32_e32 v35, vcc_lo, s26, v35, vcc_lo
	s_waitcnt vmcnt(0)
	global_store_b64 v[34:35], v[28:29], off
	s_or_b32 exec_lo, exec_lo, s0
	s_and_saveexec_b32 s0, s13
	s_cbranch_execz .LBB98_49
.LBB98_65:                              ;   in Loop: Header=BB98_3 Depth=1
	v_lshlrev_b64 v[34:35], 3, v[60:61]
	s_delay_alu instid0(VALU_DEP_1) | instskip(NEXT) | instid1(VALU_DEP_2)
	v_add_co_u32 v34, vcc_lo, s25, v34
	v_add_co_ci_u32_e32 v35, vcc_lo, s26, v35, vcc_lo
	s_waitcnt vmcnt(0)
	global_store_b64 v[34:35], v[30:31], off
	s_or_b32 exec_lo, exec_lo, s0
	s_and_saveexec_b32 s0, s14
	s_cbranch_execz .LBB98_2
.LBB98_66:                              ;   in Loop: Header=BB98_3 Depth=1
	v_lshlrev_b64 v[34:35], 3, v[62:63]
	s_delay_alu instid0(VALU_DEP_1) | instskip(NEXT) | instid1(VALU_DEP_2)
	v_add_co_u32 v34, vcc_lo, s25, v34
	v_add_co_ci_u32_e32 v35, vcc_lo, s26, v35, vcc_lo
	s_waitcnt vmcnt(0)
	global_store_b64 v[34:35], v[32:33], off
	s_branch .LBB98_2
.LBB98_67:
	s_nop 0
	s_sendmsg sendmsg(MSG_DEALLOC_VGPRS)
	s_endpgm
	.section	.rodata,"a",@progbits
	.p2align	6, 0x0
	.amdhsa_kernel _ZN9rocsolver6v33100L16stedc_reshuffleCIdPdS2_EEviT0_iilT1_iilPi
		.amdhsa_group_segment_fixed_size 0
		.amdhsa_private_segment_fixed_size 0
		.amdhsa_kernarg_size 320
		.amdhsa_user_sgpr_count 14
		.amdhsa_user_sgpr_dispatch_ptr 0
		.amdhsa_user_sgpr_queue_ptr 0
		.amdhsa_user_sgpr_kernarg_segment_ptr 1
		.amdhsa_user_sgpr_dispatch_id 0
		.amdhsa_user_sgpr_private_segment_size 0
		.amdhsa_wavefront_size32 1
		.amdhsa_uses_dynamic_stack 0
		.amdhsa_enable_private_segment 0
		.amdhsa_system_sgpr_workgroup_id_x 1
		.amdhsa_system_sgpr_workgroup_id_y 1
		.amdhsa_system_sgpr_workgroup_id_z 0
		.amdhsa_system_sgpr_workgroup_info 0
		.amdhsa_system_vgpr_workitem_id 0
		.amdhsa_next_free_vgpr 66
		.amdhsa_next_free_sgpr 40
		.amdhsa_reserve_vcc 1
		.amdhsa_float_round_mode_32 0
		.amdhsa_float_round_mode_16_64 0
		.amdhsa_float_denorm_mode_32 3
		.amdhsa_float_denorm_mode_16_64 3
		.amdhsa_dx10_clamp 1
		.amdhsa_ieee_mode 1
		.amdhsa_fp16_overflow 0
		.amdhsa_workgroup_processor_mode 1
		.amdhsa_memory_ordered 1
		.amdhsa_forward_progress 0
		.amdhsa_shared_vgpr_count 0
		.amdhsa_exception_fp_ieee_invalid_op 0
		.amdhsa_exception_fp_denorm_src 0
		.amdhsa_exception_fp_ieee_div_zero 0
		.amdhsa_exception_fp_ieee_overflow 0
		.amdhsa_exception_fp_ieee_underflow 0
		.amdhsa_exception_fp_ieee_inexact 0
		.amdhsa_exception_int_div_zero 0
	.end_amdhsa_kernel
	.section	.text._ZN9rocsolver6v33100L16stedc_reshuffleCIdPdS2_EEviT0_iilT1_iilPi,"axG",@progbits,_ZN9rocsolver6v33100L16stedc_reshuffleCIdPdS2_EEviT0_iilT1_iilPi,comdat
.Lfunc_end98:
	.size	_ZN9rocsolver6v33100L16stedc_reshuffleCIdPdS2_EEviT0_iilT1_iilPi, .Lfunc_end98-_ZN9rocsolver6v33100L16stedc_reshuffleCIdPdS2_EEviT0_iilT1_iilPi
                                        ; -- End function
	.section	.AMDGPU.csdata,"",@progbits
; Kernel info:
; codeLenInByte = 2828
; NumSgprs: 42
; NumVgprs: 66
; ScratchSize: 0
; MemoryBound: 0
; FloatMode: 240
; IeeeMode: 1
; LDSByteSize: 0 bytes/workgroup (compile time only)
; SGPRBlocks: 5
; VGPRBlocks: 8
; NumSGPRsForWavesPerEU: 42
; NumVGPRsForWavesPerEU: 66
; Occupancy: 16
; WaveLimiterHint : 1
; COMPUTE_PGM_RSRC2:SCRATCH_EN: 0
; COMPUTE_PGM_RSRC2:USER_SGPR: 14
; COMPUTE_PGM_RSRC2:TRAP_HANDLER: 0
; COMPUTE_PGM_RSRC2:TGID_X_EN: 1
; COMPUTE_PGM_RSRC2:TGID_Y_EN: 1
; COMPUTE_PGM_RSRC2:TGID_Z_EN: 0
; COMPUTE_PGM_RSRC2:TIDIG_COMP_CNT: 0
	.section	.text._ZN9rocsolver6v33100L30stedc_mergeValues_Solve_kernelIdEEviiPT_lS3_lS3_S3_PiS2_S2_S2_,"axG",@progbits,_ZN9rocsolver6v33100L30stedc_mergeValues_Solve_kernelIdEEviiPT_lS3_lS3_S3_PiS2_S2_S2_,comdat
	.globl	_ZN9rocsolver6v33100L30stedc_mergeValues_Solve_kernelIdEEviiPT_lS3_lS3_S3_PiS2_S2_S2_ ; -- Begin function _ZN9rocsolver6v33100L30stedc_mergeValues_Solve_kernelIdEEviiPT_lS3_lS3_S3_PiS2_S2_S2_
	.p2align	8
	.type	_ZN9rocsolver6v33100L30stedc_mergeValues_Solve_kernelIdEEviiPT_lS3_lS3_S3_PiS2_S2_S2_,@function
_ZN9rocsolver6v33100L30stedc_mergeValues_Solve_kernelIdEEviiPT_lS3_lS3_S3_PiS2_S2_S2_: ; @_ZN9rocsolver6v33100L30stedc_mergeValues_Solve_kernelIdEEviiPT_lS3_lS3_S3_PiS2_S2_S2_
; %bb.0:
	s_clause 0x1
	s_load_b32 s3, s[0:1], 0x64
	s_load_b32 s2, s[0:1], 0x4
	s_waitcnt lgkmcnt(0)
	s_and_b32 s3, s3, 0xffff
	s_delay_alu instid0(SALU_CYCLE_1) | instskip(SKIP_1) | instid1(VALU_DEP_1)
	v_mad_u64_u32 v[1:2], null, s14, s3, v[0:1]
	s_mov_b32 s3, exec_lo
	v_cmpx_gt_i32_e64 s2, v1
	s_cbranch_execz .LBB99_194
; %bb.1:
	s_load_b256 s[16:23], s[0:1], 0x28
	s_mul_i32 s0, s15, s2
	v_ashrrev_i32_e32 v2, 31, v1
	s_mul_i32 s4, s0, 13
	s_ashr_i32 s3, s2, 31
	s_ashr_i32 s5, s4, 31
	s_mul_i32 s6, s2, 6
	s_lshl_b64 s[4:5], s[4:5], 2
	v_lshlrev_b64 v[3:4], 2, v[1:2]
	s_waitcnt lgkmcnt(0)
	s_add_u32 s1, s20, s4
	s_addc_u32 s8, s21, s5
	s_ashr_i32 s7, s6, 31
	s_delay_alu instid0(SALU_CYCLE_1) | instskip(NEXT) | instid1(SALU_CYCLE_1)
	s_lshl_b64 s[4:5], s[6:7], 2
	s_add_u32 s1, s1, s4
	s_addc_u32 s6, s8, s5
	s_lshl_b64 s[4:5], s[2:3], 2
	v_add_co_u32 v5, vcc_lo, s1, v3
	s_add_u32 s4, s1, s4
	v_add_co_ci_u32_e32 v6, vcc_lo, s6, v4, vcc_lo
	s_addc_u32 s1, s6, s5
	v_add_co_u32 v3, vcc_lo, s4, v3
	v_add_co_ci_u32_e32 v4, vcc_lo, s1, v4, vcc_lo
	s_clause 0x1
	global_load_b32 v12, v[5:6], off
	global_load_b32 v24, v[3:4], off
	s_waitcnt vmcnt(1)
	v_sub_nc_u32_e32 v0, v1, v12
	s_waitcnt vmcnt(0)
	s_delay_alu instid0(VALU_DEP_1)
	v_cmp_lt_i32_e32 vcc_lo, v0, v24
	s_and_b32 exec_lo, exec_lo, vcc_lo
	s_cbranch_execz .LBB99_194
; %bb.2:
	s_mul_i32 s4, s0, 10
	v_mul_lo_u32 v3, v1, s2
	s_ashr_i32 s5, s4, 31
	s_mul_i32 s12, s2, 0xffffffc8
	s_lshl_b64 s[8:9], s[4:5], 3
	s_mul_hi_i32 s7, s2, 0xffffffc8
	s_add_u32 s1, s16, s8
	s_addc_u32 s6, s17, s9
	s_lshl_b32 s4, s2, 3
	s_mul_i32 s0, s0, s2
	s_ashr_i32 s5, s4, 31
	v_ashrrev_i32_e32 v4, 31, v3
	s_lshl_b64 s[10:11], s[4:5], 3
	v_ashrrev_i32_e32 v13, 31, v12
	s_add_u32 s24, s1, s10
	s_addc_u32 s6, s6, s11
	s_add_u32 s20, s24, s12
	s_addc_u32 s21, s6, s7
	s_lshl_b64 s[4:5], s[2:3], 6
	s_mul_i32 s2, s2, s2
	s_add_u32 s4, s20, s4
	s_addc_u32 s5, s21, s5
	s_lshl_b32 s0, s0, 1
	s_mov_b32 s3, 0
	s_ashr_i32 s1, s0, 31
	v_lshlrev_b64 v[34:35], 3, v[3:4]
	s_lshl_b64 s[12:13], s[0:1], 3
	v_lshlrev_b64 v[4:5], 3, v[1:2]
	s_add_u32 s0, s18, s12
	v_ashrrev_i32_e32 v1, 31, v0
	s_addc_u32 s1, s19, s13
	s_lshl_b64 s[14:15], s[2:3], 3
	v_lshlrev_b64 v[36:37], 3, v[12:13]
	s_add_u32 s0, s0, s14
	s_addc_u32 s1, s1, s15
	v_add_co_u32 v8, vcc_lo, s0, v34
	v_lshlrev_b64 v[26:27], 3, v[0:1]
	v_add_co_ci_u32_e32 v9, vcc_lo, s1, v35, vcc_lo
	v_add_co_u32 v1, vcc_lo, s4, v4
	v_add_co_ci_u32_e32 v2, vcc_lo, s5, v5, vcc_lo
	s_delay_alu instid0(VALU_DEP_4) | instskip(NEXT) | instid1(VALU_DEP_4)
	v_add_co_u32 v10, vcc_lo, v8, v26
	v_add_co_ci_u32_e32 v11, vcc_lo, v9, v27, vcc_lo
	global_load_b64 v[6:7], v[1:2], off
	global_load_b64 v[16:17], v[10:11], off
	v_add_co_u32 v12, s0, s24, v36
	v_add_nc_u32_e32 v14, -1, v24
	v_add_co_ci_u32_e64 v13, s0, s6, v37, s0
                                        ; implicit-def: $vgpr1_vgpr2
	s_mov_b32 s0, exec_lo
	s_delay_alu instid0(VALU_DEP_2)
	v_cmpx_ne_u32_e64 v0, v14
	s_xor_b32 s24, exec_lo, s0
	s_cbranch_execz .LBB99_122
; %bb.3:
	global_load_b64 v[38:39], v[10:11], off offset:8
	s_mov_b32 s1, exec_lo
	s_waitcnt vmcnt(0)
	v_add_f64 v[1:2], v[16:17], v[38:39]
	s_delay_alu instid0(VALU_DEP_1)
	v_mul_f64 v[19:20], v[1:2], 0.5
	v_mov_b32_e32 v1, 0
	v_mov_b32_e32 v2, 0
	v_cmpx_lt_i32_e32 0, v0
	s_cbranch_execz .LBB99_7
; %bb.4:
	v_dual_mov_b32 v1, 0 :: v_dual_mov_b32 v22, v13
	v_dual_mov_b32 v2, 0 :: v_dual_mov_b32 v21, v12
	;; [unrolled: 1-line block ×3, first 2 shown]
	v_mov_b32_e32 v3, v0
	s_mov_b32 s2, 0
	s_set_inst_prefetch_distance 0x1
	.p2align	6
.LBB99_5:                               ; =>This Inner Loop Header: Depth=1
	global_load_b64 v[28:29], v[23:24], off
	global_load_b64 v[30:31], v[21:22], off
	v_add_nc_u32_e32 v3, -1, v3
	v_add_co_u32 v21, s0, v21, 8
	s_delay_alu instid0(VALU_DEP_1) | instskip(SKIP_3) | instid1(VALU_DEP_1)
	v_add_co_ci_u32_e64 v22, s0, 0, v22, s0
	s_waitcnt vmcnt(1)
	v_add_f64 v[28:29], v[28:29], -v[19:20]
	s_waitcnt vmcnt(0)
	v_div_scale_f64 v[32:33], null, v[28:29], v[28:29], v[30:31]
	v_div_scale_f64 v[44:45], vcc_lo, v[30:31], v[28:29], v[30:31]
	s_delay_alu instid0(VALU_DEP_2) | instskip(SKIP_2) | instid1(VALU_DEP_1)
	v_rcp_f64_e32 v[40:41], v[32:33]
	s_waitcnt_depctr 0xfff
	v_fma_f64 v[42:43], -v[32:33], v[40:41], 1.0
	v_fma_f64 v[40:41], v[40:41], v[42:43], v[40:41]
	s_delay_alu instid0(VALU_DEP_1) | instskip(NEXT) | instid1(VALU_DEP_1)
	v_fma_f64 v[42:43], -v[32:33], v[40:41], 1.0
	v_fma_f64 v[40:41], v[40:41], v[42:43], v[40:41]
	s_delay_alu instid0(VALU_DEP_1) | instskip(NEXT) | instid1(VALU_DEP_1)
	v_mul_f64 v[42:43], v[44:45], v[40:41]
	v_fma_f64 v[32:33], -v[32:33], v[42:43], v[44:45]
	s_delay_alu instid0(VALU_DEP_1) | instskip(SKIP_4) | instid1(VALU_DEP_4)
	v_div_fmas_f64 v[32:33], v[32:33], v[40:41], v[42:43]
	v_add_co_u32 v23, vcc_lo, v23, 8
	v_add_co_ci_u32_e32 v24, vcc_lo, 0, v24, vcc_lo
	v_cmp_eq_u32_e32 vcc_lo, 0, v3
	s_or_b32 s2, vcc_lo, s2
	v_div_fixup_f64 v[28:29], v[32:33], v[28:29], v[30:31]
	s_delay_alu instid0(VALU_DEP_1)
	v_fma_f64 v[1:2], v[30:31], v[28:29], v[1:2]
	s_and_not1_b32 exec_lo, exec_lo, s2
	s_cbranch_execnz .LBB99_5
; %bb.6:
	s_set_inst_prefetch_distance 0x2
	s_or_b32 exec_lo, exec_lo, s2
.LBB99_7:
	s_delay_alu instid0(SALU_CYCLE_1) | instskip(SKIP_4) | instid1(VALU_DEP_2)
	s_or_b32 exec_lo, exec_lo, s1
	v_mov_b32_e32 v28, 0
	v_dual_mov_b32 v29, 0 :: v_dual_add_nc_u32 v18, 1, v0
	v_ashrrev_i32_e32 v15, 31, v14
	s_mov_b32 s1, exec_lo
	v_cmpx_gt_i32_e64 v14, v18
	s_cbranch_execz .LBB99_11
; %bb.8:
	s_add_u32 s0, s18, s14
	v_add_co_u32 v3, vcc_lo, s12, v34
	v_lshlrev_b64 v[21:22], 3, v[14:15]
	s_addc_u32 s2, s19, s15
	s_add_u32 s3, s10, s8
	v_add_co_ci_u32_e32 v23, vcc_lo, s13, v35, vcc_lo
	s_addc_u32 s4, s11, s9
	v_add_co_u32 v24, vcc_lo, s3, v36
	v_add_co_ci_u32_e32 v25, vcc_lo, s4, v37, vcc_lo
	v_add_co_u32 v3, vcc_lo, v3, v21
	v_add_co_ci_u32_e32 v23, vcc_lo, v23, v22, vcc_lo
	s_delay_alu instid0(VALU_DEP_4) | instskip(NEXT) | instid1(VALU_DEP_4)
	v_add_co_u32 v24, vcc_lo, v24, v21
	v_add_co_ci_u32_e32 v25, vcc_lo, v25, v22, vcc_lo
	s_delay_alu instid0(VALU_DEP_4) | instskip(NEXT) | instid1(VALU_DEP_4)
	v_add_co_u32 v21, vcc_lo, s0, v3
	v_add_co_ci_u32_e32 v22, vcc_lo, s2, v23, vcc_lo
	s_delay_alu instid0(VALU_DEP_4)
	v_add_co_u32 v23, vcc_lo, s16, v24
	v_dual_mov_b32 v28, 0 :: v_dual_mov_b32 v3, v14
	v_add_co_ci_u32_e32 v24, vcc_lo, s17, v25, vcc_lo
	v_mov_b32_e32 v29, 0
	s_mov_b32 s2, 0
	s_set_inst_prefetch_distance 0x1
	.p2align	6
.LBB99_9:                               ; =>This Inner Loop Header: Depth=1
	global_load_b64 v[30:31], v[21:22], off
	global_load_b64 v[32:33], v[23:24], off
	v_add_nc_u32_e32 v3, -1, v3
	v_add_co_u32 v23, s0, v23, -8
	s_delay_alu instid0(VALU_DEP_1) | instskip(SKIP_3) | instid1(VALU_DEP_1)
	v_add_co_ci_u32_e64 v24, s0, -1, v24, s0
	s_waitcnt vmcnt(1)
	v_add_f64 v[30:31], v[30:31], -v[19:20]
	s_waitcnt vmcnt(0)
	v_div_scale_f64 v[40:41], null, v[30:31], v[30:31], v[32:33]
	v_div_scale_f64 v[46:47], vcc_lo, v[32:33], v[30:31], v[32:33]
	s_delay_alu instid0(VALU_DEP_2) | instskip(SKIP_2) | instid1(VALU_DEP_1)
	v_rcp_f64_e32 v[42:43], v[40:41]
	s_waitcnt_depctr 0xfff
	v_fma_f64 v[44:45], -v[40:41], v[42:43], 1.0
	v_fma_f64 v[42:43], v[42:43], v[44:45], v[42:43]
	s_delay_alu instid0(VALU_DEP_1) | instskip(NEXT) | instid1(VALU_DEP_1)
	v_fma_f64 v[44:45], -v[40:41], v[42:43], 1.0
	v_fma_f64 v[42:43], v[42:43], v[44:45], v[42:43]
	s_delay_alu instid0(VALU_DEP_1) | instskip(NEXT) | instid1(VALU_DEP_1)
	v_mul_f64 v[44:45], v[46:47], v[42:43]
	v_fma_f64 v[40:41], -v[40:41], v[44:45], v[46:47]
	s_delay_alu instid0(VALU_DEP_1) | instskip(SKIP_4) | instid1(VALU_DEP_4)
	v_div_fmas_f64 v[40:41], v[40:41], v[42:43], v[44:45]
	v_add_co_u32 v21, vcc_lo, v21, -8
	v_add_co_ci_u32_e32 v22, vcc_lo, -1, v22, vcc_lo
	v_cmp_le_i32_e32 vcc_lo, v3, v18
	s_or_b32 s2, vcc_lo, s2
	v_div_fixup_f64 v[30:31], v[40:41], v[30:31], v[32:33]
	s_delay_alu instid0(VALU_DEP_1)
	v_fma_f64 v[28:29], v[32:33], v[30:31], v[28:29]
	s_and_not1_b32 exec_lo, exec_lo, s2
	s_cbranch_execnz .LBB99_9
; %bb.10:
	s_set_inst_prefetch_distance 0x2
	s_or_b32 exec_lo, exec_lo, s2
.LBB99_11:
	s_delay_alu instid0(SALU_CYCLE_1)
	s_or_b32 exec_lo, exec_lo, s1
	v_add_co_u32 v20, vcc_lo, v12, v26
	v_add_co_ci_u32_e32 v21, vcc_lo, v13, v27, vcc_lo
	v_add_f64 v[22:23], v[38:39], -v[16:17]
                                        ; implicit-def: $sgpr4_sgpr5
	global_load_b128 v[24:27], v[20:21], off
	s_waitcnt vmcnt(0)
	v_mul_f64 v[30:31], v[24:25], v[24:25]
	v_dual_mov_b32 v24, v6 :: v_dual_and_b32 v25, 0x7fffffff, v7
	s_delay_alu instid0(VALU_DEP_1) | instskip(SKIP_1) | instid1(VALU_DEP_4)
	v_div_scale_f64 v[32:33], null, v[24:25], v[24:25], 1.0
	v_div_scale_f64 v[24:25], vcc_lo, 1.0, v[24:25], 1.0
	v_fma_f64 v[40:41], v[26:27], v[26:27], -v[30:31]
	s_delay_alu instid0(VALU_DEP_3) | instskip(NEXT) | instid1(VALU_DEP_1)
	v_rcp_f64_e32 v[42:43], v[32:33]
	v_add_f64 v[40:41], v[40:41], v[40:41]
	s_waitcnt_depctr 0xfff
	v_fma_f64 v[44:45], -v[32:33], v[42:43], 1.0
	v_div_scale_f64 v[46:47], null, v[22:23], v[22:23], v[40:41]
	s_delay_alu instid0(VALU_DEP_2) | instskip(NEXT) | instid1(VALU_DEP_2)
	v_fma_f64 v[42:43], v[42:43], v[44:45], v[42:43]
	v_rcp_f64_e32 v[44:45], v[46:47]
	s_delay_alu instid0(VALU_DEP_1) | instskip(SKIP_3) | instid1(VALU_DEP_2)
	v_fma_f64 v[48:49], -v[32:33], v[42:43], 1.0
	s_waitcnt_depctr 0xfff
	v_fma_f64 v[50:51], -v[46:47], v[44:45], 1.0
	v_fma_f64 v[42:43], v[42:43], v[48:49], v[42:43]
	v_fma_f64 v[44:45], v[44:45], v[50:51], v[44:45]
	s_delay_alu instid0(VALU_DEP_2) | instskip(NEXT) | instid1(VALU_DEP_2)
	v_mul_f64 v[48:49], v[24:25], v[42:43]
	v_fma_f64 v[50:51], -v[46:47], v[44:45], 1.0
	s_delay_alu instid0(VALU_DEP_2) | instskip(SKIP_1) | instid1(VALU_DEP_3)
	v_fma_f64 v[24:25], -v[32:33], v[48:49], v[24:25]
	v_div_scale_f64 v[32:33], s0, v[40:41], v[22:23], v[40:41]
	v_fma_f64 v[44:45], v[44:45], v[50:51], v[44:45]
	s_delay_alu instid0(VALU_DEP_3) | instskip(SKIP_1) | instid1(VALU_DEP_2)
	v_div_fmas_f64 v[24:25], v[24:25], v[42:43], v[48:49]
	s_mov_b32 vcc_lo, s0
	v_mul_f64 v[42:43], v[32:33], v[44:45]
	s_delay_alu instid0(VALU_DEP_2) | instskip(NEXT) | instid1(VALU_DEP_2)
	v_div_fixup_f64 v[24:25], v[24:25], |v[6:7]|, 1.0
	v_fma_f64 v[32:33], -v[46:47], v[42:43], v[32:33]
	s_delay_alu instid0(VALU_DEP_2) | instskip(NEXT) | instid1(VALU_DEP_2)
	v_add_f64 v[1:2], v[24:25], v[1:2]
	v_div_fmas_f64 v[32:33], v[32:33], v[44:45], v[42:43]
                                        ; implicit-def: $vgpr42_vgpr43
                                        ; implicit-def: $vgpr44_vgpr45
	s_delay_alu instid0(VALU_DEP_2) | instskip(NEXT) | instid1(VALU_DEP_2)
	v_add_f64 v[28:29], v[1:2], v[28:29]
	v_div_fixup_f64 v[1:2], v[32:33], v[22:23], v[40:41]
	v_mul_f64 v[32:33], v[26:27], v[26:27]
	s_delay_alu instid0(VALU_DEP_3) | instskip(NEXT) | instid1(VALU_DEP_3)
	v_mul_f64 v[46:47], v[22:23], v[28:29]
	v_add_f64 v[1:2], v[28:29], v[1:2]
	s_delay_alu instid0(VALU_DEP_1) | instskip(SKIP_1) | instid1(VALU_DEP_1)
	v_cmp_lt_f64_e64 s3, 0, v[1:2]
	v_cmp_nlt_f64_e64 s0, 0, v[1:2]
                                        ; implicit-def: $vgpr1_vgpr2
	s_and_saveexec_b32 s1, s0
	s_delay_alu instid0(SALU_CYCLE_1)
	s_xor_b32 s2, exec_lo, s1
	s_cbranch_execz .LBB99_17
; %bb.12:
	v_mul_f64 v[0:1], v[22:23], v[32:33]
	v_add_f64 v[2:3], v[46:47], -v[30:31]
                                        ; implicit-def: $vgpr42_vgpr43
	s_delay_alu instid0(VALU_DEP_2) | instskip(NEXT) | instid1(VALU_DEP_2)
	v_mul_f64 v[26:27], v[0:1], 4.0
	v_add_f64 v[2:3], v[2:3], -v[32:33]
	s_delay_alu instid0(VALU_DEP_2) | instskip(NEXT) | instid1(VALU_DEP_1)
	v_mul_f64 v[26:27], v[28:29], v[26:27]
	v_fma_f64 v[26:27], v[2:3], v[2:3], v[26:27]
	s_delay_alu instid0(VALU_DEP_1) | instskip(NEXT) | instid1(VALU_DEP_1)
	v_cmp_gt_f64_e64 s1, 0x10000000, |v[26:27]|
	v_cndmask_b32_e64 v19, 0, 1, s1
	s_delay_alu instid0(VALU_DEP_1) | instskip(NEXT) | instid1(VALU_DEP_1)
	v_lshlrev_b32_e32 v19, 8, v19
	v_ldexp_f64 v[26:27], |v[26:27]|, v19
	v_cndmask_b32_e64 v19, 0, 0xffffff80, s1
	v_cmp_ngt_f64_e64 s1, 0, v[2:3]
	s_delay_alu instid0(VALU_DEP_3) | instskip(SKIP_4) | instid1(VALU_DEP_1)
	v_rsq_f64_e32 v[30:31], v[26:27]
	v_cmp_class_f64_e64 vcc_lo, v[26:27], 0x260
	s_waitcnt_depctr 0xfff
	v_mul_f64 v[32:33], v[26:27], v[30:31]
	v_mul_f64 v[30:31], v[30:31], 0.5
	v_fma_f64 v[40:41], -v[30:31], v[32:33], 0.5
	s_delay_alu instid0(VALU_DEP_1) | instskip(SKIP_1) | instid1(VALU_DEP_2)
	v_fma_f64 v[32:33], v[32:33], v[40:41], v[32:33]
	v_fma_f64 v[30:31], v[30:31], v[40:41], v[30:31]
	v_fma_f64 v[40:41], -v[32:33], v[32:33], v[26:27]
	s_delay_alu instid0(VALU_DEP_1) | instskip(NEXT) | instid1(VALU_DEP_1)
	v_fma_f64 v[32:33], v[40:41], v[30:31], v[32:33]
	v_fma_f64 v[40:41], -v[32:33], v[32:33], v[26:27]
	s_delay_alu instid0(VALU_DEP_1) | instskip(NEXT) | instid1(VALU_DEP_1)
	v_fma_f64 v[30:31], v[40:41], v[30:31], v[32:33]
	v_ldexp_f64 v[30:31], v[30:31], v19
	s_delay_alu instid0(VALU_DEP_1) | instskip(SKIP_1) | instid1(SALU_CYCLE_1)
	v_dual_cndmask_b32 v26, v30, v26 :: v_dual_cndmask_b32 v27, v31, v27
	s_and_saveexec_b32 s4, s1
	s_xor_b32 s1, exec_lo, s4
	s_cbranch_execz .LBB99_14
; %bb.13:
	s_delay_alu instid0(VALU_DEP_1) | instskip(SKIP_1) | instid1(VALU_DEP_1)
	v_add_f64 v[0:1], v[2:3], v[26:27]
	v_add_f64 v[2:3], v[28:29], v[28:29]
	v_div_scale_f64 v[26:27], null, v[2:3], v[2:3], -v[0:1]
	s_delay_alu instid0(VALU_DEP_1) | instskip(SKIP_2) | instid1(VALU_DEP_1)
	v_rcp_f64_e32 v[28:29], v[26:27]
	s_waitcnt_depctr 0xfff
	v_fma_f64 v[30:31], -v[26:27], v[28:29], 1.0
	v_fma_f64 v[28:29], v[28:29], v[30:31], v[28:29]
	s_delay_alu instid0(VALU_DEP_1) | instskip(NEXT) | instid1(VALU_DEP_1)
	v_fma_f64 v[30:31], -v[26:27], v[28:29], 1.0
	v_fma_f64 v[28:29], v[28:29], v[30:31], v[28:29]
	v_div_scale_f64 v[30:31], vcc_lo, -v[0:1], v[2:3], -v[0:1]
	s_delay_alu instid0(VALU_DEP_1) | instskip(NEXT) | instid1(VALU_DEP_1)
	v_mul_f64 v[32:33], v[30:31], v[28:29]
	v_fma_f64 v[26:27], -v[26:27], v[32:33], v[30:31]
	s_delay_alu instid0(VALU_DEP_1) | instskip(NEXT) | instid1(VALU_DEP_1)
	v_div_fmas_f64 v[26:27], v[26:27], v[28:29], v[32:33]
	v_div_fixup_f64 v[42:43], v[26:27], v[2:3], -v[0:1]
                                        ; implicit-def: $vgpr0_vgpr1
                                        ; implicit-def: $vgpr2_vgpr3
                                        ; implicit-def: $vgpr26_vgpr27
.LBB99_14:
	s_and_not1_saveexec_b32 s1, s1
	s_cbranch_execz .LBB99_16
; %bb.15:
	v_add_f64 v[0:1], v[0:1], v[0:1]
	v_add_f64 v[2:3], v[2:3], -v[26:27]
	s_delay_alu instid0(VALU_DEP_1) | instskip(NEXT) | instid1(VALU_DEP_1)
	v_div_scale_f64 v[26:27], null, v[2:3], v[2:3], v[0:1]
	v_rcp_f64_e32 v[28:29], v[26:27]
	s_waitcnt_depctr 0xfff
	v_fma_f64 v[30:31], -v[26:27], v[28:29], 1.0
	s_delay_alu instid0(VALU_DEP_1) | instskip(NEXT) | instid1(VALU_DEP_1)
	v_fma_f64 v[28:29], v[28:29], v[30:31], v[28:29]
	v_fma_f64 v[30:31], -v[26:27], v[28:29], 1.0
	s_delay_alu instid0(VALU_DEP_1) | instskip(SKIP_1) | instid1(VALU_DEP_1)
	v_fma_f64 v[28:29], v[28:29], v[30:31], v[28:29]
	v_div_scale_f64 v[30:31], vcc_lo, v[0:1], v[2:3], v[0:1]
	v_mul_f64 v[32:33], v[30:31], v[28:29]
	s_delay_alu instid0(VALU_DEP_1) | instskip(NEXT) | instid1(VALU_DEP_1)
	v_fma_f64 v[26:27], -v[26:27], v[32:33], v[30:31]
	v_div_fmas_f64 v[26:27], v[26:27], v[28:29], v[32:33]
	s_delay_alu instid0(VALU_DEP_1)
	v_div_fixup_f64 v[42:43], v[26:27], v[2:3], v[0:1]
.LBB99_16:
	s_or_b32 exec_lo, exec_lo, s1
	v_mul_f64 v[44:45], v[22:23], -0.5
	s_delay_alu instid0(VALU_DEP_2)
	v_add_f64 v[1:2], v[38:39], v[42:43]
	s_mov_b64 s[4:5], 0
                                        ; implicit-def: $vgpr46_vgpr47
                                        ; implicit-def: $vgpr30_vgpr31
                                        ; implicit-def: $vgpr32_vgpr33
                                        ; implicit-def: $vgpr28_vgpr29
                                        ; implicit-def: $vgpr0
.LBB99_17:
	s_or_saveexec_b32 s2, s2
	v_dual_mov_b32 v41, s5 :: v_dual_mov_b32 v40, s4
	v_dual_mov_b32 v26, v38 :: v_dual_mov_b32 v27, v39
	s_xor_b32 exec_lo, exec_lo, s2
	s_cbranch_execz .LBB99_23
; %bb.18:
	v_mul_f64 v[1:2], v[22:23], v[30:31]
	v_add_f64 v[18:19], v[46:47], v[30:31]
                                        ; implicit-def: $vgpr42_vgpr43
	s_delay_alu instid0(VALU_DEP_2) | instskip(NEXT) | instid1(VALU_DEP_2)
	v_mul_f64 v[26:27], v[1:2], -4.0
	v_add_f64 v[18:19], v[18:19], v[32:33]
	s_delay_alu instid0(VALU_DEP_2) | instskip(NEXT) | instid1(VALU_DEP_1)
	v_mul_f64 v[26:27], v[28:29], v[26:27]
	v_fma_f64 v[26:27], v[18:19], v[18:19], v[26:27]
	s_delay_alu instid0(VALU_DEP_1) | instskip(NEXT) | instid1(VALU_DEP_1)
	v_cmp_gt_f64_e64 s1, 0x10000000, |v[26:27]|
	v_cndmask_b32_e64 v3, 0, 1, s1
	s_delay_alu instid0(VALU_DEP_1) | instskip(NEXT) | instid1(VALU_DEP_1)
	v_lshlrev_b32_e32 v3, 8, v3
	v_ldexp_f64 v[26:27], |v[26:27]|, v3
	v_cndmask_b32_e64 v3, 0, 0xffffff80, s1
	v_cmp_nlt_f64_e64 s1, 0, v[18:19]
	s_delay_alu instid0(VALU_DEP_3) | instskip(SKIP_4) | instid1(VALU_DEP_1)
	v_rsq_f64_e32 v[30:31], v[26:27]
	v_cmp_class_f64_e64 vcc_lo, v[26:27], 0x260
	s_waitcnt_depctr 0xfff
	v_mul_f64 v[32:33], v[26:27], v[30:31]
	v_mul_f64 v[30:31], v[30:31], 0.5
	v_fma_f64 v[40:41], -v[30:31], v[32:33], 0.5
	s_delay_alu instid0(VALU_DEP_1) | instskip(SKIP_1) | instid1(VALU_DEP_2)
	v_fma_f64 v[32:33], v[32:33], v[40:41], v[32:33]
	v_fma_f64 v[30:31], v[30:31], v[40:41], v[30:31]
	v_fma_f64 v[40:41], -v[32:33], v[32:33], v[26:27]
	s_delay_alu instid0(VALU_DEP_1) | instskip(NEXT) | instid1(VALU_DEP_1)
	v_fma_f64 v[32:33], v[40:41], v[30:31], v[32:33]
	v_fma_f64 v[40:41], -v[32:33], v[32:33], v[26:27]
	s_delay_alu instid0(VALU_DEP_1) | instskip(NEXT) | instid1(VALU_DEP_1)
	v_fma_f64 v[30:31], v[40:41], v[30:31], v[32:33]
	v_ldexp_f64 v[30:31], v[30:31], v3
	s_delay_alu instid0(VALU_DEP_1) | instskip(SKIP_1) | instid1(SALU_CYCLE_1)
	v_dual_cndmask_b32 v26, v30, v26 :: v_dual_cndmask_b32 v27, v31, v27
	s_and_saveexec_b32 s4, s1
	s_xor_b32 s1, exec_lo, s4
	s_cbranch_execz .LBB99_20
; %bb.19:
	s_delay_alu instid0(VALU_DEP_1) | instskip(SKIP_1) | instid1(VALU_DEP_1)
	v_add_f64 v[1:2], v[18:19], -v[26:27]
	v_add_f64 v[18:19], v[28:29], v[28:29]
	v_div_scale_f64 v[26:27], null, v[18:19], v[18:19], v[1:2]
	s_delay_alu instid0(VALU_DEP_1) | instskip(SKIP_2) | instid1(VALU_DEP_1)
	v_rcp_f64_e32 v[28:29], v[26:27]
	s_waitcnt_depctr 0xfff
	v_fma_f64 v[30:31], -v[26:27], v[28:29], 1.0
	v_fma_f64 v[28:29], v[28:29], v[30:31], v[28:29]
	s_delay_alu instid0(VALU_DEP_1) | instskip(NEXT) | instid1(VALU_DEP_1)
	v_fma_f64 v[30:31], -v[26:27], v[28:29], 1.0
	v_fma_f64 v[28:29], v[28:29], v[30:31], v[28:29]
	v_div_scale_f64 v[30:31], vcc_lo, v[1:2], v[18:19], v[1:2]
	s_delay_alu instid0(VALU_DEP_1) | instskip(NEXT) | instid1(VALU_DEP_1)
	v_mul_f64 v[32:33], v[30:31], v[28:29]
	v_fma_f64 v[26:27], -v[26:27], v[32:33], v[30:31]
	s_delay_alu instid0(VALU_DEP_1) | instskip(NEXT) | instid1(VALU_DEP_1)
	v_div_fmas_f64 v[26:27], v[26:27], v[28:29], v[32:33]
	v_div_fixup_f64 v[42:43], v[26:27], v[18:19], v[1:2]
                                        ; implicit-def: $vgpr1_vgpr2
                                        ; implicit-def: $vgpr18_vgpr19
                                        ; implicit-def: $vgpr26_vgpr27
.LBB99_20:
	s_and_not1_saveexec_b32 s1, s1
	s_cbranch_execz .LBB99_22
; %bb.21:
	v_add_f64 v[1:2], v[1:2], v[1:2]
	v_add_f64 v[18:19], v[18:19], v[26:27]
	s_delay_alu instid0(VALU_DEP_1) | instskip(NEXT) | instid1(VALU_DEP_1)
	v_div_scale_f64 v[26:27], null, v[18:19], v[18:19], v[1:2]
	v_rcp_f64_e32 v[28:29], v[26:27]
	s_waitcnt_depctr 0xfff
	v_fma_f64 v[30:31], -v[26:27], v[28:29], 1.0
	s_delay_alu instid0(VALU_DEP_1) | instskip(NEXT) | instid1(VALU_DEP_1)
	v_fma_f64 v[28:29], v[28:29], v[30:31], v[28:29]
	v_fma_f64 v[30:31], -v[26:27], v[28:29], 1.0
	s_delay_alu instid0(VALU_DEP_1) | instskip(SKIP_1) | instid1(VALU_DEP_1)
	v_fma_f64 v[28:29], v[28:29], v[30:31], v[28:29]
	v_div_scale_f64 v[30:31], vcc_lo, v[1:2], v[18:19], v[1:2]
	v_mul_f64 v[32:33], v[30:31], v[28:29]
	s_delay_alu instid0(VALU_DEP_1) | instskip(NEXT) | instid1(VALU_DEP_1)
	v_fma_f64 v[26:27], -v[26:27], v[32:33], v[30:31]
	v_div_fmas_f64 v[26:27], v[26:27], v[28:29], v[32:33]
	s_delay_alu instid0(VALU_DEP_1)
	v_div_fixup_f64 v[42:43], v[26:27], v[18:19], v[1:2]
.LBB99_22:
	s_or_b32 exec_lo, exec_lo, s1
	v_mul_f64 v[40:41], v[22:23], 0.5
	s_delay_alu instid0(VALU_DEP_2)
	v_add_f64 v[1:2], v[16:17], v[42:43]
	v_dual_mov_b32 v44, 0 :: v_dual_mov_b32 v27, v17
	v_dual_mov_b32 v45, 0 :: v_dual_mov_b32 v18, v0
	v_mov_b32_e32 v26, v16
.LBB99_23:
	s_or_b32 exec_lo, exec_lo, s2
	s_delay_alu instid0(SALU_CYCLE_1) | instskip(NEXT) | instid1(VALU_DEP_2)
	s_mov_b32 s2, exec_lo
	v_cmpx_lt_i32_e32 -1, v18
	s_cbranch_execz .LBB99_26
; %bb.24:
	v_dual_mov_b32 v29, v9 :: v_dual_add_nc_u32 v0, 1, v18
	v_mov_b32_e32 v28, v8
	s_mov_b32 s4, 0
.LBB99_25:                              ; =>This Inner Loop Header: Depth=1
	global_load_b64 v[30:31], v[28:29], off
	v_add_nc_u32_e32 v0, -1, v0
	s_delay_alu instid0(VALU_DEP_1)
	v_cmp_eq_u32_e32 vcc_lo, 0, v0
	s_or_b32 s4, vcc_lo, s4
	s_waitcnt vmcnt(0)
	v_add_f64 v[30:31], v[30:31], -v[26:27]
	global_store_b64 v[28:29], v[30:31], off
	v_add_co_u32 v28, s1, v28, 8
	s_delay_alu instid0(VALU_DEP_1)
	v_add_co_ci_u32_e64 v29, s1, 0, v29, s1
	s_and_not1_b32 exec_lo, exec_lo, s4
	s_cbranch_execnz .LBB99_25
.LBB99_26:
	s_or_b32 exec_lo, exec_lo, s2
	v_cmp_le_i32_e64 s4, v14, v18
	v_cmp_gt_i32_e64 s1, v14, v18
	s_delay_alu instid0(VALU_DEP_1)
	s_and_saveexec_b32 s5, s1
	s_cbranch_execz .LBB99_29
; %bb.27:
	v_lshlrev_b64 v[28:29], 3, v[14:15]
	v_add_co_u32 v0, vcc_lo, s12, v34
	v_add_co_ci_u32_e32 v3, vcc_lo, s13, v35, vcc_lo
	s_add_u32 s2, s18, s14
	s_delay_alu instid0(VALU_DEP_2) | instskip(NEXT) | instid1(VALU_DEP_2)
	v_add_co_u32 v0, vcc_lo, v0, v28
	v_add_co_ci_u32_e32 v3, vcc_lo, v3, v29, vcc_lo
	s_addc_u32 s6, s19, s15
	s_delay_alu instid0(VALU_DEP_2) | instskip(NEXT) | instid1(VALU_DEP_2)
	v_add_co_u32 v28, vcc_lo, s2, v0
	v_add_co_ci_u32_e32 v29, vcc_lo, s6, v3, vcc_lo
	v_mov_b32_e32 v0, v14
	s_mov_b32 s6, 0
.LBB99_28:                              ; =>This Inner Loop Header: Depth=1
	global_load_b64 v[30:31], v[28:29], off
	v_add_nc_u32_e32 v0, -1, v0
	s_delay_alu instid0(VALU_DEP_1)
	v_cmp_le_i32_e32 vcc_lo, v0, v18
	s_or_b32 s6, vcc_lo, s6
	s_waitcnt vmcnt(0)
	v_add_f64 v[30:31], v[30:31], -v[26:27]
	global_store_b64 v[28:29], v[30:31], off
	v_add_co_u32 v28, s2, v28, -8
	s_delay_alu instid0(VALU_DEP_1)
	v_add_co_ci_u32_e64 v29, s2, -1, v29, s2
	s_and_not1_b32 exec_lo, exec_lo, s6
	s_cbranch_execnz .LBB99_28
.LBB99_29:
	s_or_b32 exec_lo, exec_lo, s5
	v_ashrrev_i32_e32 v19, 31, v18
	v_mov_b32_e32 v46, 0
	v_mov_b32_e32 v47, 0
	v_cmp_lt_i32_e64 s2, 0, v18
	s_mov_b32 s7, 0
	v_lshlrev_b64 v[30:31], 3, v[18:19]
	s_delay_alu instid0(VALU_DEP_3) | instskip(SKIP_1) | instid1(VALU_DEP_3)
	v_dual_mov_b32 v53, v47 :: v_dual_mov_b32 v52, v46
	v_dual_mov_b32 v55, v47 :: v_dual_mov_b32 v54, v46
	v_add_co_u32 v28, vcc_lo, v8, v30
	s_delay_alu instid0(VALU_DEP_4)
	v_add_co_ci_u32_e32 v29, vcc_lo, v9, v31, vcc_lo
	global_load_b64 v[32:33], v[28:29], off
	s_waitcnt vmcnt(0)
	v_add_f64 v[32:33], v[32:33], -v[42:43]
	global_store_b64 v[28:29], v[32:33], off
	s_and_saveexec_b32 s6, s2
	s_cbranch_execz .LBB99_33
; %bb.30:
	v_dual_mov_b32 v46, 0 :: v_dual_mov_b32 v33, v13
	v_dual_mov_b32 v47, 0 :: v_dual_mov_b32 v32, v12
	;; [unrolled: 1-line block ×3, first 2 shown]
	s_delay_alu instid0(VALU_DEP_2) | instskip(NEXT) | instid1(VALU_DEP_4)
	v_dual_mov_b32 v48, v8 :: v_dual_mov_b32 v53, v47
	v_dual_mov_b32 v52, v46 :: v_dual_mov_b32 v55, v47
	v_mov_b32_e32 v54, v46
	s_set_inst_prefetch_distance 0x1
	.p2align	6
.LBB99_31:                              ; =>This Inner Loop Header: Depth=1
	global_load_b64 v[50:51], v[48:49], off
	v_add_nc_u32_e32 v0, -1, v0
	s_waitcnt vmcnt(0)
	v_add_f64 v[50:51], v[50:51], -v[42:43]
	global_store_b64 v[48:49], v[50:51], off
	global_load_b64 v[56:57], v[32:33], off
	v_add_co_u32 v48, s5, v48, 8
	s_delay_alu instid0(VALU_DEP_1) | instskip(SKIP_1) | instid1(VALU_DEP_1)
	v_add_co_ci_u32_e64 v49, s5, 0, v49, s5
	v_add_co_u32 v32, s5, v32, 8
	v_add_co_ci_u32_e64 v33, s5, 0, v33, s5
	s_waitcnt vmcnt(0)
	v_div_scale_f64 v[58:59], null, v[50:51], v[50:51], v[56:57]
	v_div_scale_f64 v[64:65], vcc_lo, v[56:57], v[50:51], v[56:57]
	s_delay_alu instid0(VALU_DEP_2) | instskip(SKIP_2) | instid1(VALU_DEP_1)
	v_rcp_f64_e32 v[60:61], v[58:59]
	s_waitcnt_depctr 0xfff
	v_fma_f64 v[62:63], -v[58:59], v[60:61], 1.0
	v_fma_f64 v[60:61], v[60:61], v[62:63], v[60:61]
	s_delay_alu instid0(VALU_DEP_1) | instskip(NEXT) | instid1(VALU_DEP_1)
	v_fma_f64 v[62:63], -v[58:59], v[60:61], 1.0
	v_fma_f64 v[60:61], v[60:61], v[62:63], v[60:61]
	s_delay_alu instid0(VALU_DEP_1) | instskip(NEXT) | instid1(VALU_DEP_1)
	v_mul_f64 v[62:63], v[64:65], v[60:61]
	v_fma_f64 v[58:59], -v[58:59], v[62:63], v[64:65]
	s_delay_alu instid0(VALU_DEP_1) | instskip(SKIP_2) | instid1(VALU_DEP_2)
	v_div_fmas_f64 v[58:59], v[58:59], v[60:61], v[62:63]
	v_cmp_eq_u32_e32 vcc_lo, 0, v0
	s_or_b32 s7, vcc_lo, s7
	v_div_fixup_f64 v[50:51], v[58:59], v[50:51], v[56:57]
	s_delay_alu instid0(VALU_DEP_1) | instskip(SKIP_1) | instid1(VALU_DEP_2)
	v_fma_f64 v[54:55], v[56:57], v[50:51], v[54:55]
	v_fma_f64 v[46:47], v[50:51], v[50:51], v[46:47]
	v_add_f64 v[52:53], v[52:53], v[54:55]
	s_and_not1_b32 exec_lo, exec_lo, s7
	s_cbranch_execnz .LBB99_31
; %bb.32:
	s_set_inst_prefetch_distance 0x2
	s_or_b32 exec_lo, exec_lo, s7
.LBB99_33:
	s_delay_alu instid0(SALU_CYCLE_1) | instskip(NEXT) | instid1(VALU_DEP_1)
	s_or_b32 exec_lo, exec_lo, s6
	v_dual_mov_b32 v50, 0 :: v_dual_and_b32 v53, 0x7fffffff, v53
	v_mov_b32_e32 v51, 0
	s_delay_alu instid0(VALU_DEP_1)
	v_dual_mov_b32 v59, v51 :: v_dual_mov_b32 v58, v50
	s_and_saveexec_b32 s6, s1
	s_cbranch_execz .LBB99_37
; %bb.34:
	v_lshlrev_b64 v[48:49], 3, v[14:15]
	v_add_co_u32 v0, vcc_lo, s12, v34
	v_add_co_ci_u32_e32 v3, vcc_lo, s13, v35, vcc_lo
	s_add_u32 s5, s18, s14
	s_delay_alu instid0(VALU_DEP_2)
	v_add_co_u32 v0, vcc_lo, v0, v48
	s_addc_u32 s7, s19, s15
	s_add_u32 s25, s10, s8
	v_add_co_ci_u32_e32 v3, vcc_lo, v3, v49, vcc_lo
	s_addc_u32 s26, s11, s9
	v_add_co_u32 v19, vcc_lo, s25, v36
	v_add_co_ci_u32_e32 v50, vcc_lo, s26, v37, vcc_lo
	v_add_co_u32 v32, vcc_lo, s5, v0
	v_add_co_ci_u32_e32 v33, vcc_lo, s7, v3, vcc_lo
	s_delay_alu instid0(VALU_DEP_4) | instskip(NEXT) | instid1(VALU_DEP_4)
	v_add_co_u32 v0, vcc_lo, v19, v48
	v_add_co_ci_u32_e32 v3, vcc_lo, v50, v49, vcc_lo
	v_mov_b32_e32 v50, 0
	v_mov_b32_e32 v51, 0
	s_delay_alu instid0(VALU_DEP_4) | instskip(SKIP_2) | instid1(VALU_DEP_4)
	v_add_co_u32 v48, vcc_lo, s16, v0
	v_mov_b32_e32 v0, v14
	v_add_co_ci_u32_e32 v49, vcc_lo, s17, v3, vcc_lo
	v_dual_mov_b32 v59, v51 :: v_dual_mov_b32 v58, v50
	s_mov_b32 s7, 0
	s_set_inst_prefetch_distance 0x1
	.p2align	6
.LBB99_35:                              ; =>This Inner Loop Header: Depth=1
	global_load_b64 v[56:57], v[32:33], off
	v_add_nc_u32_e32 v0, -1, v0
	s_waitcnt vmcnt(0)
	v_add_f64 v[56:57], v[56:57], -v[42:43]
	global_store_b64 v[32:33], v[56:57], off
	global_load_b64 v[60:61], v[48:49], off
	v_add_co_u32 v32, s5, v32, -8
	s_delay_alu instid0(VALU_DEP_1) | instskip(SKIP_1) | instid1(VALU_DEP_1)
	v_add_co_ci_u32_e64 v33, s5, -1, v33, s5
	v_add_co_u32 v48, s5, v48, -8
	v_add_co_ci_u32_e64 v49, s5, -1, v49, s5
	s_waitcnt vmcnt(0)
	v_div_scale_f64 v[62:63], null, v[56:57], v[56:57], v[60:61]
	v_div_scale_f64 v[68:69], vcc_lo, v[60:61], v[56:57], v[60:61]
	s_delay_alu instid0(VALU_DEP_2) | instskip(SKIP_2) | instid1(VALU_DEP_1)
	v_rcp_f64_e32 v[64:65], v[62:63]
	s_waitcnt_depctr 0xfff
	v_fma_f64 v[66:67], -v[62:63], v[64:65], 1.0
	v_fma_f64 v[64:65], v[64:65], v[66:67], v[64:65]
	s_delay_alu instid0(VALU_DEP_1) | instskip(NEXT) | instid1(VALU_DEP_1)
	v_fma_f64 v[66:67], -v[62:63], v[64:65], 1.0
	v_fma_f64 v[64:65], v[64:65], v[66:67], v[64:65]
	s_delay_alu instid0(VALU_DEP_1) | instskip(NEXT) | instid1(VALU_DEP_1)
	v_mul_f64 v[66:67], v[68:69], v[64:65]
	v_fma_f64 v[62:63], -v[62:63], v[66:67], v[68:69]
	s_delay_alu instid0(VALU_DEP_1) | instskip(SKIP_2) | instid1(VALU_DEP_2)
	v_div_fmas_f64 v[62:63], v[62:63], v[64:65], v[66:67]
	v_cmp_le_i32_e32 vcc_lo, v0, v18
	s_or_b32 s7, vcc_lo, s7
	v_div_fixup_f64 v[56:57], v[62:63], v[56:57], v[60:61]
	s_delay_alu instid0(VALU_DEP_1) | instskip(SKIP_1) | instid1(VALU_DEP_2)
	v_fma_f64 v[58:59], v[60:61], v[56:57], v[58:59]
	v_fma_f64 v[50:51], v[56:57], v[56:57], v[50:51]
	v_add_f64 v[52:53], v[52:53], v[58:59]
	s_and_not1_b32 exec_lo, exec_lo, s7
	s_cbranch_execnz .LBB99_35
; %bb.36:
	s_set_inst_prefetch_distance 0x2
	s_or_b32 exec_lo, exec_lo, s7
.LBB99_37:
	s_delay_alu instid0(SALU_CYCLE_1)
	s_or_b32 exec_lo, exec_lo, s6
	v_add_co_u32 v30, vcc_lo, v12, v30
	v_add_co_ci_u32_e32 v31, vcc_lo, v13, v31, vcc_lo
	s_mov_b32 s25, exec_lo
	global_load_b64 v[48:49], v[28:29], off
	global_load_b64 v[60:61], v[30:31], off
	s_waitcnt vmcnt(0)
	v_div_scale_f64 v[32:33], null, v[48:49], v[48:49], v[60:61]
	v_div_scale_f64 v[64:65], vcc_lo, v[60:61], v[48:49], v[60:61]
	s_delay_alu instid0(VALU_DEP_2) | instskip(SKIP_2) | instid1(VALU_DEP_1)
	v_rcp_f64_e32 v[56:57], v[32:33]
	s_waitcnt_depctr 0xfff
	v_fma_f64 v[62:63], -v[32:33], v[56:57], 1.0
	v_fma_f64 v[56:57], v[56:57], v[62:63], v[56:57]
	s_delay_alu instid0(VALU_DEP_1) | instskip(NEXT) | instid1(VALU_DEP_1)
	v_fma_f64 v[62:63], -v[32:33], v[56:57], 1.0
	v_fma_f64 v[56:57], v[56:57], v[62:63], v[56:57]
	s_delay_alu instid0(VALU_DEP_1) | instskip(NEXT) | instid1(VALU_DEP_1)
	v_mul_f64 v[62:63], v[64:65], v[56:57]
	v_fma_f64 v[32:33], -v[32:33], v[62:63], v[64:65]
	s_delay_alu instid0(VALU_DEP_1) | instskip(SKIP_3) | instid1(VALU_DEP_4)
	v_div_fmas_f64 v[32:33], v[32:33], v[56:57], v[62:63]
	v_add_f64 v[62:63], v[58:59], -v[54:55]
	v_add_f64 v[56:57], v[46:47], v[50:51]
	v_add_f64 v[54:55], v[24:25], v[54:55]
	v_div_fixup_f64 v[64:65], v[32:33], v[48:49], v[60:61]
	v_add_f64 v[32:33], v[24:25], v[24:25]
	s_delay_alu instid0(VALU_DEP_3) | instskip(NEXT) | instid1(VALU_DEP_3)
	v_add_f64 v[54:55], v[54:55], v[58:59]
	v_mul_f64 v[46:47], v[60:61], v[64:65]
	s_delay_alu instid0(VALU_DEP_3) | instskip(SKIP_1) | instid1(VALU_DEP_2)
	v_fma_f64 v[62:63], 0x40200000, v[62:63], v[32:33]
	v_fma_f64 v[50:51], v[64:65], v[64:65], v[56:57]
	v_fma_f64 v[46:47], 0x40080000, |v[46:47]|, v[62:63]
	s_delay_alu instid0(VALU_DEP_1) | instskip(NEXT) | instid1(VALU_DEP_1)
	v_fma_f64 v[46:47], |v[42:43]|, v[50:51], v[46:47]
	v_add_f64 v[46:47], v[52:53], v[46:47]
	v_fma_f64 v[52:53], v[60:61], v[64:65], v[54:55]
	s_delay_alu instid0(VALU_DEP_2) | instskip(NEXT) | instid1(VALU_DEP_1)
	v_mul_f64 v[46:47], v[46:47], s[22:23]
	v_cmpx_nle_f64_e64 |v[52:53]|, v[46:47]
	s_cbranch_execz .LBB99_121
; %bb.38:
	v_cndmask_b32_e64 v0, 8, 0, s3
	v_add_f64 v[16:17], v[16:17], -v[38:39]
	s_mov_b32 s5, exec_lo
	s_delay_alu instid0(VALU_DEP_2)
	v_add_co_u32 v0, vcc_lo, v20, v0
	v_add_co_ci_u32_e32 v1, vcc_lo, 0, v21, vcc_lo
	global_load_b64 v[46:47], v[0:1], off
	global_load_b128 v[0:3], v[10:11], off
	v_cndmask_b32_e64 v39, v23, v17, s3
	v_cndmask_b32_e64 v38, v22, v16, s3
	s_waitcnt vmcnt(1)
	s_delay_alu instid0(VALU_DEP_1) | instskip(NEXT) | instid1(VALU_DEP_1)
	v_mul_f64 v[38:39], v[38:39], v[46:47]
	v_mul_f64 v[38:39], v[46:47], v[38:39]
	s_waitcnt vmcnt(0)
	v_cndmask_b32_e64 v47, v3, v1, s3
	v_cndmask_b32_e64 v46, v2, v0, s3
	s_delay_alu instid0(VALU_DEP_1) | instskip(SKIP_1) | instid1(VALU_DEP_2)
	v_div_scale_f64 v[54:55], null, v[46:47], v[46:47], v[38:39]
	v_div_scale_f64 v[62:63], vcc_lo, v[38:39], v[46:47], v[38:39]
	v_rcp_f64_e32 v[58:59], v[54:55]
	s_waitcnt_depctr 0xfff
	v_fma_f64 v[60:61], -v[54:55], v[58:59], 1.0
	s_delay_alu instid0(VALU_DEP_1) | instskip(NEXT) | instid1(VALU_DEP_1)
	v_fma_f64 v[58:59], v[58:59], v[60:61], v[58:59]
	v_fma_f64 v[60:61], -v[54:55], v[58:59], 1.0
	s_delay_alu instid0(VALU_DEP_1) | instskip(NEXT) | instid1(VALU_DEP_1)
	v_fma_f64 v[58:59], v[58:59], v[60:61], v[58:59]
	v_mul_f64 v[60:61], v[62:63], v[58:59]
	s_delay_alu instid0(VALU_DEP_1) | instskip(NEXT) | instid1(VALU_DEP_1)
	v_fma_f64 v[54:55], -v[54:55], v[60:61], v[62:63]
	v_div_fmas_f64 v[54:55], v[54:55], v[58:59], v[60:61]
	s_delay_alu instid0(VALU_DEP_1) | instskip(NEXT) | instid1(VALU_DEP_1)
	v_div_fixup_f64 v[38:39], v[54:55], v[46:47], v[38:39]
	v_div_scale_f64 v[54:55], null, v[46:47], v[46:47], v[38:39]
	s_delay_alu instid0(VALU_DEP_1) | instskip(SKIP_2) | instid1(VALU_DEP_1)
	v_rcp_f64_e32 v[58:59], v[54:55]
	s_waitcnt_depctr 0xfff
	v_fma_f64 v[60:61], -v[54:55], v[58:59], 1.0
	v_fma_f64 v[58:59], v[58:59], v[60:61], v[58:59]
	s_delay_alu instid0(VALU_DEP_1) | instskip(NEXT) | instid1(VALU_DEP_1)
	v_fma_f64 v[60:61], -v[54:55], v[58:59], 1.0
	v_fma_f64 v[58:59], v[58:59], v[60:61], v[58:59]
	v_div_scale_f64 v[60:61], vcc_lo, v[38:39], v[46:47], v[38:39]
	s_delay_alu instid0(VALU_DEP_1) | instskip(NEXT) | instid1(VALU_DEP_1)
	v_mul_f64 v[62:63], v[60:61], v[58:59]
	v_fma_f64 v[54:55], -v[54:55], v[62:63], v[60:61]
	v_mul_f64 v[60:61], v[0:1], v[2:3]
	s_delay_alu instid0(VALU_DEP_2) | instskip(SKIP_2) | instid1(VALU_DEP_1)
	v_div_fmas_f64 v[54:55], v[54:55], v[58:59], v[62:63]
	v_cndmask_b32_e64 v59, v1, v3, s3
	v_cndmask_b32_e64 v58, v0, v2, s3
	v_fma_f64 v[58:59], -v[50:51], v[58:59], v[52:53]
	s_delay_alu instid0(VALU_DEP_4) | instskip(SKIP_2) | instid1(VALU_DEP_3)
	v_div_fixup_f64 v[38:39], v[54:55], v[46:47], v[38:39]
	v_add_f64 v[46:47], v[0:1], v[2:3]
	v_mul_f64 v[54:55], v[50:51], v[60:61]
	v_add_f64 v[58:59], v[58:59], -v[38:39]
	v_mul_f64 v[38:39], v[52:53], v[60:61]
	s_delay_alu instid0(VALU_DEP_3) | instskip(NEXT) | instid1(VALU_DEP_3)
	v_fma_f64 v[54:55], v[52:53], v[46:47], -v[54:55]
                                        ; implicit-def: $vgpr46_vgpr47
	v_cmpx_neq_f64_e32 0, v[58:59]
	s_xor_b32 s6, exec_lo, s5
	s_cbranch_execz .LBB99_44
; %bb.39:
	s_delay_alu instid0(VALU_DEP_3) | instskip(NEXT) | instid1(VALU_DEP_1)
	v_mul_f64 v[0:1], v[38:39], -4.0
	v_mul_f64 v[0:1], v[0:1], v[58:59]
	s_delay_alu instid0(VALU_DEP_1) | instskip(NEXT) | instid1(VALU_DEP_1)
	v_fma_f64 v[0:1], v[54:55], v[54:55], v[0:1]
	v_cmp_gt_f64_e64 s5, 0x10000000, |v[0:1]|
	s_delay_alu instid0(VALU_DEP_1) | instskip(SKIP_2) | instid1(VALU_DEP_3)
	v_cndmask_b32_e64 v2, 0, 1, s5
	v_cndmask_b32_e64 v19, 0, 0xffffff80, s5
	v_cmp_ge_f64_e64 s5, 0, v[54:55]
	v_lshlrev_b32_e32 v2, 8, v2
	s_delay_alu instid0(VALU_DEP_1) | instskip(NEXT) | instid1(VALU_DEP_1)
	v_ldexp_f64 v[0:1], |v[0:1]|, v2
	v_rsq_f64_e32 v[2:3], v[0:1]
	v_cmp_class_f64_e64 vcc_lo, v[0:1], 0x260
	s_waitcnt_depctr 0xfff
	v_mul_f64 v[46:47], v[0:1], v[2:3]
	v_mul_f64 v[2:3], v[2:3], 0.5
	s_delay_alu instid0(VALU_DEP_1) | instskip(NEXT) | instid1(VALU_DEP_1)
	v_fma_f64 v[56:57], -v[2:3], v[46:47], 0.5
	v_fma_f64 v[46:47], v[46:47], v[56:57], v[46:47]
	v_fma_f64 v[2:3], v[2:3], v[56:57], v[2:3]
	s_delay_alu instid0(VALU_DEP_2) | instskip(NEXT) | instid1(VALU_DEP_1)
	v_fma_f64 v[56:57], -v[46:47], v[46:47], v[0:1]
	v_fma_f64 v[46:47], v[56:57], v[2:3], v[46:47]
	s_delay_alu instid0(VALU_DEP_1) | instskip(NEXT) | instid1(VALU_DEP_1)
	v_fma_f64 v[56:57], -v[46:47], v[46:47], v[0:1]
	v_fma_f64 v[2:3], v[56:57], v[2:3], v[46:47]
                                        ; implicit-def: $vgpr46_vgpr47
	s_delay_alu instid0(VALU_DEP_1) | instskip(NEXT) | instid1(VALU_DEP_1)
	v_ldexp_f64 v[2:3], v[2:3], v19
	v_dual_cndmask_b32 v1, v3, v1 :: v_dual_cndmask_b32 v0, v2, v0
	s_and_saveexec_b32 s7, s5
	s_delay_alu instid0(SALU_CYCLE_1)
	s_xor_b32 s5, exec_lo, s7
	s_cbranch_execz .LBB99_41
; %bb.40:
	s_delay_alu instid0(VALU_DEP_1) | instskip(SKIP_1) | instid1(VALU_DEP_1)
	v_add_f64 v[0:1], v[54:55], -v[0:1]
	v_add_f64 v[2:3], v[58:59], v[58:59]
	v_div_scale_f64 v[38:39], null, v[2:3], v[2:3], v[0:1]
	s_delay_alu instid0(VALU_DEP_1) | instskip(SKIP_2) | instid1(VALU_DEP_1)
	v_rcp_f64_e32 v[46:47], v[38:39]
	s_waitcnt_depctr 0xfff
	v_fma_f64 v[54:55], -v[38:39], v[46:47], 1.0
	v_fma_f64 v[46:47], v[46:47], v[54:55], v[46:47]
	s_delay_alu instid0(VALU_DEP_1) | instskip(NEXT) | instid1(VALU_DEP_1)
	v_fma_f64 v[54:55], -v[38:39], v[46:47], 1.0
	v_fma_f64 v[46:47], v[46:47], v[54:55], v[46:47]
	v_div_scale_f64 v[54:55], vcc_lo, v[0:1], v[2:3], v[0:1]
	s_delay_alu instid0(VALU_DEP_1) | instskip(NEXT) | instid1(VALU_DEP_1)
	v_mul_f64 v[56:57], v[54:55], v[46:47]
	v_fma_f64 v[38:39], -v[38:39], v[56:57], v[54:55]
                                        ; implicit-def: $vgpr54_vgpr55
	s_delay_alu instid0(VALU_DEP_1) | instskip(NEXT) | instid1(VALU_DEP_1)
	v_div_fmas_f64 v[38:39], v[38:39], v[46:47], v[56:57]
	v_div_fixup_f64 v[46:47], v[38:39], v[2:3], v[0:1]
                                        ; implicit-def: $vgpr38_vgpr39
                                        ; implicit-def: $vgpr0_vgpr1
.LBB99_41:
	s_and_not1_saveexec_b32 s5, s5
	s_cbranch_execz .LBB99_43
; %bb.42:
	v_add_f64 v[2:3], v[38:39], v[38:39]
	v_add_f64 v[0:1], v[54:55], v[0:1]
	s_delay_alu instid0(VALU_DEP_1) | instskip(NEXT) | instid1(VALU_DEP_1)
	v_div_scale_f64 v[38:39], null, v[0:1], v[0:1], v[2:3]
	v_rcp_f64_e32 v[46:47], v[38:39]
	s_waitcnt_depctr 0xfff
	v_fma_f64 v[54:55], -v[38:39], v[46:47], 1.0
	s_delay_alu instid0(VALU_DEP_1) | instskip(NEXT) | instid1(VALU_DEP_1)
	v_fma_f64 v[46:47], v[46:47], v[54:55], v[46:47]
	v_fma_f64 v[54:55], -v[38:39], v[46:47], 1.0
	s_delay_alu instid0(VALU_DEP_1) | instskip(SKIP_1) | instid1(VALU_DEP_1)
	v_fma_f64 v[46:47], v[46:47], v[54:55], v[46:47]
	v_div_scale_f64 v[54:55], vcc_lo, v[2:3], v[0:1], v[2:3]
	v_mul_f64 v[56:57], v[54:55], v[46:47]
	s_delay_alu instid0(VALU_DEP_1) | instskip(NEXT) | instid1(VALU_DEP_1)
	v_fma_f64 v[38:39], -v[38:39], v[56:57], v[54:55]
	v_div_fmas_f64 v[38:39], v[38:39], v[46:47], v[56:57]
	s_delay_alu instid0(VALU_DEP_1)
	v_div_fixup_f64 v[46:47], v[38:39], v[0:1], v[2:3]
.LBB99_43:
	s_or_b32 exec_lo, exec_lo, s5
                                        ; implicit-def: $vgpr54_vgpr55
                                        ; implicit-def: $vgpr38_vgpr39
                                        ; implicit-def: $vgpr2_vgpr3
                                        ; implicit-def: $vgpr56_vgpr57
.LBB99_44:
	s_and_not1_saveexec_b32 s5, s6
	s_cbranch_execz .LBB99_52
; %bb.45:
	s_mov_b32 s6, exec_lo
	s_delay_alu instid0(VALU_DEP_2)
	v_cmpx_eq_f64_e32 0, v[54:55]
	s_cbranch_execz .LBB99_51
; %bb.46:
                                        ; implicit-def: $vgpr54_vgpr55
	s_and_saveexec_b32 s7, s0
	s_delay_alu instid0(SALU_CYCLE_1)
	s_xor_b32 s7, exec_lo, s7
	s_cbranch_execz .LBB99_48
; %bb.47:
	global_load_b64 v[2:3], v[20:21], off offset:8
	v_mul_f64 v[0:1], v[0:1], v[0:1]
	s_waitcnt vmcnt(0)
	v_mul_f64 v[2:3], v[2:3], v[2:3]
	s_delay_alu instid0(VALU_DEP_1)
	v_fma_f64 v[54:55], v[56:57], v[0:1], v[2:3]
                                        ; implicit-def: $vgpr2_vgpr3
                                        ; implicit-def: $vgpr56_vgpr57
.LBB99_48:
	s_and_not1_saveexec_b32 s7, s7
	s_cbranch_execz .LBB99_50
; %bb.49:
	global_load_b64 v[0:1], v[20:21], off
	v_mul_f64 v[2:3], v[2:3], v[2:3]
	s_waitcnt vmcnt(0)
	v_mul_f64 v[0:1], v[0:1], v[0:1]
	s_delay_alu instid0(VALU_DEP_1)
	v_fma_f64 v[54:55], v[56:57], v[2:3], v[0:1]
.LBB99_50:
	s_or_b32 exec_lo, exec_lo, s7
.LBB99_51:
	s_delay_alu instid0(SALU_CYCLE_1) | instskip(NEXT) | instid1(VALU_DEP_1)
	s_or_b32 exec_lo, exec_lo, s6
	v_div_scale_f64 v[0:1], null, v[54:55], v[54:55], v[38:39]
	s_delay_alu instid0(VALU_DEP_1) | instskip(SKIP_2) | instid1(VALU_DEP_1)
	v_rcp_f64_e32 v[2:3], v[0:1]
	s_waitcnt_depctr 0xfff
	v_fma_f64 v[46:47], -v[0:1], v[2:3], 1.0
	v_fma_f64 v[2:3], v[2:3], v[46:47], v[2:3]
	s_delay_alu instid0(VALU_DEP_1) | instskip(NEXT) | instid1(VALU_DEP_1)
	v_fma_f64 v[46:47], -v[0:1], v[2:3], 1.0
	v_fma_f64 v[2:3], v[2:3], v[46:47], v[2:3]
	v_div_scale_f64 v[46:47], vcc_lo, v[38:39], v[54:55], v[38:39]
	s_delay_alu instid0(VALU_DEP_1) | instskip(NEXT) | instid1(VALU_DEP_1)
	v_mul_f64 v[56:57], v[46:47], v[2:3]
	v_fma_f64 v[0:1], -v[0:1], v[56:57], v[46:47]
	s_delay_alu instid0(VALU_DEP_1) | instskip(NEXT) | instid1(VALU_DEP_1)
	v_div_fmas_f64 v[0:1], v[0:1], v[2:3], v[56:57]
	v_div_fixup_f64 v[46:47], v[0:1], v[54:55], v[38:39]
.LBB99_52:
	s_or_b32 exec_lo, exec_lo, s5
	s_delay_alu instid0(VALU_DEP_1) | instskip(SKIP_1) | instid1(VALU_DEP_1)
	v_mul_f64 v[0:1], v[52:53], v[46:47]
	s_mov_b32 s5, exec_lo
	v_cmpx_le_f64_e32 0, v[0:1]
; %bb.53:
	v_div_scale_f64 v[0:1], null, v[50:51], v[50:51], -v[52:53]
	s_delay_alu instid0(VALU_DEP_1) | instskip(SKIP_2) | instid1(VALU_DEP_1)
	v_rcp_f64_e32 v[2:3], v[0:1]
	s_waitcnt_depctr 0xfff
	v_fma_f64 v[38:39], -v[0:1], v[2:3], 1.0
	v_fma_f64 v[2:3], v[2:3], v[38:39], v[2:3]
	s_delay_alu instid0(VALU_DEP_1) | instskip(NEXT) | instid1(VALU_DEP_1)
	v_fma_f64 v[38:39], -v[0:1], v[2:3], 1.0
	v_fma_f64 v[2:3], v[2:3], v[38:39], v[2:3]
	v_div_scale_f64 v[38:39], vcc_lo, -v[52:53], v[50:51], -v[52:53]
	s_delay_alu instid0(VALU_DEP_1) | instskip(NEXT) | instid1(VALU_DEP_1)
	v_mul_f64 v[46:47], v[38:39], v[2:3]
	v_fma_f64 v[0:1], -v[0:1], v[46:47], v[38:39]
	s_delay_alu instid0(VALU_DEP_1) | instskip(NEXT) | instid1(VALU_DEP_1)
	v_div_fmas_f64 v[0:1], v[0:1], v[2:3], v[46:47]
	v_div_fixup_f64 v[46:47], v[0:1], v[50:51], -v[52:53]
; %bb.54:
	s_or_b32 exec_lo, exec_lo, s5
	v_cmp_lt_f64_e32 vcc_lo, v[44:45], v[42:43]
	v_cmp_lt_f64_e64 s5, 0, v[52:53]
	v_cmp_lt_f64_e64 s6, v[42:43], v[40:41]
	s_delay_alu instid0(VALU_DEP_4) | instskip(SKIP_2) | instid1(VALU_DEP_4)
	v_add_f64 v[0:1], v[42:43], v[46:47]
	v_dual_cndmask_b32 v2, v44, v42 :: v_dual_cndmask_b32 v3, v45, v43
	v_cmp_nge_f64_e32 vcc_lo, 0, v[52:53]
	s_and_b32 s5, s5, s6
	s_delay_alu instid0(SALU_CYCLE_1) | instskip(SKIP_2) | instid1(VALU_DEP_2)
	v_cndmask_b32_e64 v41, v41, v43, s5
	v_cndmask_b32_e64 v40, v40, v42, s5
	v_dual_cndmask_b32 v39, v3, v45 :: v_dual_cndmask_b32 v38, v2, v44
	v_cmp_gt_f64_e32 vcc_lo, v[0:1], v[40:41]
	s_delay_alu instid0(VALU_DEP_2) | instskip(NEXT) | instid1(VALU_DEP_1)
	v_cmp_lt_f64_e64 s5, v[0:1], v[38:39]
	s_or_b32 s6, vcc_lo, s5
	s_delay_alu instid0(SALU_CYCLE_1)
	s_and_saveexec_b32 s5, s6
	s_cbranch_execz .LBB99_60
; %bb.55:
	s_mov_b32 s6, exec_lo
                                        ; implicit-def: $vgpr46_vgpr47
	v_cmpx_ngt_f64_e32 0, v[52:53]
	s_xor_b32 s6, exec_lo, s6
; %bb.56:
	v_add_f64 v[0:1], v[38:39], -v[42:43]
	s_delay_alu instid0(VALU_DEP_1)
	v_mul_f64 v[46:47], v[0:1], 0.5
; %bb.57:
	s_and_not1_saveexec_b32 s6, s6
; %bb.58:
	v_add_f64 v[0:1], v[40:41], -v[42:43]
	s_delay_alu instid0(VALU_DEP_1)
	v_mul_f64 v[46:47], v[0:1], 0.5
; %bb.59:
	s_or_b32 exec_lo, exec_lo, s6
.LBB99_60:
	s_delay_alu instid0(SALU_CYCLE_1) | instskip(NEXT) | instid1(VALU_DEP_1)
	s_or_b32 exec_lo, exec_lo, s5
	v_add_f64 v[48:49], v[48:49], -v[46:47]
	v_mov_b32_e32 v44, 0
	v_mov_b32_e32 v45, 0
	s_delay_alu instid0(VALU_DEP_2) | instskip(NEXT) | instid1(VALU_DEP_2)
	v_mov_b32_e32 v0, v44
	v_dual_mov_b32 v2, v44 :: v_dual_mov_b32 v3, v45
	v_mov_b32_e32 v1, v45
	global_store_b64 v[28:29], v[48:49], off
	s_and_saveexec_b32 s6, s2
	s_cbranch_execz .LBB99_64
; %bb.61:
	v_dual_mov_b32 v44, 0 :: v_dual_mov_b32 v49, v13
	v_dual_mov_b32 v45, 0 :: v_dual_mov_b32 v48, v12
	s_delay_alu instid0(VALU_DEP_2) | instskip(NEXT) | instid1(VALU_DEP_2)
	v_dual_mov_b32 v19, v18 :: v_dual_mov_b32 v0, v44
	v_dual_mov_b32 v2, v44 :: v_dual_mov_b32 v1, v45
	;; [unrolled: 1-line block ×3, first 2 shown]
	v_mov_b32_e32 v3, v45
	s_mov_b32 s7, 0
	s_set_inst_prefetch_distance 0x1
	.p2align	6
.LBB99_62:                              ; =>This Inner Loop Header: Depth=1
	global_load_b64 v[54:55], v[50:51], off
	v_add_nc_u32_e32 v19, -1, v19
	s_waitcnt vmcnt(0)
	v_add_f64 v[54:55], v[54:55], -v[46:47]
	global_store_b64 v[50:51], v[54:55], off
	global_load_b64 v[56:57], v[48:49], off
	v_add_co_u32 v50, s5, v50, 8
	s_delay_alu instid0(VALU_DEP_1) | instskip(SKIP_1) | instid1(VALU_DEP_1)
	v_add_co_ci_u32_e64 v51, s5, 0, v51, s5
	v_add_co_u32 v48, s5, v48, 8
	v_add_co_ci_u32_e64 v49, s5, 0, v49, s5
	s_waitcnt vmcnt(0)
	v_div_scale_f64 v[58:59], null, v[54:55], v[54:55], v[56:57]
	v_div_scale_f64 v[64:65], vcc_lo, v[56:57], v[54:55], v[56:57]
	s_delay_alu instid0(VALU_DEP_2) | instskip(SKIP_2) | instid1(VALU_DEP_1)
	v_rcp_f64_e32 v[60:61], v[58:59]
	s_waitcnt_depctr 0xfff
	v_fma_f64 v[62:63], -v[58:59], v[60:61], 1.0
	v_fma_f64 v[60:61], v[60:61], v[62:63], v[60:61]
	s_delay_alu instid0(VALU_DEP_1) | instskip(NEXT) | instid1(VALU_DEP_1)
	v_fma_f64 v[62:63], -v[58:59], v[60:61], 1.0
	v_fma_f64 v[60:61], v[60:61], v[62:63], v[60:61]
	s_delay_alu instid0(VALU_DEP_1) | instskip(NEXT) | instid1(VALU_DEP_1)
	v_mul_f64 v[62:63], v[64:65], v[60:61]
	v_fma_f64 v[58:59], -v[58:59], v[62:63], v[64:65]
	s_delay_alu instid0(VALU_DEP_1) | instskip(SKIP_2) | instid1(VALU_DEP_2)
	v_div_fmas_f64 v[58:59], v[58:59], v[60:61], v[62:63]
	v_cmp_eq_u32_e32 vcc_lo, 0, v19
	s_or_b32 s7, vcc_lo, s7
	v_div_fixup_f64 v[54:55], v[58:59], v[54:55], v[56:57]
	s_delay_alu instid0(VALU_DEP_1) | instskip(SKIP_1) | instid1(VALU_DEP_2)
	v_fma_f64 v[2:3], v[56:57], v[54:55], v[2:3]
	v_fma_f64 v[44:45], v[54:55], v[54:55], v[44:45]
	v_add_f64 v[0:1], v[0:1], v[2:3]
	s_and_not1_b32 exec_lo, exec_lo, s7
	s_cbranch_execnz .LBB99_62
; %bb.63:
	s_set_inst_prefetch_distance 0x2
	s_or_b32 exec_lo, exec_lo, s7
.LBB99_64:
	s_delay_alu instid0(SALU_CYCLE_1) | instskip(NEXT) | instid1(VALU_DEP_1)
	s_or_b32 exec_lo, exec_lo, s6
	v_and_b32_e32 v1, 0x7fffffff, v1
                                        ; implicit-def: $sgpr6_sgpr7
                                        ; implicit-def: $vgpr56_vgpr57
                                        ; implicit-def: $vgpr58_vgpr59
	s_and_saveexec_b32 s5, s4
	s_delay_alu instid0(SALU_CYCLE_1)
	s_xor_b32 s4, exec_lo, s5
	s_cbranch_execz .LBB99_66
; %bb.65:
	v_lshlrev_b64 v[48:49], 3, v[14:15]
	v_add_co_u32 v15, vcc_lo, s12, v34
	v_add_co_ci_u32_e32 v19, vcc_lo, s13, v35, vcc_lo
	s_add_u32 s5, s10, s8
	s_delay_alu instid0(VALU_DEP_2) | instskip(NEXT) | instid1(VALU_DEP_2)
	v_add_co_u32 v15, vcc_lo, v15, v48
	v_add_co_ci_u32_e32 v19, vcc_lo, v19, v49, vcc_lo
	s_addc_u32 s6, s11, s9
	v_add_co_u32 v34, vcc_lo, s5, v36
	v_add_co_ci_u32_e32 v35, vcc_lo, s6, v37, vcc_lo
	v_add_co_u32 v56, vcc_lo, v15, s14
	v_add_co_ci_u32_e32 v57, vcc_lo, s15, v19, vcc_lo
	s_delay_alu instid0(VALU_DEP_4) | instskip(NEXT) | instid1(VALU_DEP_4)
	v_add_co_u32 v58, vcc_lo, v34, v48
	v_add_co_ci_u32_e32 v59, vcc_lo, v35, v49, vcc_lo
	s_mov_b64 s[6:7], 0
                                        ; implicit-def: $vgpr34_vgpr35
                                        ; implicit-def: $vgpr36_vgpr37
.LBB99_66:
	s_or_saveexec_b32 s5, s4
	v_dual_mov_b32 v51, s7 :: v_dual_mov_b32 v50, s6
	v_dual_mov_b32 v55, s7 :: v_dual_mov_b32 v54, s6
	s_xor_b32 exec_lo, exec_lo, s5
	s_cbranch_execz .LBB99_70
; %bb.67:
	v_lshlrev_b64 v[48:49], 3, v[14:15]
	v_add_co_u32 v15, vcc_lo, s12, v34
	v_add_co_ci_u32_e32 v19, vcc_lo, s13, v35, vcc_lo
	s_add_u32 s4, s10, s8
	s_delay_alu instid0(VALU_DEP_2) | instskip(NEXT) | instid1(VALU_DEP_2)
	v_add_co_u32 v15, vcc_lo, v15, v48
	v_add_co_ci_u32_e32 v19, vcc_lo, v19, v49, vcc_lo
	s_addc_u32 s6, s11, s9
	s_delay_alu instid0(VALU_DEP_2) | instskip(NEXT) | instid1(VALU_DEP_2)
	v_add_co_u32 v56, vcc_lo, v15, s14
	v_add_co_ci_u32_e32 v57, vcc_lo, s15, v19, vcc_lo
	v_add_co_u32 v15, vcc_lo, s4, v36
	v_add_co_ci_u32_e32 v19, vcc_lo, s6, v37, vcc_lo
	s_delay_alu instid0(VALU_DEP_4) | instskip(NEXT) | instid1(VALU_DEP_4)
	v_add_co_u32 v34, vcc_lo, s18, v56
	v_add_co_ci_u32_e32 v35, vcc_lo, s19, v57, vcc_lo
	s_delay_alu instid0(VALU_DEP_4) | instskip(SKIP_3) | instid1(VALU_DEP_4)
	v_add_co_u32 v58, vcc_lo, v15, v48
	v_dual_mov_b32 v50, 0 :: v_dual_mov_b32 v15, v14
	v_add_co_ci_u32_e32 v59, vcc_lo, v19, v49, vcc_lo
	v_mov_b32_e32 v51, 0
	v_add_co_u32 v36, vcc_lo, s16, v58
	s_delay_alu instid0(VALU_DEP_3) | instskip(NEXT) | instid1(VALU_DEP_3)
	v_add_co_ci_u32_e32 v37, vcc_lo, s17, v59, vcc_lo
	v_dual_mov_b32 v55, v51 :: v_dual_mov_b32 v54, v50
	s_mov_b32 s6, 0
	s_set_inst_prefetch_distance 0x1
	.p2align	6
.LBB99_68:                              ; =>This Inner Loop Header: Depth=1
	global_load_b64 v[48:49], v[34:35], off
	v_add_nc_u32_e32 v15, -1, v15
	s_waitcnt vmcnt(0)
	v_add_f64 v[48:49], v[48:49], -v[46:47]
	global_store_b64 v[34:35], v[48:49], off
	global_load_b64 v[60:61], v[36:37], off
	v_add_co_u32 v34, s4, v34, -8
	s_delay_alu instid0(VALU_DEP_1) | instskip(SKIP_1) | instid1(VALU_DEP_1)
	v_add_co_ci_u32_e64 v35, s4, -1, v35, s4
	v_add_co_u32 v36, s4, v36, -8
	v_add_co_ci_u32_e64 v37, s4, -1, v37, s4
	s_waitcnt vmcnt(0)
	v_div_scale_f64 v[62:63], null, v[48:49], v[48:49], v[60:61]
	v_div_scale_f64 v[68:69], vcc_lo, v[60:61], v[48:49], v[60:61]
	s_delay_alu instid0(VALU_DEP_2) | instskip(SKIP_2) | instid1(VALU_DEP_1)
	v_rcp_f64_e32 v[64:65], v[62:63]
	s_waitcnt_depctr 0xfff
	v_fma_f64 v[66:67], -v[62:63], v[64:65], 1.0
	v_fma_f64 v[64:65], v[64:65], v[66:67], v[64:65]
	s_delay_alu instid0(VALU_DEP_1) | instskip(NEXT) | instid1(VALU_DEP_1)
	v_fma_f64 v[66:67], -v[62:63], v[64:65], 1.0
	v_fma_f64 v[64:65], v[64:65], v[66:67], v[64:65]
	s_delay_alu instid0(VALU_DEP_1) | instskip(NEXT) | instid1(VALU_DEP_1)
	v_mul_f64 v[66:67], v[68:69], v[64:65]
	v_fma_f64 v[62:63], -v[62:63], v[66:67], v[68:69]
	s_delay_alu instid0(VALU_DEP_1) | instskip(SKIP_2) | instid1(VALU_DEP_2)
	v_div_fmas_f64 v[62:63], v[62:63], v[64:65], v[66:67]
	v_cmp_le_i32_e32 vcc_lo, v15, v18
	s_or_b32 s6, vcc_lo, s6
	v_div_fixup_f64 v[48:49], v[62:63], v[48:49], v[60:61]
	s_delay_alu instid0(VALU_DEP_1) | instskip(SKIP_1) | instid1(VALU_DEP_2)
	v_fma_f64 v[54:55], v[60:61], v[48:49], v[54:55]
	v_fma_f64 v[50:51], v[48:49], v[48:49], v[50:51]
	v_add_f64 v[0:1], v[0:1], v[54:55]
	s_and_not1_b32 exec_lo, exec_lo, s6
	s_cbranch_execnz .LBB99_68
; %bb.69:
	s_set_inst_prefetch_distance 0x2
	s_or_b32 exec_lo, exec_lo, s6
.LBB99_70:
	s_delay_alu instid0(SALU_CYCLE_1)
	s_or_b32 exec_lo, exec_lo, s5
	global_load_b64 v[36:37], v[30:31], off
	global_load_b64 v[48:49], v[28:29], off
	v_dual_mov_b32 v64, v52 :: v_dual_and_b32 v65, 0x7fffffff, v53
	s_mov_b32 s6, 1
	s_mov_b32 s5, 0
                                        ; implicit-def: $sgpr8
                                        ; implicit-def: $sgpr9
	s_waitcnt vmcnt(0)
	v_div_scale_f64 v[34:35], null, v[48:49], v[48:49], v[36:37]
	v_div_scale_f64 v[70:71], vcc_lo, v[36:37], v[48:49], v[36:37]
	s_delay_alu instid0(VALU_DEP_2) | instskip(SKIP_2) | instid1(VALU_DEP_1)
	v_rcp_f64_e32 v[60:61], v[34:35]
	s_waitcnt_depctr 0xfff
	v_fma_f64 v[62:63], -v[34:35], v[60:61], 1.0
	v_fma_f64 v[60:61], v[60:61], v[62:63], v[60:61]
	v_div_scale_f64 v[62:63], null, 0x40240000, 0x40240000, v[64:65]
	s_delay_alu instid0(VALU_DEP_2) | instskip(NEXT) | instid1(VALU_DEP_2)
	v_fma_f64 v[66:67], -v[34:35], v[60:61], 1.0
	v_rcp_f64_e32 v[68:69], v[62:63]
	s_delay_alu instid0(VALU_DEP_1) | instskip(SKIP_3) | instid1(VALU_DEP_2)
	v_fma_f64 v[60:61], v[60:61], v[66:67], v[60:61]
	s_waitcnt_depctr 0xfff
	v_fma_f64 v[66:67], -v[62:63], v[68:69], 1.0
	v_mul_f64 v[72:73], v[70:71], v[60:61]
	v_fma_f64 v[66:67], v[68:69], v[66:67], v[68:69]
	s_delay_alu instid0(VALU_DEP_2) | instskip(NEXT) | instid1(VALU_DEP_2)
	v_fma_f64 v[34:35], -v[34:35], v[72:73], v[70:71]
	v_fma_f64 v[68:69], -v[62:63], v[66:67], 1.0
	s_delay_alu instid0(VALU_DEP_2) | instskip(SKIP_1) | instid1(VALU_DEP_3)
	v_div_fmas_f64 v[34:35], v[34:35], v[60:61], v[72:73]
	v_div_scale_f64 v[64:65], vcc_lo, v[64:65], 0x40240000, v[64:65]
	v_fma_f64 v[66:67], v[66:67], v[68:69], v[66:67]
	v_add_f64 v[68:69], v[54:55], -v[2:3]
	v_add_f64 v[2:3], v[24:25], v[2:3]
	v_add_f64 v[72:73], v[44:45], v[50:51]
	v_div_fixup_f64 v[60:61], v[34:35], v[48:49], v[36:37]
	v_add_f64 v[34:35], v[42:43], v[46:47]
	v_mul_f64 v[70:71], v[64:65], v[66:67]
	v_fma_f64 v[68:69], 0x40200000, v[68:69], v[32:33]
	v_add_f64 v[2:3], v[2:3], v[54:55]
	v_mul_f64 v[74:75], v[36:37], v[60:61]
	v_fma_f64 v[54:55], v[60:61], v[60:61], v[72:73]
	v_fma_f64 v[62:63], -v[62:63], v[70:71], v[64:65]
	s_delay_alu instid0(VALU_DEP_4) | instskip(NEXT) | instid1(VALU_DEP_4)
	v_fma_f64 v[46:47], v[36:37], v[60:61], v[2:3]
	v_fma_f64 v[42:43], 0x40080000, |v[74:75]|, v[68:69]
	s_delay_alu instid0(VALU_DEP_3) | instskip(NEXT) | instid1(VALU_DEP_3)
	v_div_fmas_f64 v[62:63], v[62:63], v[66:67], v[70:71]
	v_xor_b32_e32 v15, 0x80000000, v47
	s_delay_alu instid0(VALU_DEP_3) | instskip(SKIP_1) | instid1(VALU_DEP_3)
	v_fma_f64 v[2:3], |v[34:35]|, v[54:55], v[42:43]
	v_cndmask_b32_e64 v42, v46, v46, s3
	v_cndmask_b32_e64 v43, v47, v15, s3
	v_div_fixup_f64 v[36:37], v[62:63], 0x40240000, |v[52:53]|
	s_delay_alu instid0(VALU_DEP_4) | instskip(NEXT) | instid1(VALU_DEP_2)
	v_add_f64 v[0:1], v[0:1], v[2:3]
	v_cmp_gt_f64_e64 s7, v[42:43], v[36:37]
	v_add_co_u32 v36, vcc_lo, s18, v56
	v_add_co_ci_u32_e32 v37, vcc_lo, s19, v57, vcc_lo
	v_add_co_u32 v42, vcc_lo, s16, v58
	v_add_co_ci_u32_e32 v43, vcc_lo, s17, v59, vcc_lo
	s_branch .LBB99_73
.LBB99_71:                              ;   in Loop: Header=BB99_73 Depth=1
	s_or_b32 exec_lo, exec_lo, s4
	global_load_b64 v[56:57], v[30:31], off
	global_load_b64 v[48:49], v[28:29], off
	v_dual_mov_b32 v64, v46 :: v_dual_and_b32 v65, 0x7fffffff, v47
	v_add_f64 v[34:35], v[34:35], v[52:53]
	s_add_i32 s6, s6, 1
	s_delay_alu instid0(VALU_DEP_2) | instskip(SKIP_4) | instid1(VALU_DEP_2)
	v_div_scale_f64 v[66:67], null, 0x40240000, 0x40240000, v[64:65]
	v_div_scale_f64 v[64:65], s3, v[64:65], 0x40240000, v[64:65]
	s_waitcnt vmcnt(0)
	v_div_scale_f64 v[58:59], null, v[48:49], v[48:49], v[56:57]
	v_div_scale_f64 v[72:73], vcc_lo, v[56:57], v[48:49], v[56:57]
	v_rcp_f64_e32 v[60:61], v[58:59]
	s_waitcnt_depctr 0xfff
	v_fma_f64 v[62:63], -v[58:59], v[60:61], 1.0
	s_delay_alu instid0(VALU_DEP_1) | instskip(SKIP_1) | instid1(VALU_DEP_1)
	v_fma_f64 v[60:61], v[60:61], v[62:63], v[60:61]
	v_rcp_f64_e32 v[62:63], v[66:67]
	v_fma_f64 v[68:69], -v[58:59], v[60:61], 1.0
	s_waitcnt_depctr 0xfff
	v_fma_f64 v[70:71], -v[66:67], v[62:63], 1.0
	v_fma_f64 v[60:61], v[60:61], v[68:69], v[60:61]
	s_delay_alu instid0(VALU_DEP_2) | instskip(NEXT) | instid1(VALU_DEP_2)
	v_fma_f64 v[62:63], v[62:63], v[70:71], v[62:63]
	v_mul_f64 v[68:69], v[72:73], v[60:61]
	s_delay_alu instid0(VALU_DEP_2) | instskip(NEXT) | instid1(VALU_DEP_2)
	v_fma_f64 v[70:71], -v[66:67], v[62:63], 1.0
	v_fma_f64 v[58:59], -v[58:59], v[68:69], v[72:73]
	s_delay_alu instid0(VALU_DEP_2) | instskip(NEXT) | instid1(VALU_DEP_2)
	v_fma_f64 v[62:63], v[62:63], v[70:71], v[62:63]
	v_div_fmas_f64 v[58:59], v[58:59], v[60:61], v[68:69]
	v_add_f64 v[68:69], v[24:25], v[2:3]
	v_add_f64 v[2:3], v[54:55], -v[2:3]
	s_delay_alu instid0(VALU_DEP_4) | instskip(SKIP_1) | instid1(VALU_DEP_4)
	v_mul_f64 v[70:71], v[64:65], v[62:63]
	s_mov_b32 vcc_lo, s3
	v_div_fixup_f64 v[60:61], v[58:59], v[48:49], v[56:57]
	s_delay_alu instid0(VALU_DEP_4) | instskip(NEXT) | instid1(VALU_DEP_4)
	v_add_f64 v[54:55], v[68:69], v[54:55]
	v_fma_f64 v[2:3], 0x40200000, v[2:3], v[32:33]
	s_delay_alu instid0(VALU_DEP_4) | instskip(SKIP_3) | instid1(VALU_DEP_4)
	v_fma_f64 v[58:59], -v[66:67], v[70:71], v[64:65]
	v_add_f64 v[64:65], v[44:45], v[50:51]
	v_mul_f64 v[66:67], v[56:57], v[60:61]
	v_fma_f64 v[56:57], v[56:57], v[60:61], v[54:55]
	v_div_fmas_f64 v[58:59], v[58:59], v[62:63], v[70:71]
	s_delay_alu instid0(VALU_DEP_4) | instskip(NEXT) | instid1(VALU_DEP_4)
	v_fma_f64 v[54:55], v[60:61], v[60:61], v[64:65]
	v_fma_f64 v[2:3], 0x40080000, |v[66:67]|, v[2:3]
	s_delay_alu instid0(VALU_DEP_4) | instskip(NEXT) | instid1(VALU_DEP_4)
	v_mul_f64 v[52:53], v[46:47], v[56:57]
	v_div_fixup_f64 v[46:47], v[58:59], 0x40240000, |v[46:47]|
	s_delay_alu instid0(VALU_DEP_3) | instskip(NEXT) | instid1(VALU_DEP_3)
	v_fma_f64 v[2:3], |v[34:35]|, v[54:55], v[2:3]
	v_cmp_lt_f64_e32 vcc_lo, 0, v[52:53]
	s_delay_alu instid0(VALU_DEP_3) | instskip(SKIP_1) | instid1(VALU_DEP_4)
	v_cmp_gt_f64_e64 s3, |v[56:57]|, v[46:47]
	v_dual_mov_b32 v46, v56 :: v_dual_mov_b32 v47, v57
	v_add_f64 v[0:1], v[0:1], v[2:3]
	s_delay_alu instid0(VALU_DEP_3) | instskip(NEXT) | instid1(SALU_CYCLE_1)
	s_and_b32 s3, vcc_lo, s3
	s_xor_b32 s3, s7, s3
	s_cmp_eq_u32 s6, 50
	s_cselect_b32 s4, -1, 0
	s_and_not1_b32 s7, s9, exec_lo
	s_and_b32 s3, s3, exec_lo
	s_and_not1_b32 s8, s8, exec_lo
	s_and_b32 s4, s4, exec_lo
	s_or_b32 s9, s7, s3
	s_or_b32 s8, s8, s4
                                        ; implicit-def: $sgpr7
.LBB99_72:                              ;   in Loop: Header=BB99_73 Depth=1
	s_or_b32 exec_lo, exec_lo, s10
	s_delay_alu instid0(SALU_CYCLE_1) | instskip(NEXT) | instid1(SALU_CYCLE_1)
	s_and_b32 s3, exec_lo, s8
	s_or_b32 s5, s3, s5
	s_and_not1_b32 s3, s7, exec_lo
	s_and_b32 s4, s9, exec_lo
	s_delay_alu instid0(SALU_CYCLE_1)
	s_or_b32 s7, s3, s4
	s_and_not1_b32 exec_lo, exec_lo, s5
	s_cbranch_execz .LBB99_120
.LBB99_73:                              ; =>This Loop Header: Depth=1
                                        ;     Child Loop BB99_114 Depth 2
                                        ;     Child Loop BB99_118 Depth 2
	s_delay_alu instid0(VALU_DEP_1) | instskip(SKIP_2) | instid1(VALU_DEP_1)
	v_mul_f64 v[0:1], v[0:1], s[22:23]
	s_and_not1_b32 s9, s9, exec_lo
	s_or_b32 s8, s8, exec_lo
	v_cmp_nle_f64_e64 s3, |v[46:47]|, v[0:1]
                                        ; implicit-def: $vgpr0_vgpr1
	s_delay_alu instid0(VALU_DEP_1)
	s_and_saveexec_b32 s10, s3
	s_cbranch_execz .LBB99_72
; %bb.74:                               ;   in Loop: Header=BB99_73 Depth=1
	global_load_b128 v[0:3], v[10:11], off
	s_xor_b32 s4, s7, -1
                                        ; implicit-def: $vgpr62_vgpr63
	s_delay_alu instid0(SALU_CYCLE_1) | instskip(NEXT) | instid1(SALU_CYCLE_1)
	s_and_saveexec_b32 s3, s4
	s_xor_b32 s3, exec_lo, s3
	s_cbranch_execz .LBB99_80
; %bb.75:                               ;   in Loop: Header=BB99_73 Depth=1
	v_mul_f64 v[52:53], v[60:61], v[60:61]
	s_and_saveexec_b32 s11, s0
	s_delay_alu instid0(SALU_CYCLE_1)
	s_xor_b32 s11, exec_lo, s11
; %bb.76:                               ;   in Loop: Header=BB99_73 Depth=1
	s_delay_alu instid0(VALU_DEP_1)
	v_add_f64 v[50:51], v[52:53], v[50:51]
                                        ; implicit-def: $vgpr52_vgpr53
; %bb.77:                               ;   in Loop: Header=BB99_73 Depth=1
	s_and_not1_saveexec_b32 s11, s11
; %bb.78:                               ;   in Loop: Header=BB99_73 Depth=1
	v_add_f64 v[44:45], v[52:53], v[44:45]
; %bb.79:                               ;   in Loop: Header=BB99_73 Depth=1
	s_or_b32 exec_lo, exec_lo, s11
	s_waitcnt vmcnt(0)
	s_delay_alu instid0(VALU_DEP_1) | instskip(NEXT) | instid1(VALU_DEP_1)
	v_fma_f64 v[52:53], -v[0:1], v[44:45], v[46:47]
	v_fma_f64 v[62:63], -v[2:3], v[50:51], v[52:53]
.LBB99_80:                              ;   in Loop: Header=BB99_73 Depth=1
	s_and_not1_saveexec_b32 s3, s3
	s_cbranch_execz .LBB99_86
; %bb.81:                               ;   in Loop: Header=BB99_73 Depth=1
                                        ; implicit-def: $vgpr62_vgpr63
	s_and_saveexec_b32 s11, s0
	s_delay_alu instid0(SALU_CYCLE_1)
	s_xor_b32 s11, exec_lo, s11
	s_cbranch_execz .LBB99_83
; %bb.82:                               ;   in Loop: Header=BB99_73 Depth=1
	global_load_b64 v[52:53], v[20:21], off offset:8
	s_waitcnt vmcnt(0)
	v_mul_f64 v[56:57], v[22:23], v[52:53]
	s_delay_alu instid0(VALU_DEP_1) | instskip(NEXT) | instid1(VALU_DEP_1)
	v_mul_f64 v[52:53], v[52:53], v[56:57]
	v_div_scale_f64 v[56:57], null, v[2:3], v[2:3], v[52:53]
	v_div_scale_f64 v[62:63], vcc_lo, v[52:53], v[2:3], v[52:53]
	s_delay_alu instid0(VALU_DEP_2) | instskip(SKIP_2) | instid1(VALU_DEP_1)
	v_rcp_f64_e32 v[58:59], v[56:57]
	s_waitcnt_depctr 0xfff
	v_fma_f64 v[60:61], -v[56:57], v[58:59], 1.0
	v_fma_f64 v[58:59], v[58:59], v[60:61], v[58:59]
	s_delay_alu instid0(VALU_DEP_1) | instskip(NEXT) | instid1(VALU_DEP_1)
	v_fma_f64 v[60:61], -v[56:57], v[58:59], 1.0
	v_fma_f64 v[58:59], v[58:59], v[60:61], v[58:59]
	s_delay_alu instid0(VALU_DEP_1) | instskip(NEXT) | instid1(VALU_DEP_1)
	v_mul_f64 v[60:61], v[62:63], v[58:59]
	v_fma_f64 v[56:57], -v[56:57], v[60:61], v[62:63]
	s_delay_alu instid0(VALU_DEP_1) | instskip(NEXT) | instid1(VALU_DEP_1)
	v_div_fmas_f64 v[56:57], v[56:57], v[58:59], v[60:61]
	v_div_fixup_f64 v[52:53], v[56:57], v[2:3], v[52:53]
	s_delay_alu instid0(VALU_DEP_1) | instskip(NEXT) | instid1(VALU_DEP_1)
	v_div_scale_f64 v[56:57], null, v[2:3], v[2:3], v[52:53]
	v_rcp_f64_e32 v[58:59], v[56:57]
	s_waitcnt_depctr 0xfff
	v_fma_f64 v[60:61], -v[56:57], v[58:59], 1.0
	s_delay_alu instid0(VALU_DEP_1) | instskip(NEXT) | instid1(VALU_DEP_1)
	v_fma_f64 v[58:59], v[58:59], v[60:61], v[58:59]
	v_fma_f64 v[60:61], -v[56:57], v[58:59], 1.0
	s_delay_alu instid0(VALU_DEP_1) | instskip(SKIP_1) | instid1(VALU_DEP_1)
	v_fma_f64 v[58:59], v[58:59], v[60:61], v[58:59]
	v_div_scale_f64 v[60:61], vcc_lo, v[52:53], v[2:3], v[52:53]
	v_mul_f64 v[62:63], v[60:61], v[58:59]
	s_delay_alu instid0(VALU_DEP_1) | instskip(NEXT) | instid1(VALU_DEP_1)
	v_fma_f64 v[56:57], -v[56:57], v[62:63], v[60:61]
	v_div_fmas_f64 v[56:57], v[56:57], v[58:59], v[62:63]
	v_fma_f64 v[58:59], -v[54:55], v[0:1], v[46:47]
	s_delay_alu instid0(VALU_DEP_2) | instskip(NEXT) | instid1(VALU_DEP_1)
	v_div_fixup_f64 v[52:53], v[56:57], v[2:3], v[52:53]
	v_add_f64 v[62:63], v[58:59], -v[52:53]
.LBB99_83:                              ;   in Loop: Header=BB99_73 Depth=1
	s_and_not1_saveexec_b32 s11, s11
	s_cbranch_execz .LBB99_85
; %bb.84:                               ;   in Loop: Header=BB99_73 Depth=1
	global_load_b64 v[52:53], v[20:21], off
	s_waitcnt vmcnt(0)
	v_mul_f64 v[56:57], v[16:17], v[52:53]
	s_delay_alu instid0(VALU_DEP_1) | instskip(NEXT) | instid1(VALU_DEP_1)
	v_mul_f64 v[52:53], v[52:53], v[56:57]
	v_div_scale_f64 v[56:57], null, v[0:1], v[0:1], v[52:53]
	v_div_scale_f64 v[62:63], vcc_lo, v[52:53], v[0:1], v[52:53]
	s_delay_alu instid0(VALU_DEP_2) | instskip(SKIP_2) | instid1(VALU_DEP_1)
	v_rcp_f64_e32 v[58:59], v[56:57]
	s_waitcnt_depctr 0xfff
	v_fma_f64 v[60:61], -v[56:57], v[58:59], 1.0
	v_fma_f64 v[58:59], v[58:59], v[60:61], v[58:59]
	s_delay_alu instid0(VALU_DEP_1) | instskip(NEXT) | instid1(VALU_DEP_1)
	v_fma_f64 v[60:61], -v[56:57], v[58:59], 1.0
	v_fma_f64 v[58:59], v[58:59], v[60:61], v[58:59]
	s_delay_alu instid0(VALU_DEP_1) | instskip(NEXT) | instid1(VALU_DEP_1)
	v_mul_f64 v[60:61], v[62:63], v[58:59]
	v_fma_f64 v[56:57], -v[56:57], v[60:61], v[62:63]
	s_delay_alu instid0(VALU_DEP_1) | instskip(NEXT) | instid1(VALU_DEP_1)
	v_div_fmas_f64 v[56:57], v[56:57], v[58:59], v[60:61]
	v_div_fixup_f64 v[52:53], v[56:57], v[0:1], v[52:53]
	s_delay_alu instid0(VALU_DEP_1) | instskip(NEXT) | instid1(VALU_DEP_1)
	v_div_scale_f64 v[56:57], null, v[0:1], v[0:1], v[52:53]
	v_rcp_f64_e32 v[58:59], v[56:57]
	s_waitcnt_depctr 0xfff
	v_fma_f64 v[60:61], -v[56:57], v[58:59], 1.0
	s_delay_alu instid0(VALU_DEP_1) | instskip(NEXT) | instid1(VALU_DEP_1)
	v_fma_f64 v[58:59], v[58:59], v[60:61], v[58:59]
	v_fma_f64 v[60:61], -v[56:57], v[58:59], 1.0
	s_delay_alu instid0(VALU_DEP_1) | instskip(SKIP_1) | instid1(VALU_DEP_1)
	v_fma_f64 v[58:59], v[58:59], v[60:61], v[58:59]
	v_div_scale_f64 v[60:61], vcc_lo, v[52:53], v[0:1], v[52:53]
	v_mul_f64 v[62:63], v[60:61], v[58:59]
	s_delay_alu instid0(VALU_DEP_1) | instskip(NEXT) | instid1(VALU_DEP_1)
	v_fma_f64 v[56:57], -v[56:57], v[62:63], v[60:61]
	v_div_fmas_f64 v[56:57], v[56:57], v[58:59], v[62:63]
	v_fma_f64 v[58:59], -v[54:55], v[2:3], v[46:47]
	s_delay_alu instid0(VALU_DEP_2) | instskip(NEXT) | instid1(VALU_DEP_1)
	v_div_fixup_f64 v[52:53], v[56:57], v[0:1], v[52:53]
	v_add_f64 v[62:63], v[58:59], -v[52:53]
.LBB99_85:                              ;   in Loop: Header=BB99_73 Depth=1
	s_or_b32 exec_lo, exec_lo, s11
.LBB99_86:                              ;   in Loop: Header=BB99_73 Depth=1
	s_delay_alu instid0(SALU_CYCLE_1) | instskip(SKIP_4) | instid1(VALU_DEP_2)
	s_or_b32 exec_lo, exec_lo, s3
	s_waitcnt vmcnt(0)
	v_mul_f64 v[52:53], v[0:1], v[2:3]
	v_add_f64 v[58:59], v[0:1], v[2:3]
	s_mov_b32 s3, exec_lo
	v_mul_f64 v[60:61], v[54:55], v[52:53]
	v_mul_f64 v[56:57], v[46:47], v[52:53]
                                        ; implicit-def: $vgpr52_vgpr53
	s_delay_alu instid0(VALU_DEP_2)
	v_fma_f64 v[58:59], v[46:47], v[58:59], -v[60:61]
	v_cmpx_neq_f64_e32 0, v[62:63]
	s_xor_b32 s11, exec_lo, s3
	s_cbranch_execz .LBB99_92
; %bb.87:                               ;   in Loop: Header=BB99_73 Depth=1
	s_delay_alu instid0(VALU_DEP_3) | instskip(NEXT) | instid1(VALU_DEP_1)
	v_mul_f64 v[0:1], v[56:57], -4.0
                                        ; implicit-def: $vgpr52_vgpr53
	v_mul_f64 v[0:1], v[0:1], v[62:63]
	s_delay_alu instid0(VALU_DEP_1) | instskip(NEXT) | instid1(VALU_DEP_1)
	v_fma_f64 v[0:1], v[58:59], v[58:59], v[0:1]
	v_cmp_gt_f64_e64 s3, 0x10000000, |v[0:1]|
	s_delay_alu instid0(VALU_DEP_1) | instskip(SKIP_2) | instid1(VALU_DEP_3)
	v_cndmask_b32_e64 v2, 0, 1, s3
	v_cndmask_b32_e64 v15, 0, 0xffffff80, s3
	v_cmp_ge_f64_e64 s3, 0, v[58:59]
	v_lshlrev_b32_e32 v2, 8, v2
	s_delay_alu instid0(VALU_DEP_1) | instskip(NEXT) | instid1(VALU_DEP_1)
	v_ldexp_f64 v[0:1], |v[0:1]|, v2
	v_rsq_f64_e32 v[2:3], v[0:1]
	v_cmp_class_f64_e64 vcc_lo, v[0:1], 0x260
	s_waitcnt_depctr 0xfff
	v_mul_f64 v[44:45], v[0:1], v[2:3]
	v_mul_f64 v[2:3], v[2:3], 0.5
	s_delay_alu instid0(VALU_DEP_1) | instskip(NEXT) | instid1(VALU_DEP_1)
	v_fma_f64 v[50:51], -v[2:3], v[44:45], 0.5
	v_fma_f64 v[44:45], v[44:45], v[50:51], v[44:45]
	v_fma_f64 v[2:3], v[2:3], v[50:51], v[2:3]
	s_delay_alu instid0(VALU_DEP_2) | instskip(NEXT) | instid1(VALU_DEP_1)
	v_fma_f64 v[50:51], -v[44:45], v[44:45], v[0:1]
	v_fma_f64 v[44:45], v[50:51], v[2:3], v[44:45]
	s_delay_alu instid0(VALU_DEP_1) | instskip(NEXT) | instid1(VALU_DEP_1)
	v_fma_f64 v[50:51], -v[44:45], v[44:45], v[0:1]
	v_fma_f64 v[2:3], v[50:51], v[2:3], v[44:45]
	s_delay_alu instid0(VALU_DEP_1) | instskip(NEXT) | instid1(VALU_DEP_1)
	v_ldexp_f64 v[2:3], v[2:3], v15
	v_dual_cndmask_b32 v1, v3, v1 :: v_dual_cndmask_b32 v0, v2, v0
	s_and_saveexec_b32 s12, s3
	s_delay_alu instid0(SALU_CYCLE_1)
	s_xor_b32 s3, exec_lo, s12
	s_cbranch_execz .LBB99_89
; %bb.88:                               ;   in Loop: Header=BB99_73 Depth=1
	s_delay_alu instid0(VALU_DEP_1) | instskip(SKIP_1) | instid1(VALU_DEP_1)
	v_add_f64 v[0:1], v[58:59], -v[0:1]
	v_add_f64 v[2:3], v[62:63], v[62:63]
                                        ; implicit-def: $vgpr58_vgpr59
	v_div_scale_f64 v[44:45], null, v[2:3], v[2:3], v[0:1]
	s_delay_alu instid0(VALU_DEP_1) | instskip(SKIP_2) | instid1(VALU_DEP_1)
	v_rcp_f64_e32 v[50:51], v[44:45]
	s_waitcnt_depctr 0xfff
	v_fma_f64 v[52:53], -v[44:45], v[50:51], 1.0
	v_fma_f64 v[50:51], v[50:51], v[52:53], v[50:51]
	s_delay_alu instid0(VALU_DEP_1) | instskip(NEXT) | instid1(VALU_DEP_1)
	v_fma_f64 v[52:53], -v[44:45], v[50:51], 1.0
	v_fma_f64 v[50:51], v[50:51], v[52:53], v[50:51]
	v_div_scale_f64 v[52:53], vcc_lo, v[0:1], v[2:3], v[0:1]
	s_delay_alu instid0(VALU_DEP_1) | instskip(NEXT) | instid1(VALU_DEP_1)
	v_mul_f64 v[56:57], v[52:53], v[50:51]
	v_fma_f64 v[44:45], -v[44:45], v[56:57], v[52:53]
	s_delay_alu instid0(VALU_DEP_1) | instskip(NEXT) | instid1(VALU_DEP_1)
	v_div_fmas_f64 v[44:45], v[44:45], v[50:51], v[56:57]
                                        ; implicit-def: $vgpr56_vgpr57
	v_div_fixup_f64 v[52:53], v[44:45], v[2:3], v[0:1]
                                        ; implicit-def: $vgpr0_vgpr1
.LBB99_89:                              ;   in Loop: Header=BB99_73 Depth=1
	s_and_not1_saveexec_b32 s3, s3
	s_cbranch_execz .LBB99_91
; %bb.90:                               ;   in Loop: Header=BB99_73 Depth=1
	v_add_f64 v[2:3], v[56:57], v[56:57]
	v_add_f64 v[0:1], v[58:59], v[0:1]
	s_delay_alu instid0(VALU_DEP_1) | instskip(NEXT) | instid1(VALU_DEP_1)
	v_div_scale_f64 v[44:45], null, v[0:1], v[0:1], v[2:3]
	v_rcp_f64_e32 v[50:51], v[44:45]
	s_waitcnt_depctr 0xfff
	v_fma_f64 v[52:53], -v[44:45], v[50:51], 1.0
	s_delay_alu instid0(VALU_DEP_1) | instskip(NEXT) | instid1(VALU_DEP_1)
	v_fma_f64 v[50:51], v[50:51], v[52:53], v[50:51]
	v_fma_f64 v[52:53], -v[44:45], v[50:51], 1.0
	s_delay_alu instid0(VALU_DEP_1) | instskip(SKIP_1) | instid1(VALU_DEP_1)
	v_fma_f64 v[50:51], v[50:51], v[52:53], v[50:51]
	v_div_scale_f64 v[52:53], vcc_lo, v[2:3], v[0:1], v[2:3]
	v_mul_f64 v[56:57], v[52:53], v[50:51]
	s_delay_alu instid0(VALU_DEP_1) | instskip(NEXT) | instid1(VALU_DEP_1)
	v_fma_f64 v[44:45], -v[44:45], v[56:57], v[52:53]
	v_div_fmas_f64 v[44:45], v[44:45], v[50:51], v[56:57]
	s_delay_alu instid0(VALU_DEP_1)
	v_div_fixup_f64 v[52:53], v[44:45], v[0:1], v[2:3]
.LBB99_91:                              ;   in Loop: Header=BB99_73 Depth=1
	s_or_b32 exec_lo, exec_lo, s3
                                        ; implicit-def: $vgpr58_vgpr59
                                        ; implicit-def: $vgpr56_vgpr57
                                        ; implicit-def: $vgpr0_vgpr1
                                        ; implicit-def: $vgpr50_vgpr51
                                        ; implicit-def: $vgpr44_vgpr45
.LBB99_92:                              ;   in Loop: Header=BB99_73 Depth=1
	s_and_not1_saveexec_b32 s3, s11
	s_cbranch_execz .LBB99_104
; %bb.93:                               ;   in Loop: Header=BB99_73 Depth=1
	s_mov_b32 s11, exec_lo
	s_delay_alu instid0(VALU_DEP_2)
	v_cmpx_eq_f64_e32 0, v[58:59]
	s_cbranch_execz .LBB99_103
; %bb.94:                               ;   in Loop: Header=BB99_73 Depth=1
                                        ; implicit-def: $vgpr58_vgpr59
	s_and_saveexec_b32 s12, s4
	s_delay_alu instid0(SALU_CYCLE_1)
	s_xor_b32 s4, exec_lo, s12
; %bb.95:                               ;   in Loop: Header=BB99_73 Depth=1
	v_mul_f64 v[2:3], v[2:3], v[2:3]
	v_mul_f64 v[0:1], v[0:1], v[0:1]
	s_delay_alu instid0(VALU_DEP_2) | instskip(NEXT) | instid1(VALU_DEP_1)
	v_mul_f64 v[2:3], v[2:3], v[50:51]
                                        ; implicit-def: $vgpr50_vgpr51
	v_fma_f64 v[58:59], v[0:1], v[44:45], v[2:3]
                                        ; implicit-def: $vgpr2_vgpr3
                                        ; implicit-def: $vgpr44_vgpr45
; %bb.96:                               ;   in Loop: Header=BB99_73 Depth=1
	s_and_not1_saveexec_b32 s4, s4
	s_cbranch_execz .LBB99_102
; %bb.97:                               ;   in Loop: Header=BB99_73 Depth=1
	v_add_f64 v[44:45], v[44:45], v[50:51]
                                        ; implicit-def: $vgpr58_vgpr59
	s_and_saveexec_b32 s12, s0
	s_delay_alu instid0(SALU_CYCLE_1)
	s_xor_b32 s12, exec_lo, s12
	s_cbranch_execz .LBB99_99
; %bb.98:                               ;   in Loop: Header=BB99_73 Depth=1
	global_load_b64 v[2:3], v[20:21], off offset:8
	v_mul_f64 v[0:1], v[0:1], v[0:1]
	s_waitcnt vmcnt(0)
	v_mul_f64 v[2:3], v[2:3], v[2:3]
	s_delay_alu instid0(VALU_DEP_1)
	v_fma_f64 v[58:59], v[0:1], v[44:45], v[2:3]
                                        ; implicit-def: $vgpr2_vgpr3
                                        ; implicit-def: $vgpr44_vgpr45
.LBB99_99:                              ;   in Loop: Header=BB99_73 Depth=1
	s_and_not1_saveexec_b32 s12, s12
	s_cbranch_execz .LBB99_101
; %bb.100:                              ;   in Loop: Header=BB99_73 Depth=1
	global_load_b64 v[0:1], v[20:21], off
	v_mul_f64 v[2:3], v[2:3], v[2:3]
	s_waitcnt vmcnt(0)
	v_mul_f64 v[0:1], v[0:1], v[0:1]
	s_delay_alu instid0(VALU_DEP_1)
	v_fma_f64 v[58:59], v[2:3], v[44:45], v[0:1]
.LBB99_101:                             ;   in Loop: Header=BB99_73 Depth=1
	s_or_b32 exec_lo, exec_lo, s12
.LBB99_102:                             ;   in Loop: Header=BB99_73 Depth=1
	s_delay_alu instid0(SALU_CYCLE_1)
	s_or_b32 exec_lo, exec_lo, s4
.LBB99_103:                             ;   in Loop: Header=BB99_73 Depth=1
	s_delay_alu instid0(SALU_CYCLE_1) | instskip(NEXT) | instid1(VALU_DEP_1)
	s_or_b32 exec_lo, exec_lo, s11
	v_div_scale_f64 v[0:1], null, v[58:59], v[58:59], v[56:57]
	s_delay_alu instid0(VALU_DEP_1) | instskip(SKIP_2) | instid1(VALU_DEP_1)
	v_rcp_f64_e32 v[2:3], v[0:1]
	s_waitcnt_depctr 0xfff
	v_fma_f64 v[44:45], -v[0:1], v[2:3], 1.0
	v_fma_f64 v[2:3], v[2:3], v[44:45], v[2:3]
	s_delay_alu instid0(VALU_DEP_1) | instskip(NEXT) | instid1(VALU_DEP_1)
	v_fma_f64 v[44:45], -v[0:1], v[2:3], 1.0
	v_fma_f64 v[2:3], v[2:3], v[44:45], v[2:3]
	v_div_scale_f64 v[44:45], vcc_lo, v[56:57], v[58:59], v[56:57]
	s_delay_alu instid0(VALU_DEP_1) | instskip(NEXT) | instid1(VALU_DEP_1)
	v_mul_f64 v[50:51], v[44:45], v[2:3]
	v_fma_f64 v[0:1], -v[0:1], v[50:51], v[44:45]
	s_delay_alu instid0(VALU_DEP_1) | instskip(NEXT) | instid1(VALU_DEP_1)
	v_div_fmas_f64 v[0:1], v[0:1], v[2:3], v[50:51]
	v_div_fixup_f64 v[52:53], v[0:1], v[58:59], v[56:57]
.LBB99_104:                             ;   in Loop: Header=BB99_73 Depth=1
	s_or_b32 exec_lo, exec_lo, s3
	s_delay_alu instid0(VALU_DEP_1) | instskip(SKIP_1) | instid1(VALU_DEP_1)
	v_mul_f64 v[0:1], v[46:47], v[52:53]
	s_mov_b32 s3, exec_lo
	v_cmpx_le_f64_e32 0, v[0:1]
; %bb.105:                              ;   in Loop: Header=BB99_73 Depth=1
	v_div_scale_f64 v[0:1], null, v[54:55], v[54:55], -v[46:47]
	s_delay_alu instid0(VALU_DEP_1) | instskip(SKIP_2) | instid1(VALU_DEP_1)
	v_rcp_f64_e32 v[2:3], v[0:1]
	s_waitcnt_depctr 0xfff
	v_fma_f64 v[44:45], -v[0:1], v[2:3], 1.0
	v_fma_f64 v[2:3], v[2:3], v[44:45], v[2:3]
	s_delay_alu instid0(VALU_DEP_1) | instskip(NEXT) | instid1(VALU_DEP_1)
	v_fma_f64 v[44:45], -v[0:1], v[2:3], 1.0
	v_fma_f64 v[2:3], v[2:3], v[44:45], v[2:3]
	v_div_scale_f64 v[44:45], vcc_lo, -v[46:47], v[54:55], -v[46:47]
	s_delay_alu instid0(VALU_DEP_1) | instskip(NEXT) | instid1(VALU_DEP_1)
	v_mul_f64 v[50:51], v[44:45], v[2:3]
	v_fma_f64 v[0:1], -v[0:1], v[50:51], v[44:45]
	s_delay_alu instid0(VALU_DEP_1) | instskip(NEXT) | instid1(VALU_DEP_1)
	v_div_fmas_f64 v[0:1], v[0:1], v[2:3], v[50:51]
	v_div_fixup_f64 v[52:53], v[0:1], v[54:55], -v[46:47]
; %bb.106:                              ;   in Loop: Header=BB99_73 Depth=1
	s_or_b32 exec_lo, exec_lo, s3
	v_cmp_lt_f64_e32 vcc_lo, v[38:39], v[34:35]
	v_cmp_lt_f64_e64 s3, 0, v[46:47]
	v_cmp_lt_f64_e64 s4, v[34:35], v[40:41]
	s_delay_alu instid0(VALU_DEP_4) | instskip(SKIP_2) | instid1(VALU_DEP_4)
	v_add_f64 v[0:1], v[34:35], v[52:53]
	v_dual_cndmask_b32 v2, v38, v34 :: v_dual_cndmask_b32 v3, v39, v35
	v_cmp_nge_f64_e32 vcc_lo, 0, v[46:47]
	s_and_b32 s3, s3, s4
	s_delay_alu instid0(SALU_CYCLE_1) | instskip(SKIP_2) | instid1(VALU_DEP_2)
	v_cndmask_b32_e64 v41, v41, v35, s3
	v_cndmask_b32_e64 v40, v40, v34, s3
	v_dual_cndmask_b32 v39, v3, v39 :: v_dual_cndmask_b32 v38, v2, v38
	v_cmp_gt_f64_e32 vcc_lo, v[0:1], v[40:41]
	s_delay_alu instid0(VALU_DEP_2) | instskip(NEXT) | instid1(VALU_DEP_1)
	v_cmp_lt_f64_e64 s3, v[0:1], v[38:39]
	s_or_b32 s4, vcc_lo, s3
	s_delay_alu instid0(SALU_CYCLE_1)
	s_and_saveexec_b32 s3, s4
	s_cbranch_execz .LBB99_112
; %bb.107:                              ;   in Loop: Header=BB99_73 Depth=1
	s_mov_b32 s4, exec_lo
                                        ; implicit-def: $vgpr52_vgpr53
	v_cmpx_ngt_f64_e32 0, v[46:47]
	s_xor_b32 s4, exec_lo, s4
; %bb.108:                              ;   in Loop: Header=BB99_73 Depth=1
	v_add_f64 v[0:1], v[38:39], -v[34:35]
	s_delay_alu instid0(VALU_DEP_1)
	v_mul_f64 v[52:53], v[0:1], 0.5
; %bb.109:                              ;   in Loop: Header=BB99_73 Depth=1
	s_and_not1_saveexec_b32 s4, s4
; %bb.110:                              ;   in Loop: Header=BB99_73 Depth=1
	v_add_f64 v[0:1], v[40:41], -v[34:35]
	s_delay_alu instid0(VALU_DEP_1)
	v_mul_f64 v[52:53], v[0:1], 0.5
; %bb.111:                              ;   in Loop: Header=BB99_73 Depth=1
	s_or_b32 exec_lo, exec_lo, s4
.LBB99_112:                             ;   in Loop: Header=BB99_73 Depth=1
	s_delay_alu instid0(SALU_CYCLE_1) | instskip(NEXT) | instid1(VALU_DEP_1)
	s_or_b32 exec_lo, exec_lo, s3
	v_add_f64 v[48:49], v[48:49], -v[52:53]
	v_mov_b32_e32 v44, 0
	v_mov_b32_e32 v45, 0
	s_delay_alu instid0(VALU_DEP_2) | instskip(NEXT) | instid1(VALU_DEP_2)
	v_mov_b32_e32 v0, v44
	v_dual_mov_b32 v2, v44 :: v_dual_mov_b32 v3, v45
	v_mov_b32_e32 v1, v45
	global_store_b64 v[28:29], v[48:49], off
	s_and_saveexec_b32 s4, s2
	s_cbranch_execz .LBB99_116
; %bb.113:                              ;   in Loop: Header=BB99_73 Depth=1
	v_dual_mov_b32 v44, 0 :: v_dual_mov_b32 v49, v13
	v_dual_mov_b32 v45, 0 :: v_dual_mov_b32 v48, v12
	s_delay_alu instid0(VALU_DEP_2) | instskip(NEXT) | instid1(VALU_DEP_2)
	v_dual_mov_b32 v15, v18 :: v_dual_mov_b32 v0, v44
	v_dual_mov_b32 v2, v44 :: v_dual_mov_b32 v1, v45
	v_dual_mov_b32 v51, v9 :: v_dual_mov_b32 v50, v8
	v_mov_b32_e32 v3, v45
	s_mov_b32 s11, 0
	s_set_inst_prefetch_distance 0x1
	.p2align	6
.LBB99_114:                             ;   Parent Loop BB99_73 Depth=1
                                        ; =>  This Inner Loop Header: Depth=2
	global_load_b64 v[54:55], v[50:51], off
	v_add_nc_u32_e32 v15, -1, v15
	s_waitcnt vmcnt(0)
	v_add_f64 v[54:55], v[54:55], -v[52:53]
	global_store_b64 v[50:51], v[54:55], off
	global_load_b64 v[56:57], v[48:49], off
	v_add_co_u32 v50, s3, v50, 8
	s_delay_alu instid0(VALU_DEP_1) | instskip(SKIP_1) | instid1(VALU_DEP_1)
	v_add_co_ci_u32_e64 v51, s3, 0, v51, s3
	v_add_co_u32 v48, s3, v48, 8
	v_add_co_ci_u32_e64 v49, s3, 0, v49, s3
	s_waitcnt vmcnt(0)
	v_div_scale_f64 v[58:59], null, v[54:55], v[54:55], v[56:57]
	v_div_scale_f64 v[64:65], vcc_lo, v[56:57], v[54:55], v[56:57]
	s_delay_alu instid0(VALU_DEP_2) | instskip(SKIP_2) | instid1(VALU_DEP_1)
	v_rcp_f64_e32 v[60:61], v[58:59]
	s_waitcnt_depctr 0xfff
	v_fma_f64 v[62:63], -v[58:59], v[60:61], 1.0
	v_fma_f64 v[60:61], v[60:61], v[62:63], v[60:61]
	s_delay_alu instid0(VALU_DEP_1) | instskip(NEXT) | instid1(VALU_DEP_1)
	v_fma_f64 v[62:63], -v[58:59], v[60:61], 1.0
	v_fma_f64 v[60:61], v[60:61], v[62:63], v[60:61]
	s_delay_alu instid0(VALU_DEP_1) | instskip(NEXT) | instid1(VALU_DEP_1)
	v_mul_f64 v[62:63], v[64:65], v[60:61]
	v_fma_f64 v[58:59], -v[58:59], v[62:63], v[64:65]
	s_delay_alu instid0(VALU_DEP_1) | instskip(SKIP_2) | instid1(VALU_DEP_2)
	v_div_fmas_f64 v[58:59], v[58:59], v[60:61], v[62:63]
	v_cmp_eq_u32_e32 vcc_lo, 0, v15
	s_or_b32 s11, vcc_lo, s11
	v_div_fixup_f64 v[54:55], v[58:59], v[54:55], v[56:57]
	s_delay_alu instid0(VALU_DEP_1) | instskip(SKIP_1) | instid1(VALU_DEP_2)
	v_fma_f64 v[2:3], v[56:57], v[54:55], v[2:3]
	v_fma_f64 v[44:45], v[54:55], v[54:55], v[44:45]
	v_add_f64 v[0:1], v[0:1], v[2:3]
	s_and_not1_b32 exec_lo, exec_lo, s11
	s_cbranch_execnz .LBB99_114
; %bb.115:                              ;   in Loop: Header=BB99_73 Depth=1
	s_set_inst_prefetch_distance 0x2
	s_or_b32 exec_lo, exec_lo, s11
.LBB99_116:                             ;   in Loop: Header=BB99_73 Depth=1
	s_delay_alu instid0(SALU_CYCLE_1) | instskip(NEXT) | instid1(VALU_DEP_1)
	s_or_b32 exec_lo, exec_lo, s4
	v_dual_mov_b32 v50, 0 :: v_dual_and_b32 v1, 0x7fffffff, v1
	v_mov_b32_e32 v51, 0
	s_delay_alu instid0(VALU_DEP_1)
	v_dual_mov_b32 v55, v51 :: v_dual_mov_b32 v54, v50
	s_and_saveexec_b32 s4, s1
	s_cbranch_execz .LBB99_71
; %bb.117:                              ;   in Loop: Header=BB99_73 Depth=1
	v_dual_mov_b32 v50, 0 :: v_dual_mov_b32 v49, v43
	v_dual_mov_b32 v51, 0 :: v_dual_mov_b32 v48, v42
	;; [unrolled: 1-line block ×3, first 2 shown]
	v_mov_b32_e32 v15, v14
	s_delay_alu instid0(VALU_DEP_3)
	v_dual_mov_b32 v55, v51 :: v_dual_mov_b32 v54, v50
	s_mov_b32 s11, 0
	s_set_inst_prefetch_distance 0x1
	.p2align	6
.LBB99_118:                             ;   Parent Loop BB99_73 Depth=1
                                        ; =>  This Inner Loop Header: Depth=2
	global_load_b64 v[58:59], v[56:57], off
	v_add_nc_u32_e32 v15, -1, v15
	s_waitcnt vmcnt(0)
	v_add_f64 v[58:59], v[58:59], -v[52:53]
	global_store_b64 v[56:57], v[58:59], off
	global_load_b64 v[60:61], v[48:49], off
	v_add_co_u32 v56, s3, v56, -8
	s_delay_alu instid0(VALU_DEP_1) | instskip(SKIP_1) | instid1(VALU_DEP_1)
	v_add_co_ci_u32_e64 v57, s3, -1, v57, s3
	v_add_co_u32 v48, s3, v48, -8
	v_add_co_ci_u32_e64 v49, s3, -1, v49, s3
	s_waitcnt vmcnt(0)
	v_div_scale_f64 v[62:63], null, v[58:59], v[58:59], v[60:61]
	v_div_scale_f64 v[68:69], vcc_lo, v[60:61], v[58:59], v[60:61]
	s_delay_alu instid0(VALU_DEP_2) | instskip(SKIP_2) | instid1(VALU_DEP_1)
	v_rcp_f64_e32 v[64:65], v[62:63]
	s_waitcnt_depctr 0xfff
	v_fma_f64 v[66:67], -v[62:63], v[64:65], 1.0
	v_fma_f64 v[64:65], v[64:65], v[66:67], v[64:65]
	s_delay_alu instid0(VALU_DEP_1) | instskip(NEXT) | instid1(VALU_DEP_1)
	v_fma_f64 v[66:67], -v[62:63], v[64:65], 1.0
	v_fma_f64 v[64:65], v[64:65], v[66:67], v[64:65]
	s_delay_alu instid0(VALU_DEP_1) | instskip(NEXT) | instid1(VALU_DEP_1)
	v_mul_f64 v[66:67], v[68:69], v[64:65]
	v_fma_f64 v[62:63], -v[62:63], v[66:67], v[68:69]
	s_delay_alu instid0(VALU_DEP_1) | instskip(SKIP_2) | instid1(VALU_DEP_2)
	v_div_fmas_f64 v[62:63], v[62:63], v[64:65], v[66:67]
	v_cmp_le_i32_e32 vcc_lo, v15, v18
	s_or_b32 s11, vcc_lo, s11
	v_div_fixup_f64 v[58:59], v[62:63], v[58:59], v[60:61]
	s_delay_alu instid0(VALU_DEP_1) | instskip(SKIP_1) | instid1(VALU_DEP_2)
	v_fma_f64 v[54:55], v[60:61], v[58:59], v[54:55]
	v_fma_f64 v[50:51], v[58:59], v[58:59], v[50:51]
	v_add_f64 v[0:1], v[0:1], v[54:55]
	s_and_not1_b32 exec_lo, exec_lo, s11
	s_cbranch_execnz .LBB99_118
; %bb.119:                              ;   in Loop: Header=BB99_73 Depth=1
	s_set_inst_prefetch_distance 0x2
	s_or_b32 exec_lo, exec_lo, s11
	s_branch .LBB99_71
.LBB99_120:
	s_or_b32 exec_lo, exec_lo, s5
	v_add_f64 v[1:2], v[26:27], v[34:35]
.LBB99_121:
	s_or_b32 exec_lo, exec_lo, s25
                                        ; implicit-def: $vgpr24
                                        ; implicit-def: $vgpr0
                                        ; implicit-def: $vgpr8_vgpr9
                                        ; implicit-def: $vgpr12_vgpr13
                                        ; implicit-def: $vgpr10_vgpr11
                                        ; implicit-def: $vgpr16_vgpr17
                                        ; implicit-def: $vgpr26_vgpr27
.LBB99_122:
	s_and_not1_saveexec_b32 s4, s24
	s_cbranch_execz .LBB99_192
; %bb.123:
	v_ashrrev_i32_e32 v25, 31, v24
	s_waitcnt vmcnt(0)
	v_fma_f64 v[18:19], |v[6:7]|, 0.5, v[16:17]
	v_mov_b32_e32 v30, 0
	v_mov_b32_e32 v31, 0
	s_mov_b32 s1, exec_lo
	v_lshlrev_b64 v[14:15], 3, v[24:25]
	s_delay_alu instid0(VALU_DEP_1) | instskip(NEXT) | instid1(VALU_DEP_2)
	v_add_co_u32 v1, vcc_lo, v8, v14
	v_add_co_ci_u32_e32 v2, vcc_lo, v9, v15, vcc_lo
	global_load_b64 v[28:29], v[1:2], off offset:-16
	v_cmpx_lt_i32_e32 2, v24
	s_cbranch_execz .LBB99_127
; %bb.124:
	v_dual_mov_b32 v30, 0 :: v_dual_add_nc_u32 v3, -2, v24
	v_mov_b32_e32 v21, v13
	v_dual_mov_b32 v23, v9 :: v_dual_mov_b32 v22, v8
	v_dual_mov_b32 v31, 0 :: v_dual_mov_b32 v20, v12
	s_mov_b32 s2, 0
	s_set_inst_prefetch_distance 0x1
	.p2align	6
.LBB99_125:                             ; =>This Inner Loop Header: Depth=1
	global_load_b64 v[32:33], v[22:23], off
	global_load_b64 v[34:35], v[20:21], off
	v_add_nc_u32_e32 v3, -1, v3
	v_add_co_u32 v20, s0, v20, 8
	s_delay_alu instid0(VALU_DEP_1) | instskip(SKIP_3) | instid1(VALU_DEP_1)
	v_add_co_ci_u32_e64 v21, s0, 0, v21, s0
	s_waitcnt vmcnt(1)
	v_add_f64 v[32:33], v[32:33], -v[18:19]
	s_waitcnt vmcnt(0)
	v_div_scale_f64 v[36:37], null, v[32:33], v[32:33], v[34:35]
	v_div_scale_f64 v[42:43], vcc_lo, v[34:35], v[32:33], v[34:35]
	s_delay_alu instid0(VALU_DEP_2) | instskip(SKIP_2) | instid1(VALU_DEP_1)
	v_rcp_f64_e32 v[38:39], v[36:37]
	s_waitcnt_depctr 0xfff
	v_fma_f64 v[40:41], -v[36:37], v[38:39], 1.0
	v_fma_f64 v[38:39], v[38:39], v[40:41], v[38:39]
	s_delay_alu instid0(VALU_DEP_1) | instskip(NEXT) | instid1(VALU_DEP_1)
	v_fma_f64 v[40:41], -v[36:37], v[38:39], 1.0
	v_fma_f64 v[38:39], v[38:39], v[40:41], v[38:39]
	s_delay_alu instid0(VALU_DEP_1) | instskip(NEXT) | instid1(VALU_DEP_1)
	v_mul_f64 v[40:41], v[42:43], v[38:39]
	v_fma_f64 v[36:37], -v[36:37], v[40:41], v[42:43]
	s_delay_alu instid0(VALU_DEP_1) | instskip(SKIP_4) | instid1(VALU_DEP_4)
	v_div_fmas_f64 v[36:37], v[36:37], v[38:39], v[40:41]
	v_add_co_u32 v22, vcc_lo, v22, 8
	v_add_co_ci_u32_e32 v23, vcc_lo, 0, v23, vcc_lo
	v_cmp_eq_u32_e32 vcc_lo, 0, v3
	s_or_b32 s2, vcc_lo, s2
	v_div_fixup_f64 v[32:33], v[36:37], v[32:33], v[34:35]
	s_delay_alu instid0(VALU_DEP_1)
	v_fma_f64 v[30:31], v[34:35], v[32:33], v[30:31]
	s_and_not1_b32 exec_lo, exec_lo, s2
	s_cbranch_execnz .LBB99_125
; %bb.126:
	s_set_inst_prefetch_distance 0x2
	s_or_b32 exec_lo, exec_lo, s2
.LBB99_127:
	s_delay_alu instid0(SALU_CYCLE_1)
	s_or_b32 exec_lo, exec_lo, s1
	v_add_co_u32 v14, vcc_lo, v12, v14
	v_add_co_ci_u32_e32 v15, vcc_lo, v13, v15, vcc_lo
	v_dual_mov_b32 v20, v6 :: v_dual_and_b32 v21, 0x7fffffff, v7
	s_waitcnt vmcnt(0)
	v_add_f64 v[36:37], v[28:29], -v[18:19]
	global_load_b64 v[32:33], v[14:15], off offset:-16
	v_add_co_u32 v14, vcc_lo, v12, v26
	v_div_scale_f64 v[25:26], null, v[20:21], v[20:21], 1.0
	v_add_co_ci_u32_e32 v15, vcc_lo, v13, v27, vcc_lo
	v_mul_f64 v[22:23], |v[6:7]|, 0.5
	global_load_b64 v[18:19], v[14:15], off
	v_rcp_f64_e32 v[34:35], v[25:26]
	s_waitcnt_depctr 0xfff
	v_fma_f64 v[40:41], -v[25:26], v[34:35], 1.0
	s_delay_alu instid0(VALU_DEP_1) | instskip(NEXT) | instid1(VALU_DEP_1)
	v_fma_f64 v[34:35], v[34:35], v[40:41], v[34:35]
	v_fma_f64 v[44:45], -v[25:26], v[34:35], 1.0
	s_delay_alu instid0(VALU_DEP_1) | instskip(SKIP_2) | instid1(VALU_DEP_1)
	v_fma_f64 v[34:35], v[34:35], v[44:45], v[34:35]
	s_waitcnt vmcnt(1)
	v_mul_f64 v[32:33], v[32:33], v[32:33]
	v_div_scale_f64 v[38:39], null, v[36:37], v[36:37], v[32:33]
	v_div_scale_f64 v[48:49], s0, v[32:33], v[36:37], v[32:33]
	s_delay_alu instid0(VALU_DEP_2) | instskip(SKIP_2) | instid1(VALU_DEP_1)
	v_rcp_f64_e32 v[42:43], v[38:39]
	s_waitcnt_depctr 0xfff
	v_fma_f64 v[40:41], -v[38:39], v[42:43], 1.0
	v_fma_f64 v[40:41], v[42:43], v[40:41], v[42:43]
	v_div_scale_f64 v[42:43], vcc_lo, 1.0, v[20:21], 1.0
	s_delay_alu instid0(VALU_DEP_2) | instskip(NEXT) | instid1(VALU_DEP_2)
	v_fma_f64 v[44:45], -v[38:39], v[40:41], 1.0
	v_mul_f64 v[46:47], v[42:43], v[34:35]
	s_delay_alu instid0(VALU_DEP_2) | instskip(NEXT) | instid1(VALU_DEP_2)
	v_fma_f64 v[40:41], v[40:41], v[44:45], v[40:41]
	v_fma_f64 v[25:26], -v[25:26], v[46:47], v[42:43]
	s_delay_alu instid0(VALU_DEP_2) | instskip(NEXT) | instid1(VALU_DEP_2)
	v_mul_f64 v[42:43], v[48:49], v[40:41]
	v_div_fmas_f64 v[25:26], v[25:26], v[34:35], v[46:47]
	s_mov_b32 vcc_lo, s0
	s_waitcnt vmcnt(0)
	v_mul_f64 v[34:35], v[18:19], v[18:19]
	s_delay_alu instid0(VALU_DEP_3) | instskip(NEXT) | instid1(VALU_DEP_3)
	v_fma_f64 v[38:39], -v[38:39], v[42:43], v[48:49]
	v_div_fixup_f64 v[18:19], v[25:26], |v[6:7]|, 1.0
	s_delay_alu instid0(VALU_DEP_2) | instskip(NEXT) | instid1(VALU_DEP_4)
	v_div_fmas_f64 v[38:39], v[38:39], v[40:41], v[42:43]
	v_add_f64 v[40:41], v[34:35], v[34:35]
	s_delay_alu instid0(VALU_DEP_3) | instskip(NEXT) | instid1(VALU_DEP_3)
	v_add_f64 v[25:26], v[18:19], v[30:31]
	v_div_fixup_f64 v[30:31], v[38:39], v[36:37], v[32:33]
	s_delay_alu instid0(VALU_DEP_3) | instskip(NEXT) | instid1(VALU_DEP_2)
	v_mul_f64 v[36:37], v[18:19], v[40:41]
	v_add_f64 v[30:31], v[25:26], v[30:31]
	s_delay_alu instid0(VALU_DEP_1) | instskip(SKIP_2) | instid1(SALU_CYCLE_1)
	v_cmp_ngt_f64_e32 vcc_lo, v[30:31], v[36:37]
	v_add_f64 v[30:31], v[16:17], -v[28:29]
                                        ; implicit-def: $vgpr28_vgpr29
	s_and_saveexec_b32 s0, vcc_lo
	s_xor_b32 s1, exec_lo, s0
	s_cbranch_execz .LBB99_135
; %bb.128:
	s_delay_alu instid0(VALU_DEP_1) | instskip(SKIP_1) | instid1(VALU_DEP_2)
	v_add_f64 v[27:28], |v[6:7]|, v[30:31]
	v_div_scale_f64 v[38:39], null, v[20:21], v[20:21], v[34:35]
	v_div_scale_f64 v[36:37], null, v[27:28], v[27:28], v[32:33]
	s_delay_alu instid0(VALU_DEP_2) | instskip(SKIP_1) | instid1(VALU_DEP_2)
	v_rcp_f64_e32 v[42:43], v[38:39]
	v_div_scale_f64 v[48:49], vcc_lo, v[32:33], v[27:28], v[32:33]
	v_rcp_f64_e32 v[40:41], v[36:37]
	s_waitcnt_depctr 0xfff
	v_fma_f64 v[46:47], -v[38:39], v[42:43], 1.0
	v_fma_f64 v[44:45], -v[36:37], v[40:41], 1.0
	s_delay_alu instid0(VALU_DEP_2) | instskip(NEXT) | instid1(VALU_DEP_2)
	v_fma_f64 v[42:43], v[42:43], v[46:47], v[42:43]
	v_fma_f64 v[40:41], v[40:41], v[44:45], v[40:41]
	s_delay_alu instid0(VALU_DEP_2) | instskip(NEXT) | instid1(VALU_DEP_2)
	v_fma_f64 v[46:47], -v[38:39], v[42:43], 1.0
	v_fma_f64 v[44:45], -v[36:37], v[40:41], 1.0
	s_delay_alu instid0(VALU_DEP_2) | instskip(NEXT) | instid1(VALU_DEP_2)
	v_fma_f64 v[42:43], v[42:43], v[46:47], v[42:43]
	v_fma_f64 v[40:41], v[40:41], v[44:45], v[40:41]
	v_div_scale_f64 v[44:45], s0, v[34:35], v[20:21], v[34:35]
	s_delay_alu instid0(VALU_DEP_2) | instskip(NEXT) | instid1(VALU_DEP_2)
	v_mul_f64 v[46:47], v[48:49], v[40:41]
	v_mul_f64 v[50:51], v[44:45], v[42:43]
	s_delay_alu instid0(VALU_DEP_2) | instskip(NEXT) | instid1(VALU_DEP_2)
	v_fma_f64 v[36:37], -v[36:37], v[46:47], v[48:49]
	v_fma_f64 v[38:39], -v[38:39], v[50:51], v[44:45]
	s_delay_alu instid0(VALU_DEP_2) | instskip(SKIP_1) | instid1(VALU_DEP_2)
	v_div_fmas_f64 v[36:37], v[36:37], v[40:41], v[46:47]
	s_mov_b32 vcc_lo, s0
	v_div_fmas_f64 v[38:39], v[38:39], v[42:43], v[50:51]
	s_delay_alu instid0(VALU_DEP_2) | instskip(NEXT) | instid1(VALU_DEP_2)
	v_div_fixup_f64 v[27:28], v[36:37], v[27:28], v[32:33]
	v_div_fixup_f64 v[36:37], v[38:39], |v[6:7]|, v[34:35]
	s_delay_alu instid0(VALU_DEP_1) | instskip(NEXT) | instid1(VALU_DEP_1)
	v_add_f64 v[27:28], v[27:28], v[36:37]
	v_cmp_nle_f64_e32 vcc_lo, v[25:26], v[27:28]
	v_dual_mov_b32 v29, v21 :: v_dual_mov_b32 v28, v20
	s_and_saveexec_b32 s2, vcc_lo
	s_cbranch_execz .LBB99_134
; %bb.129:
	v_mul_f64 v[27:28], v[30:31], v[34:35]
	v_fma_f64 v[29:30], -v[30:31], v[25:26], v[32:33]
	s_delay_alu instid0(VALU_DEP_2) | instskip(NEXT) | instid1(VALU_DEP_2)
	v_mul_f64 v[31:32], v[27:28], 4.0
	v_add_f64 v[29:30], v[34:35], v[29:30]
	s_delay_alu instid0(VALU_DEP_2) | instskip(NEXT) | instid1(VALU_DEP_2)
	v_mul_f64 v[31:32], v[25:26], v[31:32]
	v_cmp_ngt_f64_e64 s0, 0, v[29:30]
	s_delay_alu instid0(VALU_DEP_2) | instskip(NEXT) | instid1(VALU_DEP_1)
	v_fma_f64 v[31:32], v[29:30], v[29:30], v[31:32]
	v_cmp_gt_f64_e32 vcc_lo, 0x10000000, v[31:32]
	v_cndmask_b32_e64 v3, 0, 1, vcc_lo
	s_delay_alu instid0(VALU_DEP_1) | instskip(NEXT) | instid1(VALU_DEP_1)
	v_lshlrev_b32_e32 v3, 8, v3
	v_ldexp_f64 v[31:32], v[31:32], v3
	v_cndmask_b32_e64 v3, 0, 0xffffff80, vcc_lo
	s_delay_alu instid0(VALU_DEP_2) | instskip(SKIP_4) | instid1(VALU_DEP_1)
	v_rsq_f64_e32 v[33:34], v[31:32]
	v_cmp_class_f64_e64 vcc_lo, v[31:32], 0x260
	s_waitcnt_depctr 0xfff
	v_mul_f64 v[35:36], v[31:32], v[33:34]
	v_mul_f64 v[33:34], v[33:34], 0.5
	v_fma_f64 v[37:38], -v[33:34], v[35:36], 0.5
	s_delay_alu instid0(VALU_DEP_1) | instskip(SKIP_1) | instid1(VALU_DEP_2)
	v_fma_f64 v[35:36], v[35:36], v[37:38], v[35:36]
	v_fma_f64 v[33:34], v[33:34], v[37:38], v[33:34]
	v_fma_f64 v[37:38], -v[35:36], v[35:36], v[31:32]
	s_delay_alu instid0(VALU_DEP_1) | instskip(NEXT) | instid1(VALU_DEP_1)
	v_fma_f64 v[35:36], v[37:38], v[33:34], v[35:36]
	v_fma_f64 v[37:38], -v[35:36], v[35:36], v[31:32]
	s_delay_alu instid0(VALU_DEP_1) | instskip(NEXT) | instid1(VALU_DEP_1)
	v_fma_f64 v[33:34], v[37:38], v[33:34], v[35:36]
	v_ldexp_f64 v[33:34], v[33:34], v3
	s_delay_alu instid0(VALU_DEP_1) | instskip(SKIP_1) | instid1(SALU_CYCLE_1)
	v_dual_cndmask_b32 v34, v34, v32 :: v_dual_cndmask_b32 v33, v33, v31
                                        ; implicit-def: $vgpr31_vgpr32
	s_and_saveexec_b32 s3, s0
	s_xor_b32 s0, exec_lo, s3
	s_cbranch_execz .LBB99_131
; %bb.130:
	s_delay_alu instid0(VALU_DEP_1) | instskip(SKIP_1) | instid1(VALU_DEP_1)
	v_add_f64 v[27:28], v[29:30], v[33:34]
	v_add_f64 v[25:26], v[25:26], v[25:26]
	v_div_scale_f64 v[29:30], null, v[25:26], v[25:26], v[27:28]
	s_delay_alu instid0(VALU_DEP_1) | instskip(SKIP_2) | instid1(VALU_DEP_1)
	v_rcp_f64_e32 v[31:32], v[29:30]
	s_waitcnt_depctr 0xfff
	v_fma_f64 v[33:34], -v[29:30], v[31:32], 1.0
	v_fma_f64 v[31:32], v[31:32], v[33:34], v[31:32]
	s_delay_alu instid0(VALU_DEP_1) | instskip(NEXT) | instid1(VALU_DEP_1)
	v_fma_f64 v[33:34], -v[29:30], v[31:32], 1.0
	v_fma_f64 v[31:32], v[31:32], v[33:34], v[31:32]
	v_div_scale_f64 v[33:34], vcc_lo, v[27:28], v[25:26], v[27:28]
	s_delay_alu instid0(VALU_DEP_1) | instskip(NEXT) | instid1(VALU_DEP_1)
	v_mul_f64 v[35:36], v[33:34], v[31:32]
	v_fma_f64 v[29:30], -v[29:30], v[35:36], v[33:34]
                                        ; implicit-def: $vgpr33_vgpr34
	s_delay_alu instid0(VALU_DEP_1) | instskip(NEXT) | instid1(VALU_DEP_1)
	v_div_fmas_f64 v[29:30], v[29:30], v[31:32], v[35:36]
	v_div_fixup_f64 v[31:32], v[29:30], v[25:26], v[27:28]
                                        ; implicit-def: $vgpr27_vgpr28
                                        ; implicit-def: $vgpr29_vgpr30
.LBB99_131:
	s_and_not1_saveexec_b32 s0, s0
	s_cbranch_execz .LBB99_133
; %bb.132:
	v_add_f64 v[25:26], v[27:28], v[27:28]
	v_add_f64 v[27:28], v[33:34], -v[29:30]
	s_delay_alu instid0(VALU_DEP_1) | instskip(NEXT) | instid1(VALU_DEP_1)
	v_div_scale_f64 v[29:30], null, v[27:28], v[27:28], v[25:26]
	v_rcp_f64_e32 v[31:32], v[29:30]
	s_waitcnt_depctr 0xfff
	v_fma_f64 v[33:34], -v[29:30], v[31:32], 1.0
	s_delay_alu instid0(VALU_DEP_1) | instskip(NEXT) | instid1(VALU_DEP_1)
	v_fma_f64 v[31:32], v[31:32], v[33:34], v[31:32]
	v_fma_f64 v[33:34], -v[29:30], v[31:32], 1.0
	s_delay_alu instid0(VALU_DEP_1) | instskip(SKIP_1) | instid1(VALU_DEP_1)
	v_fma_f64 v[31:32], v[31:32], v[33:34], v[31:32]
	v_div_scale_f64 v[33:34], vcc_lo, v[25:26], v[27:28], v[25:26]
	v_mul_f64 v[35:36], v[33:34], v[31:32]
	s_delay_alu instid0(VALU_DEP_1) | instskip(NEXT) | instid1(VALU_DEP_1)
	v_fma_f64 v[29:30], -v[29:30], v[35:36], v[33:34]
	v_div_fmas_f64 v[29:30], v[29:30], v[31:32], v[35:36]
	s_delay_alu instid0(VALU_DEP_1)
	v_div_fixup_f64 v[31:32], v[29:30], v[27:28], v[25:26]
.LBB99_133:
	s_or_b32 exec_lo, exec_lo, s0
	v_dual_mov_b32 v29, v21 :: v_dual_mov_b32 v28, v20
	s_delay_alu instid0(VALU_DEP_2)
	v_dual_mov_b32 v20, v31 :: v_dual_mov_b32 v21, v32
.LBB99_134:
	s_or_b32 exec_lo, exec_lo, s2
                                        ; implicit-def: $vgpr30_vgpr31
                                        ; implicit-def: $vgpr25_vgpr26
                                        ; implicit-def: $vgpr32_vgpr33
                                        ; implicit-def: $vgpr34_vgpr35
.LBB99_135:
	s_and_not1_saveexec_b32 s1, s1
	s_cbranch_execz .LBB99_141
; %bb.136:
	s_delay_alu instid0(VALU_DEP_1) | instskip(SKIP_2) | instid1(VALU_DEP_2)
	v_mul_f64 v[27:28], v[30:31], v[34:35]
	v_fma_f64 v[20:21], -v[30:31], v[25:26], v[32:33]
	s_mov_b64 s[2:3], 0
	v_mul_f64 v[31:32], v[27:28], 4.0
	s_delay_alu instid0(VALU_DEP_2) | instskip(NEXT) | instid1(VALU_DEP_2)
	v_add_f64 v[29:30], v[34:35], v[20:21]
	v_mul_f64 v[20:21], v[25:26], v[31:32]
	s_delay_alu instid0(VALU_DEP_2) | instskip(NEXT) | instid1(VALU_DEP_2)
	v_cmp_ngt_f64_e64 s0, 0, v[29:30]
	v_fma_f64 v[20:21], v[29:30], v[29:30], v[20:21]
	s_delay_alu instid0(VALU_DEP_1) | instskip(SKIP_1) | instid1(VALU_DEP_1)
	v_cmp_gt_f64_e32 vcc_lo, 0x10000000, v[20:21]
	v_cndmask_b32_e64 v3, 0, 1, vcc_lo
	v_lshlrev_b32_e32 v3, 8, v3
	s_delay_alu instid0(VALU_DEP_1) | instskip(SKIP_1) | instid1(VALU_DEP_2)
	v_ldexp_f64 v[20:21], v[20:21], v3
	v_cndmask_b32_e64 v3, 0, 0xffffff80, vcc_lo
	v_rsq_f64_e32 v[31:32], v[20:21]
	v_cmp_class_f64_e64 vcc_lo, v[20:21], 0x260
	s_waitcnt_depctr 0xfff
	v_mul_f64 v[33:34], v[20:21], v[31:32]
	v_mul_f64 v[31:32], v[31:32], 0.5
	s_delay_alu instid0(VALU_DEP_1) | instskip(NEXT) | instid1(VALU_DEP_1)
	v_fma_f64 v[35:36], -v[31:32], v[33:34], 0.5
	v_fma_f64 v[33:34], v[33:34], v[35:36], v[33:34]
	v_fma_f64 v[31:32], v[31:32], v[35:36], v[31:32]
	s_delay_alu instid0(VALU_DEP_2) | instskip(NEXT) | instid1(VALU_DEP_1)
	v_fma_f64 v[35:36], -v[33:34], v[33:34], v[20:21]
	v_fma_f64 v[33:34], v[35:36], v[31:32], v[33:34]
	s_delay_alu instid0(VALU_DEP_1) | instskip(NEXT) | instid1(VALU_DEP_1)
	v_fma_f64 v[35:36], -v[33:34], v[33:34], v[20:21]
	v_fma_f64 v[31:32], v[35:36], v[31:32], v[33:34]
	s_delay_alu instid0(VALU_DEP_1) | instskip(NEXT) | instid1(VALU_DEP_1)
	v_ldexp_f64 v[31:32], v[31:32], v3
	v_dual_cndmask_b32 v32, v32, v21 :: v_dual_cndmask_b32 v31, v31, v20
                                        ; implicit-def: $vgpr20_vgpr21
	s_and_saveexec_b32 s5, s0
	s_delay_alu instid0(SALU_CYCLE_1)
	s_xor_b32 s0, exec_lo, s5
	s_cbranch_execz .LBB99_138
; %bb.137:
	s_delay_alu instid0(VALU_DEP_1) | instskip(SKIP_1) | instid1(VALU_DEP_1)
	v_add_f64 v[20:21], v[29:30], v[31:32]
	v_add_f64 v[25:26], v[25:26], v[25:26]
	v_div_scale_f64 v[27:28], null, v[25:26], v[25:26], v[20:21]
	s_delay_alu instid0(VALU_DEP_1) | instskip(SKIP_2) | instid1(VALU_DEP_1)
	v_rcp_f64_e32 v[29:30], v[27:28]
	s_waitcnt_depctr 0xfff
	v_fma_f64 v[31:32], -v[27:28], v[29:30], 1.0
	v_fma_f64 v[29:30], v[29:30], v[31:32], v[29:30]
	s_delay_alu instid0(VALU_DEP_1) | instskip(NEXT) | instid1(VALU_DEP_1)
	v_fma_f64 v[31:32], -v[27:28], v[29:30], 1.0
	v_fma_f64 v[29:30], v[29:30], v[31:32], v[29:30]
	v_div_scale_f64 v[31:32], vcc_lo, v[20:21], v[25:26], v[20:21]
	s_delay_alu instid0(VALU_DEP_1) | instskip(NEXT) | instid1(VALU_DEP_1)
	v_mul_f64 v[33:34], v[31:32], v[29:30]
	v_fma_f64 v[27:28], -v[27:28], v[33:34], v[31:32]
                                        ; implicit-def: $vgpr31_vgpr32
	s_delay_alu instid0(VALU_DEP_1) | instskip(NEXT) | instid1(VALU_DEP_1)
	v_div_fmas_f64 v[27:28], v[27:28], v[29:30], v[33:34]
                                        ; implicit-def: $vgpr29_vgpr30
	v_div_fixup_f64 v[20:21], v[27:28], v[25:26], v[20:21]
                                        ; implicit-def: $vgpr27_vgpr28
.LBB99_138:
	s_or_saveexec_b32 s0, s0
	v_dual_mov_b32 v26, s3 :: v_dual_mov_b32 v25, s2
	s_xor_b32 exec_lo, exec_lo, s0
	s_cbranch_execz .LBB99_140
; %bb.139:
	v_add_f64 v[20:21], v[27:28], v[27:28]
	v_add_f64 v[25:26], v[31:32], -v[29:30]
	s_delay_alu instid0(VALU_DEP_1) | instskip(NEXT) | instid1(VALU_DEP_1)
	v_div_scale_f64 v[27:28], null, v[25:26], v[25:26], v[20:21]
	v_rcp_f64_e32 v[29:30], v[27:28]
	s_waitcnt_depctr 0xfff
	v_fma_f64 v[31:32], -v[27:28], v[29:30], 1.0
	s_delay_alu instid0(VALU_DEP_1) | instskip(NEXT) | instid1(VALU_DEP_1)
	v_fma_f64 v[29:30], v[29:30], v[31:32], v[29:30]
	v_fma_f64 v[31:32], -v[27:28], v[29:30], 1.0
	s_delay_alu instid0(VALU_DEP_1) | instskip(SKIP_1) | instid1(VALU_DEP_1)
	v_fma_f64 v[29:30], v[29:30], v[31:32], v[29:30]
	v_div_scale_f64 v[31:32], vcc_lo, v[20:21], v[25:26], v[20:21]
	v_mul_f64 v[33:34], v[31:32], v[29:30]
	s_delay_alu instid0(VALU_DEP_1) | instskip(NEXT) | instid1(VALU_DEP_1)
	v_fma_f64 v[27:28], -v[27:28], v[33:34], v[31:32]
	v_div_fmas_f64 v[27:28], v[27:28], v[29:30], v[33:34]
	s_delay_alu instid0(VALU_DEP_1)
	v_div_fixup_f64 v[20:21], v[27:28], v[25:26], v[20:21]
	v_mov_b32_e32 v25, 0
	v_mov_b32_e32 v26, 0
.LBB99_140:
	s_or_b32 exec_lo, exec_lo, s0
	v_dual_mov_b32 v29, v23 :: v_dual_mov_b32 v28, v22
	s_delay_alu instid0(VALU_DEP_2)
	v_dual_mov_b32 v22, v25 :: v_dual_mov_b32 v23, v26
.LBB99_141:
	s_or_b32 exec_lo, exec_lo, s1
	v_cmp_lt_i32_e64 s0, 1, v24
	v_dual_mov_b32 v25, v17 :: v_dual_mov_b32 v24, v16
	s_delay_alu instid0(VALU_DEP_2)
	s_and_saveexec_b32 s2, s0
	s_cbranch_execz .LBB99_145
; %bb.142:
	v_dual_mov_b32 v25, v9 :: v_dual_mov_b32 v24, v8
	v_mov_b32_e32 v3, v0
	s_mov_b32 s3, 0
.LBB99_143:                             ; =>This Inner Loop Header: Depth=1
	global_load_b64 v[26:27], v[24:25], off
	v_add_nc_u32_e32 v3, -1, v3
	s_delay_alu instid0(VALU_DEP_1)
	v_cmp_eq_u32_e32 vcc_lo, 0, v3
	s_or_b32 s3, vcc_lo, s3
	s_waitcnt vmcnt(0)
	v_add_f64 v[26:27], v[26:27], -v[16:17]
	global_store_b64 v[24:25], v[26:27], off
	v_add_co_u32 v24, s1, v24, 8
	s_delay_alu instid0(VALU_DEP_1)
	v_add_co_ci_u32_e64 v25, s1, 0, v25, s1
	s_and_not1_b32 exec_lo, exec_lo, s3
	s_cbranch_execnz .LBB99_143
; %bb.144:
	s_or_b32 exec_lo, exec_lo, s3
	global_load_b64 v[24:25], v[10:11], off
.LBB99_145:
	s_or_b32 exec_lo, exec_lo, s2
	s_waitcnt vmcnt(0)
	v_add_f64 v[26:27], v[24:25], -v[16:17]
	v_mov_b32_e32 v24, 0
	v_mov_b32_e32 v25, 0
	s_delay_alu instid0(VALU_DEP_1)
	v_dual_mov_b32 v31, v25 :: v_dual_mov_b32 v30, v24
	v_dual_mov_b32 v33, v25 :: v_dual_mov_b32 v32, v24
	global_store_b64 v[10:11], v[26:27], off
	s_and_saveexec_b32 s2, s0
	s_cbranch_execz .LBB99_149
; %bb.146:
	v_dual_mov_b32 v24, 0 :: v_dual_mov_b32 v27, v13
	v_dual_mov_b32 v25, 0 :: v_dual_mov_b32 v26, v12
	;; [unrolled: 1-line block ×3, first 2 shown]
	v_mov_b32_e32 v3, v0
	s_delay_alu instid0(VALU_DEP_3)
	v_dual_mov_b32 v31, v25 :: v_dual_mov_b32 v30, v24
	v_dual_mov_b32 v33, v25 :: v_dual_mov_b32 v32, v24
	s_mov_b32 s3, 0
	s_set_inst_prefetch_distance 0x1
	.p2align	6
.LBB99_147:                             ; =>This Inner Loop Header: Depth=1
	global_load_b64 v[36:37], v[34:35], off
	v_add_nc_u32_e32 v3, -1, v3
	s_waitcnt vmcnt(0)
	v_add_f64 v[36:37], v[36:37], -v[20:21]
	global_store_b64 v[34:35], v[36:37], off
	global_load_b64 v[38:39], v[26:27], off
	v_add_co_u32 v34, s1, v34, 8
	s_delay_alu instid0(VALU_DEP_1) | instskip(SKIP_1) | instid1(VALU_DEP_1)
	v_add_co_ci_u32_e64 v35, s1, 0, v35, s1
	v_add_co_u32 v26, s1, v26, 8
	v_add_co_ci_u32_e64 v27, s1, 0, v27, s1
	s_waitcnt vmcnt(0)
	v_div_scale_f64 v[40:41], null, v[36:37], v[36:37], v[38:39]
	v_div_scale_f64 v[46:47], vcc_lo, v[38:39], v[36:37], v[38:39]
	s_delay_alu instid0(VALU_DEP_2) | instskip(SKIP_2) | instid1(VALU_DEP_1)
	v_rcp_f64_e32 v[42:43], v[40:41]
	s_waitcnt_depctr 0xfff
	v_fma_f64 v[44:45], -v[40:41], v[42:43], 1.0
	v_fma_f64 v[42:43], v[42:43], v[44:45], v[42:43]
	s_delay_alu instid0(VALU_DEP_1) | instskip(NEXT) | instid1(VALU_DEP_1)
	v_fma_f64 v[44:45], -v[40:41], v[42:43], 1.0
	v_fma_f64 v[42:43], v[42:43], v[44:45], v[42:43]
	s_delay_alu instid0(VALU_DEP_1) | instskip(NEXT) | instid1(VALU_DEP_1)
	v_mul_f64 v[44:45], v[46:47], v[42:43]
	v_fma_f64 v[40:41], -v[40:41], v[44:45], v[46:47]
	s_delay_alu instid0(VALU_DEP_1) | instskip(SKIP_2) | instid1(VALU_DEP_2)
	v_div_fmas_f64 v[40:41], v[40:41], v[42:43], v[44:45]
	v_cmp_eq_u32_e32 vcc_lo, 0, v3
	s_or_b32 s3, vcc_lo, s3
	v_div_fixup_f64 v[36:37], v[40:41], v[36:37], v[38:39]
	s_delay_alu instid0(VALU_DEP_1) | instskip(SKIP_1) | instid1(VALU_DEP_2)
	v_fma_f64 v[32:33], v[38:39], v[36:37], v[32:33]
	v_fma_f64 v[24:25], v[36:37], v[36:37], v[24:25]
	v_add_f64 v[30:31], v[30:31], v[32:33]
	s_and_not1_b32 exec_lo, exec_lo, s3
	s_cbranch_execnz .LBB99_147
; %bb.148:
	s_set_inst_prefetch_distance 0x2
	s_or_b32 exec_lo, exec_lo, s3
	global_load_b64 v[26:27], v[10:11], off
.LBB99_149:
	s_or_b32 exec_lo, exec_lo, s2
	s_waitcnt vmcnt(0)
	v_add_f64 v[26:27], v[26:27], -v[20:21]
	s_mov_b32 s3, exec_lo
	global_store_b64 v[10:11], v[26:27], off
	global_load_b64 v[34:35], v[14:15], off
	s_waitcnt vmcnt(0)
	v_div_scale_f64 v[36:37], null, v[26:27], v[26:27], v[34:35]
	s_delay_alu instid0(VALU_DEP_1) | instskip(SKIP_2) | instid1(VALU_DEP_1)
	v_rcp_f64_e32 v[38:39], v[36:37]
	s_waitcnt_depctr 0xfff
	v_fma_f64 v[40:41], -v[36:37], v[38:39], 1.0
	v_fma_f64 v[38:39], v[38:39], v[40:41], v[38:39]
	s_delay_alu instid0(VALU_DEP_1) | instskip(NEXT) | instid1(VALU_DEP_1)
	v_fma_f64 v[40:41], -v[36:37], v[38:39], 1.0
	v_fma_f64 v[38:39], v[38:39], v[40:41], v[38:39]
	v_div_scale_f64 v[40:41], vcc_lo, v[34:35], v[26:27], v[34:35]
	s_delay_alu instid0(VALU_DEP_1) | instskip(NEXT) | instid1(VALU_DEP_1)
	v_mul_f64 v[42:43], v[40:41], v[38:39]
	v_fma_f64 v[36:37], -v[36:37], v[42:43], v[40:41]
	s_delay_alu instid0(VALU_DEP_1) | instskip(NEXT) | instid1(VALU_DEP_1)
	v_div_fmas_f64 v[36:37], v[36:37], v[38:39], v[42:43]
	v_div_fixup_f64 v[36:37], v[36:37], v[26:27], v[34:35]
	s_delay_alu instid0(VALU_DEP_1) | instskip(SKIP_1) | instid1(VALU_DEP_2)
	v_fma_f64 v[38:39], v[34:35], v[36:37], 0
	v_fma_f64 v[34:35], v[36:37], v[36:37], v[24:25]
	v_add_f64 v[40:41], v[32:33], v[38:39]
	v_add_f64 v[30:31], |v[30:31]|, v[38:39]
	v_add_f64 v[32:33], v[18:19], v[32:33]
	s_delay_alu instid0(VALU_DEP_3) | instskip(NEXT) | instid1(VALU_DEP_2)
	v_ldexp_f64 v[40:41], -v[40:41], 3
	v_add_f64 v[32:33], v[32:33], v[38:39]
	s_delay_alu instid0(VALU_DEP_2) | instskip(NEXT) | instid1(VALU_DEP_1)
	v_fma_f64 v[40:41], |v[20:21]|, v[34:35], v[40:41]
	v_add_f64 v[40:41], v[40:41], -v[38:39]
	s_delay_alu instid0(VALU_DEP_1) | instskip(NEXT) | instid1(VALU_DEP_1)
	v_add_f64 v[40:41], v[18:19], v[40:41]
	v_add_f64 v[30:31], v[30:31], v[40:41]
	s_delay_alu instid0(VALU_DEP_1) | instskip(NEXT) | instid1(VALU_DEP_1)
	v_mul_f64 v[30:31], v[30:31], s[22:23]
	v_cmpx_nle_f64_e64 |v[32:33]|, v[30:31]
	s_cbranch_execz .LBB99_191
; %bb.150:
	global_load_b64 v[38:39], v[1:2], off offset:-16
	v_mul_f64 v[30:31], v[36:37], v[36:37]
	v_cmp_lt_f64_e32 vcc_lo, 0, v[32:33]
	v_cmp_lt_f64_e64 s1, v[20:21], v[28:29]
	s_delay_alu instid0(VALU_DEP_1) | instskip(SKIP_2) | instid1(VALU_DEP_1)
	s_and_b32 vcc_lo, s1, vcc_lo
	s_waitcnt vmcnt(0)
	v_fma_f64 v[24:25], -v[24:25], v[38:39], v[32:33]
	v_fma_f64 v[36:37], -v[26:27], v[30:31], v[24:25]
	v_dual_cndmask_b32 v25, v29, v21 :: v_dual_cndmask_b32 v24, v28, v20
                                        ; implicit-def: $vgpr30_vgpr31
	s_delay_alu instid0(VALU_DEP_2) | instskip(NEXT) | instid1(VALU_DEP_1)
	v_cmp_neq_f64_e64 s2, 0, v[36:37]
	s_and_saveexec_b32 s1, s2
	s_delay_alu instid0(SALU_CYCLE_1)
	s_xor_b32 s2, exec_lo, s1
	s_cbranch_execz .LBB99_156
; %bb.151:
	v_mul_f64 v[30:31], v[26:27], v[38:39]
	v_add_f64 v[38:39], v[26:27], v[38:39]
	s_delay_alu instid0(VALU_DEP_2) | instskip(SKIP_1) | instid1(VALU_DEP_2)
	v_mul_f64 v[28:29], v[32:33], v[30:31]
	v_mul_f64 v[30:31], v[34:35], v[30:31]
	v_mul_f64 v[40:41], v[28:29], -4.0
	s_delay_alu instid0(VALU_DEP_2) | instskip(NEXT) | instid1(VALU_DEP_2)
	v_fma_f64 v[38:39], v[32:33], v[38:39], -v[30:31]
	v_mul_f64 v[30:31], v[40:41], |v[36:37]|
	s_delay_alu instid0(VALU_DEP_1) | instskip(NEXT) | instid1(VALU_DEP_1)
	v_fma_f64 v[30:31], v[38:39], v[38:39], v[30:31]
	v_cmp_gt_f64_e64 s1, 0x10000000, |v[30:31]|
	s_delay_alu instid0(VALU_DEP_1) | instskip(NEXT) | instid1(VALU_DEP_1)
	v_cndmask_b32_e64 v3, 0, 1, s1
	v_lshlrev_b32_e32 v3, 8, v3
	s_delay_alu instid0(VALU_DEP_1) | instskip(SKIP_2) | instid1(VALU_DEP_3)
	v_ldexp_f64 v[30:31], |v[30:31]|, v3
	v_cndmask_b32_e64 v3, 0, 0xffffff80, s1
	v_cmp_le_f64_e64 s1, 0, v[38:39]
	v_rsq_f64_e32 v[40:41], v[30:31]
	v_cmp_class_f64_e64 vcc_lo, v[30:31], 0x260
	s_waitcnt_depctr 0xfff
	v_mul_f64 v[42:43], v[30:31], v[40:41]
	v_mul_f64 v[40:41], v[40:41], 0.5
	s_delay_alu instid0(VALU_DEP_1) | instskip(NEXT) | instid1(VALU_DEP_1)
	v_fma_f64 v[44:45], -v[40:41], v[42:43], 0.5
	v_fma_f64 v[42:43], v[42:43], v[44:45], v[42:43]
	v_fma_f64 v[40:41], v[40:41], v[44:45], v[40:41]
	s_delay_alu instid0(VALU_DEP_2) | instskip(NEXT) | instid1(VALU_DEP_1)
	v_fma_f64 v[44:45], -v[42:43], v[42:43], v[30:31]
	v_fma_f64 v[42:43], v[44:45], v[40:41], v[42:43]
	s_delay_alu instid0(VALU_DEP_1) | instskip(NEXT) | instid1(VALU_DEP_1)
	v_fma_f64 v[44:45], -v[42:43], v[42:43], v[30:31]
	v_fma_f64 v[40:41], v[44:45], v[40:41], v[42:43]
	s_delay_alu instid0(VALU_DEP_1) | instskip(NEXT) | instid1(VALU_DEP_1)
	v_ldexp_f64 v[40:41], v[40:41], v3
	v_dual_cndmask_b32 v40, v40, v30 :: v_dual_cndmask_b32 v41, v41, v31
                                        ; implicit-def: $vgpr30_vgpr31
	s_and_saveexec_b32 s5, s1
	s_delay_alu instid0(SALU_CYCLE_1)
	s_xor_b32 s1, exec_lo, s5
	s_cbranch_execz .LBB99_153
; %bb.152:
	s_delay_alu instid0(VALU_DEP_1) | instskip(SKIP_1) | instid1(VALU_DEP_1)
	v_add_f64 v[28:29], v[38:39], v[40:41]
	v_add_f64 v[30:31], |v[36:37]|, |v[36:37]|
	v_div_scale_f64 v[36:37], null, v[30:31], v[30:31], v[28:29]
	s_delay_alu instid0(VALU_DEP_1) | instskip(SKIP_2) | instid1(VALU_DEP_1)
	v_rcp_f64_e32 v[38:39], v[36:37]
	s_waitcnt_depctr 0xfff
	v_fma_f64 v[40:41], -v[36:37], v[38:39], 1.0
	v_fma_f64 v[38:39], v[38:39], v[40:41], v[38:39]
	s_delay_alu instid0(VALU_DEP_1) | instskip(NEXT) | instid1(VALU_DEP_1)
	v_fma_f64 v[40:41], -v[36:37], v[38:39], 1.0
	v_fma_f64 v[38:39], v[38:39], v[40:41], v[38:39]
	v_div_scale_f64 v[40:41], vcc_lo, v[28:29], v[30:31], v[28:29]
	s_delay_alu instid0(VALU_DEP_1) | instskip(NEXT) | instid1(VALU_DEP_1)
	v_mul_f64 v[42:43], v[40:41], v[38:39]
	v_fma_f64 v[36:37], -v[36:37], v[42:43], v[40:41]
                                        ; implicit-def: $vgpr40_vgpr41
	s_delay_alu instid0(VALU_DEP_1) | instskip(NEXT) | instid1(VALU_DEP_1)
	v_div_fmas_f64 v[36:37], v[36:37], v[38:39], v[42:43]
                                        ; implicit-def: $vgpr38_vgpr39
	v_div_fixup_f64 v[30:31], v[36:37], v[30:31], v[28:29]
                                        ; implicit-def: $vgpr28_vgpr29
.LBB99_153:
	s_and_not1_saveexec_b32 s1, s1
	s_cbranch_execz .LBB99_155
; %bb.154:
	v_add_f64 v[28:29], v[28:29], v[28:29]
	v_add_f64 v[30:31], v[38:39], -v[40:41]
	s_delay_alu instid0(VALU_DEP_1) | instskip(NEXT) | instid1(VALU_DEP_1)
	v_div_scale_f64 v[36:37], null, v[30:31], v[30:31], v[28:29]
	v_rcp_f64_e32 v[38:39], v[36:37]
	s_waitcnt_depctr 0xfff
	v_fma_f64 v[40:41], -v[36:37], v[38:39], 1.0
	s_delay_alu instid0(VALU_DEP_1) | instskip(NEXT) | instid1(VALU_DEP_1)
	v_fma_f64 v[38:39], v[38:39], v[40:41], v[38:39]
	v_fma_f64 v[40:41], -v[36:37], v[38:39], 1.0
	s_delay_alu instid0(VALU_DEP_1) | instskip(SKIP_1) | instid1(VALU_DEP_1)
	v_fma_f64 v[38:39], v[38:39], v[40:41], v[38:39]
	v_div_scale_f64 v[40:41], vcc_lo, v[28:29], v[30:31], v[28:29]
	v_mul_f64 v[42:43], v[40:41], v[38:39]
	s_delay_alu instid0(VALU_DEP_1) | instskip(NEXT) | instid1(VALU_DEP_1)
	v_fma_f64 v[36:37], -v[36:37], v[42:43], v[40:41]
	v_div_fmas_f64 v[36:37], v[36:37], v[38:39], v[42:43]
	s_delay_alu instid0(VALU_DEP_1)
	v_div_fixup_f64 v[30:31], v[36:37], v[30:31], v[28:29]
.LBB99_155:
	s_or_b32 exec_lo, exec_lo, s1
.LBB99_156:
	s_and_not1_saveexec_b32 s1, s2
; %bb.157:
	v_add_f64 v[30:31], v[24:25], -v[20:21]
; %bb.158:
	s_or_b32 exec_lo, exec_lo, s1
	s_delay_alu instid0(VALU_DEP_1) | instskip(SKIP_1) | instid1(VALU_DEP_1)
	v_mul_f64 v[28:29], v[32:33], v[30:31]
	s_mov_b32 s1, exec_lo
	v_cmpx_lt_f64_e32 0, v[28:29]
; %bb.159:
	v_div_scale_f64 v[28:29], null, v[34:35], v[34:35], -v[32:33]
	s_delay_alu instid0(VALU_DEP_1) | instskip(SKIP_2) | instid1(VALU_DEP_1)
	v_rcp_f64_e32 v[30:31], v[28:29]
	s_waitcnt_depctr 0xfff
	v_fma_f64 v[36:37], -v[28:29], v[30:31], 1.0
	v_fma_f64 v[30:31], v[30:31], v[36:37], v[30:31]
	s_delay_alu instid0(VALU_DEP_1) | instskip(NEXT) | instid1(VALU_DEP_1)
	v_fma_f64 v[36:37], -v[28:29], v[30:31], 1.0
	v_fma_f64 v[30:31], v[30:31], v[36:37], v[30:31]
	v_div_scale_f64 v[36:37], vcc_lo, -v[32:33], v[34:35], -v[32:33]
	s_delay_alu instid0(VALU_DEP_1) | instskip(NEXT) | instid1(VALU_DEP_1)
	v_mul_f64 v[38:39], v[36:37], v[30:31]
	v_fma_f64 v[28:29], -v[28:29], v[38:39], v[36:37]
	s_delay_alu instid0(VALU_DEP_1) | instskip(NEXT) | instid1(VALU_DEP_1)
	v_div_fmas_f64 v[28:29], v[28:29], v[30:31], v[38:39]
	v_div_fixup_f64 v[30:31], v[28:29], v[34:35], -v[32:33]
; %bb.160:
	s_or_b32 exec_lo, exec_lo, s1
	v_cmp_lt_f64_e32 vcc_lo, v[22:23], v[20:21]
	s_delay_alu instid0(VALU_DEP_2) | instskip(SKIP_2) | instid1(VALU_DEP_2)
	v_add_f64 v[28:29], v[20:21], v[30:31]
	v_dual_cndmask_b32 v3, v22, v20 :: v_dual_cndmask_b32 v34, v23, v21
	v_cmp_nge_f64_e32 vcc_lo, 0, v[32:33]
	v_dual_cndmask_b32 v23, v34, v23 :: v_dual_cndmask_b32 v22, v3, v22
	s_delay_alu instid0(VALU_DEP_4) | instskip(NEXT) | instid1(VALU_DEP_2)
	v_cmp_gt_f64_e32 vcc_lo, v[28:29], v[24:25]
	v_cmp_lt_f64_e64 s1, v[28:29], v[22:23]
	s_delay_alu instid0(VALU_DEP_1) | instskip(NEXT) | instid1(SALU_CYCLE_1)
	s_or_b32 s2, vcc_lo, s1
	s_and_saveexec_b32 s1, s2
	s_cbranch_execz .LBB99_166
; %bb.161:
	s_mov_b32 s2, exec_lo
                                        ; implicit-def: $vgpr30_vgpr31
	v_cmpx_ngt_f64_e32 0, v[32:33]
	s_xor_b32 s2, exec_lo, s2
; %bb.162:
	v_add_f64 v[28:29], v[22:23], -v[20:21]
	s_delay_alu instid0(VALU_DEP_1)
	v_mul_f64 v[30:31], v[28:29], 0.5
; %bb.163:
	s_and_not1_saveexec_b32 s2, s2
; %bb.164:
	v_add_f64 v[28:29], v[24:25], -v[20:21]
	s_delay_alu instid0(VALU_DEP_1)
	v_mul_f64 v[30:31], v[28:29], 0.5
; %bb.165:
	s_or_b32 exec_lo, exec_lo, s2
.LBB99_166:
	s_delay_alu instid0(SALU_CYCLE_1) | instskip(SKIP_2) | instid1(VALU_DEP_1)
	s_or_b32 exec_lo, exec_lo, s1
	v_mov_b32_e32 v28, 0
	v_mov_b32_e32 v29, 0
	v_dual_mov_b32 v33, v29 :: v_dual_mov_b32 v32, v28
	v_dual_mov_b32 v35, v29 :: v_dual_mov_b32 v34, v28
	s_and_saveexec_b32 s2, s0
	s_cbranch_execz .LBB99_170
; %bb.167:
	v_dual_mov_b32 v28, 0 :: v_dual_mov_b32 v27, v13
	v_dual_mov_b32 v29, 0 :: v_dual_mov_b32 v26, v12
	;; [unrolled: 1-line block ×3, first 2 shown]
	v_mov_b32_e32 v3, v0
	s_delay_alu instid0(VALU_DEP_3)
	v_dual_mov_b32 v33, v29 :: v_dual_mov_b32 v32, v28
	v_dual_mov_b32 v35, v29 :: v_dual_mov_b32 v34, v28
	s_mov_b32 s5, 0
	s_set_inst_prefetch_distance 0x1
	.p2align	6
.LBB99_168:                             ; =>This Inner Loop Header: Depth=1
	global_load_b64 v[38:39], v[36:37], off
	v_add_nc_u32_e32 v3, -1, v3
	s_waitcnt vmcnt(0)
	v_add_f64 v[38:39], v[38:39], -v[30:31]
	global_store_b64 v[36:37], v[38:39], off
	global_load_b64 v[40:41], v[26:27], off
	v_add_co_u32 v36, s1, v36, 8
	s_delay_alu instid0(VALU_DEP_1) | instskip(SKIP_1) | instid1(VALU_DEP_1)
	v_add_co_ci_u32_e64 v37, s1, 0, v37, s1
	v_add_co_u32 v26, s1, v26, 8
	v_add_co_ci_u32_e64 v27, s1, 0, v27, s1
	s_waitcnt vmcnt(0)
	v_div_scale_f64 v[42:43], null, v[38:39], v[38:39], v[40:41]
	v_div_scale_f64 v[48:49], vcc_lo, v[40:41], v[38:39], v[40:41]
	s_delay_alu instid0(VALU_DEP_2) | instskip(SKIP_2) | instid1(VALU_DEP_1)
	v_rcp_f64_e32 v[44:45], v[42:43]
	s_waitcnt_depctr 0xfff
	v_fma_f64 v[46:47], -v[42:43], v[44:45], 1.0
	v_fma_f64 v[44:45], v[44:45], v[46:47], v[44:45]
	s_delay_alu instid0(VALU_DEP_1) | instskip(NEXT) | instid1(VALU_DEP_1)
	v_fma_f64 v[46:47], -v[42:43], v[44:45], 1.0
	v_fma_f64 v[44:45], v[44:45], v[46:47], v[44:45]
	s_delay_alu instid0(VALU_DEP_1) | instskip(NEXT) | instid1(VALU_DEP_1)
	v_mul_f64 v[46:47], v[48:49], v[44:45]
	v_fma_f64 v[42:43], -v[42:43], v[46:47], v[48:49]
	s_delay_alu instid0(VALU_DEP_1) | instskip(SKIP_2) | instid1(VALU_DEP_2)
	v_div_fmas_f64 v[42:43], v[42:43], v[44:45], v[46:47]
	v_cmp_eq_u32_e32 vcc_lo, 0, v3
	s_or_b32 s5, vcc_lo, s5
	v_div_fixup_f64 v[38:39], v[42:43], v[38:39], v[40:41]
	s_delay_alu instid0(VALU_DEP_1) | instskip(SKIP_1) | instid1(VALU_DEP_2)
	v_fma_f64 v[34:35], v[40:41], v[38:39], v[34:35]
	v_fma_f64 v[28:29], v[38:39], v[38:39], v[28:29]
	v_add_f64 v[32:33], v[32:33], v[34:35]
	s_and_not1_b32 exec_lo, exec_lo, s5
	s_cbranch_execnz .LBB99_168
; %bb.169:
	s_set_inst_prefetch_distance 0x2
	s_or_b32 exec_lo, exec_lo, s5
	global_load_b64 v[26:27], v[10:11], off
.LBB99_170:
	s_or_b32 exec_lo, exec_lo, s2
	s_waitcnt vmcnt(0)
	v_add_f64 v[26:27], v[26:27], -v[30:31]
	v_add_f64 v[20:21], v[20:21], v[30:31]
	s_mov_b32 s5, exec_lo
	global_store_b64 v[10:11], v[26:27], off
	global_load_b64 v[38:39], v[14:15], off
	s_waitcnt vmcnt(0)
	v_div_scale_f64 v[36:37], null, v[26:27], v[26:27], v[38:39]
	s_delay_alu instid0(VALU_DEP_1) | instskip(SKIP_2) | instid1(VALU_DEP_1)
	v_rcp_f64_e32 v[40:41], v[36:37]
	s_waitcnt_depctr 0xfff
	v_fma_f64 v[42:43], -v[36:37], v[40:41], 1.0
	v_fma_f64 v[40:41], v[40:41], v[42:43], v[40:41]
	s_delay_alu instid0(VALU_DEP_1) | instskip(NEXT) | instid1(VALU_DEP_1)
	v_fma_f64 v[42:43], -v[36:37], v[40:41], 1.0
	v_fma_f64 v[40:41], v[40:41], v[42:43], v[40:41]
	v_div_scale_f64 v[42:43], vcc_lo, v[38:39], v[26:27], v[38:39]
	s_delay_alu instid0(VALU_DEP_1) | instskip(NEXT) | instid1(VALU_DEP_1)
	v_mul_f64 v[44:45], v[42:43], v[40:41]
	v_fma_f64 v[36:37], -v[36:37], v[44:45], v[42:43]
	s_delay_alu instid0(VALU_DEP_1) | instskip(NEXT) | instid1(VALU_DEP_1)
	v_div_fmas_f64 v[36:37], v[36:37], v[40:41], v[44:45]
	v_div_fixup_f64 v[36:37], v[36:37], v[26:27], v[38:39]
	s_delay_alu instid0(VALU_DEP_1) | instskip(SKIP_1) | instid1(VALU_DEP_2)
	v_fma_f64 v[38:39], v[38:39], v[36:37], 0
	v_fma_f64 v[30:31], v[36:37], v[36:37], v[28:29]
	v_add_f64 v[40:41], v[34:35], v[38:39]
	v_add_f64 v[32:33], |v[32:33]|, v[38:39]
	v_add_f64 v[34:35], v[18:19], v[34:35]
	s_delay_alu instid0(VALU_DEP_3) | instskip(NEXT) | instid1(VALU_DEP_1)
	v_ldexp_f64 v[40:41], -v[40:41], 3
	v_fma_f64 v[30:31], |v[20:21]|, v[30:31], v[40:41]
	s_delay_alu instid0(VALU_DEP_1) | instskip(NEXT) | instid1(VALU_DEP_1)
	v_add_f64 v[30:31], v[30:31], -v[38:39]
	v_add_f64 v[30:31], v[18:19], v[30:31]
	s_delay_alu instid0(VALU_DEP_1) | instskip(SKIP_1) | instid1(VALU_DEP_2)
	v_add_f64 v[32:33], v[32:33], v[30:31]
	v_add_f64 v[30:31], v[34:35], v[38:39]
	v_mul_f64 v[32:33], v[32:33], s[22:23]
	s_delay_alu instid0(VALU_DEP_1)
	v_cmpx_nle_f64_e64 |v[30:31]|, v[32:33]
	s_cbranch_execz .LBB99_190
; %bb.171:
	v_mul_f64 v[32:33], v[36:37], v[36:37]
	s_mov_b32 s7, 1
	s_mov_b32 s6, 0
	s_branch .LBB99_173
.LBB99_172:                             ;   in Loop: Header=BB99_173 Depth=1
	s_or_b32 exec_lo, exec_lo, s2
	s_waitcnt vmcnt(0)
	v_add_f64 v[26:27], v[26:27], -v[32:33]
	v_add_f64 v[20:21], v[20:21], v[32:33]
	s_add_i32 s1, s7, 1
	s_cmp_gt_u32 s7, 48
	s_mov_b32 s7, s1
	s_cselect_b32 s2, -1, 0
	global_store_b64 v[10:11], v[26:27], off
	global_load_b64 v[36:37], v[14:15], off
	s_waitcnt vmcnt(0)
	v_div_scale_f64 v[38:39], null, v[26:27], v[26:27], v[36:37]
	s_delay_alu instid0(VALU_DEP_1) | instskip(SKIP_2) | instid1(VALU_DEP_1)
	v_rcp_f64_e32 v[40:41], v[38:39]
	s_waitcnt_depctr 0xfff
	v_fma_f64 v[42:43], -v[38:39], v[40:41], 1.0
	v_fma_f64 v[40:41], v[40:41], v[42:43], v[40:41]
	s_delay_alu instid0(VALU_DEP_1) | instskip(NEXT) | instid1(VALU_DEP_1)
	v_fma_f64 v[42:43], -v[38:39], v[40:41], 1.0
	v_fma_f64 v[40:41], v[40:41], v[42:43], v[40:41]
	v_div_scale_f64 v[42:43], vcc_lo, v[36:37], v[26:27], v[36:37]
	s_delay_alu instid0(VALU_DEP_1) | instskip(NEXT) | instid1(VALU_DEP_1)
	v_mul_f64 v[44:45], v[42:43], v[40:41]
	v_fma_f64 v[38:39], -v[38:39], v[44:45], v[42:43]
	s_delay_alu instid0(VALU_DEP_1) | instskip(NEXT) | instid1(VALU_DEP_1)
	v_div_fmas_f64 v[38:39], v[38:39], v[40:41], v[44:45]
	v_div_fixup_f64 v[38:39], v[38:39], v[26:27], v[36:37]
	s_delay_alu instid0(VALU_DEP_1) | instskip(SKIP_1) | instid1(VALU_DEP_2)
	v_fma_f64 v[36:37], v[36:37], v[38:39], 0
	v_fma_f64 v[32:33], v[38:39], v[38:39], v[28:29]
	v_add_f64 v[40:41], v[34:35], v[36:37]
	v_add_f64 v[30:31], |v[30:31]|, v[36:37]
	v_add_f64 v[34:35], v[18:19], v[34:35]
	s_delay_alu instid0(VALU_DEP_3) | instskip(NEXT) | instid1(VALU_DEP_1)
	v_ldexp_f64 v[40:41], -v[40:41], 3
	v_fma_f64 v[32:33], |v[20:21]|, v[32:33], v[40:41]
	s_delay_alu instid0(VALU_DEP_1) | instskip(NEXT) | instid1(VALU_DEP_1)
	v_add_f64 v[32:33], v[32:33], -v[36:37]
	v_add_f64 v[32:33], v[18:19], v[32:33]
	s_delay_alu instid0(VALU_DEP_1) | instskip(SKIP_1) | instid1(VALU_DEP_2)
	v_add_f64 v[32:33], v[30:31], v[32:33]
	v_add_f64 v[30:31], v[34:35], v[36:37]
	v_mul_f64 v[32:33], v[32:33], s[22:23]
	s_delay_alu instid0(VALU_DEP_2) | instskip(NEXT) | instid1(VALU_DEP_1)
	v_dual_mov_b32 v34, v30 :: v_dual_and_b32 v35, 0x7fffffff, v31
	v_cmp_le_f64_e32 vcc_lo, v[34:35], v[32:33]
	v_mul_f64 v[32:33], v[38:39], v[38:39]
	s_or_b32 s2, s2, vcc_lo
	s_delay_alu instid0(SALU_CYCLE_1) | instskip(NEXT) | instid1(SALU_CYCLE_1)
	s_and_b32 s2, exec_lo, s2
	s_or_b32 s6, s2, s6
	s_delay_alu instid0(SALU_CYCLE_1)
	s_and_not1_b32 exec_lo, exec_lo, s6
	s_cbranch_execz .LBB99_189
.LBB99_173:                             ; =>This Loop Header: Depth=1
                                        ;     Child Loop BB99_187 Depth 2
	global_load_b64 v[36:37], v[1:2], off offset:-16
	s_waitcnt vmcnt(0)
	v_mul_f64 v[40:41], v[26:27], v[36:37]
	v_fma_f64 v[38:39], -v[28:29], v[36:37], v[30:31]
	v_add_f64 v[28:29], v[32:33], v[28:29]
	v_add_f64 v[36:37], v[26:27], v[36:37]
	s_delay_alu instid0(VALU_DEP_4) | instskip(NEXT) | instid1(VALU_DEP_4)
	v_mul_f64 v[34:35], v[30:31], v[40:41]
	v_fma_f64 v[38:39], -v[26:27], v[32:33], v[38:39]
	s_delay_alu instid0(VALU_DEP_4) | instskip(NEXT) | instid1(VALU_DEP_3)
	v_mul_f64 v[32:33], v[28:29], v[40:41]
	v_mul_f64 v[40:41], v[34:35], -4.0
	s_delay_alu instid0(VALU_DEP_2) | instskip(NEXT) | instid1(VALU_DEP_2)
	v_fma_f64 v[36:37], v[30:31], v[36:37], -v[32:33]
	v_mul_f64 v[32:33], v[40:41], v[38:39]
	s_delay_alu instid0(VALU_DEP_1) | instskip(NEXT) | instid1(VALU_DEP_1)
	v_fma_f64 v[32:33], v[36:37], v[36:37], v[32:33]
	v_cmp_gt_f64_e64 s1, 0x10000000, |v[32:33]|
	s_delay_alu instid0(VALU_DEP_1) | instskip(NEXT) | instid1(VALU_DEP_1)
	v_cndmask_b32_e64 v3, 0, 1, s1
	v_lshlrev_b32_e32 v3, 8, v3
	s_delay_alu instid0(VALU_DEP_1) | instskip(SKIP_2) | instid1(VALU_DEP_3)
	v_ldexp_f64 v[32:33], |v[32:33]|, v3
	v_cndmask_b32_e64 v3, 0, 0xffffff80, s1
	v_cmp_le_f64_e64 s1, 0, v[36:37]
	v_rsq_f64_e32 v[40:41], v[32:33]
	v_cmp_class_f64_e64 vcc_lo, v[32:33], 0x260
	s_waitcnt_depctr 0xfff
	v_mul_f64 v[42:43], v[32:33], v[40:41]
	v_mul_f64 v[40:41], v[40:41], 0.5
	s_delay_alu instid0(VALU_DEP_1) | instskip(NEXT) | instid1(VALU_DEP_1)
	v_fma_f64 v[44:45], -v[40:41], v[42:43], 0.5
	v_fma_f64 v[42:43], v[42:43], v[44:45], v[42:43]
	v_fma_f64 v[40:41], v[40:41], v[44:45], v[40:41]
	s_delay_alu instid0(VALU_DEP_2) | instskip(NEXT) | instid1(VALU_DEP_1)
	v_fma_f64 v[44:45], -v[42:43], v[42:43], v[32:33]
	v_fma_f64 v[42:43], v[44:45], v[40:41], v[42:43]
	s_delay_alu instid0(VALU_DEP_1) | instskip(NEXT) | instid1(VALU_DEP_1)
	v_fma_f64 v[44:45], -v[42:43], v[42:43], v[32:33]
	v_fma_f64 v[40:41], v[44:45], v[40:41], v[42:43]
	s_delay_alu instid0(VALU_DEP_1) | instskip(NEXT) | instid1(VALU_DEP_1)
	v_ldexp_f64 v[40:41], v[40:41], v3
	v_dual_cndmask_b32 v40, v40, v32 :: v_dual_cndmask_b32 v41, v41, v33
                                        ; implicit-def: $vgpr32_vgpr33
	s_and_saveexec_b32 s2, s1
	s_delay_alu instid0(SALU_CYCLE_1)
	s_xor_b32 s1, exec_lo, s2
	s_cbranch_execz .LBB99_175
; %bb.174:                              ;   in Loop: Header=BB99_173 Depth=1
	s_delay_alu instid0(VALU_DEP_1) | instskip(SKIP_1) | instid1(VALU_DEP_1)
	v_add_f64 v[32:33], v[36:37], v[40:41]
	v_add_f64 v[34:35], v[38:39], v[38:39]
	v_div_scale_f64 v[36:37], null, v[34:35], v[34:35], v[32:33]
	s_delay_alu instid0(VALU_DEP_1) | instskip(SKIP_2) | instid1(VALU_DEP_1)
	v_rcp_f64_e32 v[38:39], v[36:37]
	s_waitcnt_depctr 0xfff
	v_fma_f64 v[40:41], -v[36:37], v[38:39], 1.0
	v_fma_f64 v[38:39], v[38:39], v[40:41], v[38:39]
	s_delay_alu instid0(VALU_DEP_1) | instskip(NEXT) | instid1(VALU_DEP_1)
	v_fma_f64 v[40:41], -v[36:37], v[38:39], 1.0
	v_fma_f64 v[38:39], v[38:39], v[40:41], v[38:39]
	v_div_scale_f64 v[40:41], vcc_lo, v[32:33], v[34:35], v[32:33]
	s_delay_alu instid0(VALU_DEP_1) | instskip(NEXT) | instid1(VALU_DEP_1)
	v_mul_f64 v[42:43], v[40:41], v[38:39]
	v_fma_f64 v[36:37], -v[36:37], v[42:43], v[40:41]
                                        ; implicit-def: $vgpr40_vgpr41
	s_delay_alu instid0(VALU_DEP_1) | instskip(NEXT) | instid1(VALU_DEP_1)
	v_div_fmas_f64 v[36:37], v[36:37], v[38:39], v[42:43]
	v_div_fixup_f64 v[32:33], v[36:37], v[34:35], v[32:33]
                                        ; implicit-def: $vgpr34_vgpr35
                                        ; implicit-def: $vgpr36_vgpr37
.LBB99_175:                             ;   in Loop: Header=BB99_173 Depth=1
	s_and_not1_saveexec_b32 s1, s1
	s_cbranch_execz .LBB99_177
; %bb.176:                              ;   in Loop: Header=BB99_173 Depth=1
	v_add_f64 v[32:33], v[34:35], v[34:35]
	v_add_f64 v[34:35], v[36:37], -v[40:41]
	s_delay_alu instid0(VALU_DEP_1) | instskip(NEXT) | instid1(VALU_DEP_1)
	v_div_scale_f64 v[36:37], null, v[34:35], v[34:35], v[32:33]
	v_rcp_f64_e32 v[38:39], v[36:37]
	s_waitcnt_depctr 0xfff
	v_fma_f64 v[40:41], -v[36:37], v[38:39], 1.0
	s_delay_alu instid0(VALU_DEP_1) | instskip(NEXT) | instid1(VALU_DEP_1)
	v_fma_f64 v[38:39], v[38:39], v[40:41], v[38:39]
	v_fma_f64 v[40:41], -v[36:37], v[38:39], 1.0
	s_delay_alu instid0(VALU_DEP_1) | instskip(SKIP_1) | instid1(VALU_DEP_1)
	v_fma_f64 v[38:39], v[38:39], v[40:41], v[38:39]
	v_div_scale_f64 v[40:41], vcc_lo, v[32:33], v[34:35], v[32:33]
	v_mul_f64 v[42:43], v[40:41], v[38:39]
	s_delay_alu instid0(VALU_DEP_1) | instskip(NEXT) | instid1(VALU_DEP_1)
	v_fma_f64 v[36:37], -v[36:37], v[42:43], v[40:41]
	v_div_fmas_f64 v[36:37], v[36:37], v[38:39], v[42:43]
	s_delay_alu instid0(VALU_DEP_1)
	v_div_fixup_f64 v[32:33], v[36:37], v[34:35], v[32:33]
.LBB99_177:                             ;   in Loop: Header=BB99_173 Depth=1
	s_or_b32 exec_lo, exec_lo, s1
	s_delay_alu instid0(VALU_DEP_1) | instskip(SKIP_1) | instid1(VALU_DEP_1)
	v_mul_f64 v[34:35], v[30:31], v[32:33]
	s_mov_b32 s1, exec_lo
	v_cmpx_lt_f64_e32 0, v[34:35]
; %bb.178:                              ;   in Loop: Header=BB99_173 Depth=1
	v_div_scale_f64 v[32:33], null, v[28:29], v[28:29], -v[30:31]
	s_delay_alu instid0(VALU_DEP_1) | instskip(SKIP_2) | instid1(VALU_DEP_1)
	v_rcp_f64_e32 v[34:35], v[32:33]
	s_waitcnt_depctr 0xfff
	v_fma_f64 v[36:37], -v[32:33], v[34:35], 1.0
	v_fma_f64 v[34:35], v[34:35], v[36:37], v[34:35]
	s_delay_alu instid0(VALU_DEP_1) | instskip(NEXT) | instid1(VALU_DEP_1)
	v_fma_f64 v[36:37], -v[32:33], v[34:35], 1.0
	v_fma_f64 v[34:35], v[34:35], v[36:37], v[34:35]
	v_div_scale_f64 v[36:37], vcc_lo, -v[30:31], v[28:29], -v[30:31]
	s_delay_alu instid0(VALU_DEP_1) | instskip(NEXT) | instid1(VALU_DEP_1)
	v_mul_f64 v[38:39], v[36:37], v[34:35]
	v_fma_f64 v[32:33], -v[32:33], v[38:39], v[36:37]
	s_delay_alu instid0(VALU_DEP_1) | instskip(NEXT) | instid1(VALU_DEP_1)
	v_div_fmas_f64 v[32:33], v[32:33], v[34:35], v[38:39]
	v_div_fixup_f64 v[32:33], v[32:33], v[28:29], -v[30:31]
; %bb.179:                              ;   in Loop: Header=BB99_173 Depth=1
	s_or_b32 exec_lo, exec_lo, s1
	v_cmp_lt_f64_e32 vcc_lo, v[22:23], v[20:21]
	v_cmp_lt_f64_e64 s1, 0, v[30:31]
	v_cmp_lt_f64_e64 s2, v[20:21], v[24:25]
	s_delay_alu instid0(VALU_DEP_4) | instskip(SKIP_2) | instid1(VALU_DEP_4)
	v_add_f64 v[28:29], v[20:21], v[32:33]
	v_dual_cndmask_b32 v3, v22, v20 :: v_dual_cndmask_b32 v34, v23, v21
	v_cmp_nge_f64_e32 vcc_lo, 0, v[30:31]
	s_and_b32 s1, s1, s2
	s_delay_alu instid0(SALU_CYCLE_1) | instskip(SKIP_2) | instid1(VALU_DEP_2)
	v_cndmask_b32_e64 v25, v25, v21, s1
	v_cndmask_b32_e64 v24, v24, v20, s1
	v_dual_cndmask_b32 v23, v34, v23 :: v_dual_cndmask_b32 v22, v3, v22
	v_cmp_gt_f64_e32 vcc_lo, v[28:29], v[24:25]
	s_delay_alu instid0(VALU_DEP_2) | instskip(NEXT) | instid1(VALU_DEP_1)
	v_cmp_lt_f64_e64 s1, v[28:29], v[22:23]
	s_or_b32 s2, vcc_lo, s1
	s_delay_alu instid0(SALU_CYCLE_1)
	s_and_saveexec_b32 s1, s2
	s_cbranch_execz .LBB99_185
; %bb.180:                              ;   in Loop: Header=BB99_173 Depth=1
	s_mov_b32 s2, exec_lo
                                        ; implicit-def: $vgpr32_vgpr33
	v_cmpx_ngt_f64_e32 0, v[30:31]
	s_xor_b32 s2, exec_lo, s2
; %bb.181:                              ;   in Loop: Header=BB99_173 Depth=1
	v_add_f64 v[28:29], v[22:23], -v[20:21]
	s_delay_alu instid0(VALU_DEP_1)
	v_mul_f64 v[32:33], v[28:29], 0.5
; %bb.182:                              ;   in Loop: Header=BB99_173 Depth=1
	s_and_not1_saveexec_b32 s2, s2
; %bb.183:                              ;   in Loop: Header=BB99_173 Depth=1
	v_add_f64 v[28:29], v[24:25], -v[20:21]
	s_delay_alu instid0(VALU_DEP_1)
	v_mul_f64 v[32:33], v[28:29], 0.5
; %bb.184:                              ;   in Loop: Header=BB99_173 Depth=1
	s_or_b32 exec_lo, exec_lo, s2
.LBB99_185:                             ;   in Loop: Header=BB99_173 Depth=1
	s_delay_alu instid0(SALU_CYCLE_1) | instskip(SKIP_2) | instid1(VALU_DEP_1)
	s_or_b32 exec_lo, exec_lo, s1
	v_mov_b32_e32 v28, 0
	v_mov_b32_e32 v29, 0
	v_dual_mov_b32 v31, v29 :: v_dual_mov_b32 v30, v28
	v_dual_mov_b32 v35, v29 :: v_dual_mov_b32 v34, v28
	s_and_saveexec_b32 s2, s0
	s_cbranch_execz .LBB99_172
; %bb.186:                              ;   in Loop: Header=BB99_173 Depth=1
	v_dual_mov_b32 v28, 0 :: v_dual_mov_b32 v27, v13
	v_dual_mov_b32 v29, 0 :: v_dual_mov_b32 v26, v12
	;; [unrolled: 1-line block ×3, first 2 shown]
	v_mov_b32_e32 v3, v0
	s_delay_alu instid0(VALU_DEP_3)
	v_dual_mov_b32 v31, v29 :: v_dual_mov_b32 v30, v28
	v_dual_mov_b32 v35, v29 :: v_dual_mov_b32 v34, v28
	s_mov_b32 s8, 0
	s_set_inst_prefetch_distance 0x1
	.p2align	6
.LBB99_187:                             ;   Parent Loop BB99_173 Depth=1
                                        ; =>  This Inner Loop Header: Depth=2
	global_load_b64 v[38:39], v[36:37], off
	v_add_nc_u32_e32 v3, -1, v3
	s_waitcnt vmcnt(0)
	v_add_f64 v[38:39], v[38:39], -v[32:33]
	global_store_b64 v[36:37], v[38:39], off
	global_load_b64 v[40:41], v[26:27], off
	v_add_co_u32 v36, s1, v36, 8
	s_delay_alu instid0(VALU_DEP_1) | instskip(SKIP_1) | instid1(VALU_DEP_1)
	v_add_co_ci_u32_e64 v37, s1, 0, v37, s1
	v_add_co_u32 v26, s1, v26, 8
	v_add_co_ci_u32_e64 v27, s1, 0, v27, s1
	s_waitcnt vmcnt(0)
	v_div_scale_f64 v[42:43], null, v[38:39], v[38:39], v[40:41]
	v_div_scale_f64 v[48:49], vcc_lo, v[40:41], v[38:39], v[40:41]
	s_delay_alu instid0(VALU_DEP_2) | instskip(SKIP_2) | instid1(VALU_DEP_1)
	v_rcp_f64_e32 v[44:45], v[42:43]
	s_waitcnt_depctr 0xfff
	v_fma_f64 v[46:47], -v[42:43], v[44:45], 1.0
	v_fma_f64 v[44:45], v[44:45], v[46:47], v[44:45]
	s_delay_alu instid0(VALU_DEP_1) | instskip(NEXT) | instid1(VALU_DEP_1)
	v_fma_f64 v[46:47], -v[42:43], v[44:45], 1.0
	v_fma_f64 v[44:45], v[44:45], v[46:47], v[44:45]
	s_delay_alu instid0(VALU_DEP_1) | instskip(NEXT) | instid1(VALU_DEP_1)
	v_mul_f64 v[46:47], v[48:49], v[44:45]
	v_fma_f64 v[42:43], -v[42:43], v[46:47], v[48:49]
	s_delay_alu instid0(VALU_DEP_1) | instskip(SKIP_2) | instid1(VALU_DEP_2)
	v_div_fmas_f64 v[42:43], v[42:43], v[44:45], v[46:47]
	v_cmp_eq_u32_e32 vcc_lo, 0, v3
	s_or_b32 s8, vcc_lo, s8
	v_div_fixup_f64 v[38:39], v[42:43], v[38:39], v[40:41]
	s_delay_alu instid0(VALU_DEP_1) | instskip(SKIP_1) | instid1(VALU_DEP_2)
	v_fma_f64 v[34:35], v[40:41], v[38:39], v[34:35]
	v_fma_f64 v[28:29], v[38:39], v[38:39], v[28:29]
	v_add_f64 v[30:31], v[30:31], v[34:35]
	s_and_not1_b32 exec_lo, exec_lo, s8
	s_cbranch_execnz .LBB99_187
; %bb.188:                              ;   in Loop: Header=BB99_173 Depth=1
	s_set_inst_prefetch_distance 0x2
	s_or_b32 exec_lo, exec_lo, s8
	global_load_b64 v[26:27], v[10:11], off
	s_branch .LBB99_172
.LBB99_189:
	s_or_b32 exec_lo, exec_lo, s6
.LBB99_190:
	s_delay_alu instid0(SALU_CYCLE_1)
	s_or_b32 exec_lo, exec_lo, s5
.LBB99_191:
	s_delay_alu instid0(SALU_CYCLE_1)
	s_or_b32 exec_lo, exec_lo, s3
	v_add_f64 v[1:2], v[16:17], v[20:21]
.LBB99_192:
	s_or_b32 exec_lo, exec_lo, s4
	s_waitcnt vmcnt(1)
	v_cmp_gt_f64_e32 vcc_lo, 0, v[6:7]
	v_add_co_u32 v3, s0, s20, v4
	s_delay_alu instid0(VALU_DEP_1)
	v_add_co_ci_u32_e64 v4, s0, s21, v5, s0
	global_store_b64 v[3:4], v[1:2], off
	s_and_b32 exec_lo, exec_lo, vcc_lo
	s_cbranch_execz .LBB99_194
; %bb.193:
	v_xor_b32_e32 v2, 0x80000000, v2
	global_store_b64 v[3:4], v[1:2], off
.LBB99_194:
	s_nop 0
	s_sendmsg sendmsg(MSG_DEALLOC_VGPRS)
	s_endpgm
	.section	.rodata,"a",@progbits
	.p2align	6, 0x0
	.amdhsa_kernel _ZN9rocsolver6v33100L30stedc_mergeValues_Solve_kernelIdEEviiPT_lS3_lS3_S3_PiS2_S2_S2_
		.amdhsa_group_segment_fixed_size 0
		.amdhsa_private_segment_fixed_size 0
		.amdhsa_kernarg_size 344
		.amdhsa_user_sgpr_count 14
		.amdhsa_user_sgpr_dispatch_ptr 0
		.amdhsa_user_sgpr_queue_ptr 0
		.amdhsa_user_sgpr_kernarg_segment_ptr 1
		.amdhsa_user_sgpr_dispatch_id 0
		.amdhsa_user_sgpr_private_segment_size 0
		.amdhsa_wavefront_size32 1
		.amdhsa_uses_dynamic_stack 0
		.amdhsa_enable_private_segment 0
		.amdhsa_system_sgpr_workgroup_id_x 1
		.amdhsa_system_sgpr_workgroup_id_y 1
		.amdhsa_system_sgpr_workgroup_id_z 0
		.amdhsa_system_sgpr_workgroup_info 0
		.amdhsa_system_vgpr_workitem_id 0
		.amdhsa_next_free_vgpr 76
		.amdhsa_next_free_sgpr 27
		.amdhsa_reserve_vcc 1
		.amdhsa_float_round_mode_32 0
		.amdhsa_float_round_mode_16_64 0
		.amdhsa_float_denorm_mode_32 3
		.amdhsa_float_denorm_mode_16_64 3
		.amdhsa_dx10_clamp 1
		.amdhsa_ieee_mode 1
		.amdhsa_fp16_overflow 0
		.amdhsa_workgroup_processor_mode 1
		.amdhsa_memory_ordered 1
		.amdhsa_forward_progress 0
		.amdhsa_shared_vgpr_count 0
		.amdhsa_exception_fp_ieee_invalid_op 0
		.amdhsa_exception_fp_denorm_src 0
		.amdhsa_exception_fp_ieee_div_zero 0
		.amdhsa_exception_fp_ieee_overflow 0
		.amdhsa_exception_fp_ieee_underflow 0
		.amdhsa_exception_fp_ieee_inexact 0
		.amdhsa_exception_int_div_zero 0
	.end_amdhsa_kernel
	.section	.text._ZN9rocsolver6v33100L30stedc_mergeValues_Solve_kernelIdEEviiPT_lS3_lS3_S3_PiS2_S2_S2_,"axG",@progbits,_ZN9rocsolver6v33100L30stedc_mergeValues_Solve_kernelIdEEviiPT_lS3_lS3_S3_PiS2_S2_S2_,comdat
.Lfunc_end99:
	.size	_ZN9rocsolver6v33100L30stedc_mergeValues_Solve_kernelIdEEviiPT_lS3_lS3_S3_PiS2_S2_S2_, .Lfunc_end99-_ZN9rocsolver6v33100L30stedc_mergeValues_Solve_kernelIdEEviiPT_lS3_lS3_S3_PiS2_S2_S2_
                                        ; -- End function
	.section	.AMDGPU.csdata,"",@progbits
; Kernel info:
; codeLenInByte = 15904
; NumSgprs: 29
; NumVgprs: 76
; ScratchSize: 0
; MemoryBound: 1
; FloatMode: 240
; IeeeMode: 1
; LDSByteSize: 0 bytes/workgroup (compile time only)
; SGPRBlocks: 3
; VGPRBlocks: 9
; NumSGPRsForWavesPerEU: 29
; NumVGPRsForWavesPerEU: 76
; Occupancy: 16
; WaveLimiterHint : 1
; COMPUTE_PGM_RSRC2:SCRATCH_EN: 0
; COMPUTE_PGM_RSRC2:USER_SGPR: 14
; COMPUTE_PGM_RSRC2:TRAP_HANDLER: 0
; COMPUTE_PGM_RSRC2:TGID_X_EN: 1
; COMPUTE_PGM_RSRC2:TGID_Y_EN: 1
; COMPUTE_PGM_RSRC2:TGID_Z_EN: 0
; COMPUTE_PGM_RSRC2:TIDIG_COMP_CNT: 0
	.section	.text._ZN9rocsolver6v33100L32stedc_mergeValues_Rescale_kernelIdEEviiPT_lS3_lS3_S3_PiS2_S2_S2_,"axG",@progbits,_ZN9rocsolver6v33100L32stedc_mergeValues_Rescale_kernelIdEEviiPT_lS3_lS3_S3_PiS2_S2_S2_,comdat
	.globl	_ZN9rocsolver6v33100L32stedc_mergeValues_Rescale_kernelIdEEviiPT_lS3_lS3_S3_PiS2_S2_S2_ ; -- Begin function _ZN9rocsolver6v33100L32stedc_mergeValues_Rescale_kernelIdEEviiPT_lS3_lS3_S3_PiS2_S2_S2_
	.p2align	8
	.type	_ZN9rocsolver6v33100L32stedc_mergeValues_Rescale_kernelIdEEviiPT_lS3_lS3_S3_PiS2_S2_S2_,@function
_ZN9rocsolver6v33100L32stedc_mergeValues_Rescale_kernelIdEEviiPT_lS3_lS3_S3_PiS2_S2_S2_: ; @_ZN9rocsolver6v33100L32stedc_mergeValues_Rescale_kernelIdEEviiPT_lS3_lS3_S3_PiS2_S2_S2_
; %bb.0:
	s_clause 0x1
	s_load_b32 s8, s[0:1], 0x4
	s_load_b64 s[4:5], s[0:1], 0x38
	s_mov_b32 s2, s15
	s_waitcnt lgkmcnt(0)
	s_mul_i32 s12, s15, s8
	s_ashr_i32 s9, s8, 31
	s_mul_i32 s6, s12, 13
	s_mul_i32 s10, s8, 6
	s_ashr_i32 s7, s6, 31
	s_delay_alu instid0(SALU_CYCLE_1) | instskip(NEXT) | instid1(SALU_CYCLE_1)
	s_lshl_b64 s[6:7], s[6:7], 2
	s_add_u32 s3, s4, s6
	s_addc_u32 s6, s5, s7
	s_ashr_i32 s11, s10, 31
	s_delay_alu instid0(SALU_CYCLE_1) | instskip(NEXT) | instid1(SALU_CYCLE_1)
	s_lshl_b64 s[4:5], s[10:11], 2
	s_add_u32 s3, s3, s4
	s_addc_u32 s10, s6, s5
	s_ashr_i32 s15, s14, 31
	s_lshl_b64 s[6:7], s[8:9], 2
	s_lshl_b64 s[4:5], s[14:15], 2
	s_delay_alu instid0(SALU_CYCLE_1)
	s_add_u32 s4, s3, s4
	s_addc_u32 s5, s10, s5
	s_add_u32 s6, s4, s6
	s_addc_u32 s7, s5, s7
	s_clause 0x1
	s_load_b32 s9, s[4:5], 0x0
	s_load_b32 s13, s[6:7], 0x0
	s_waitcnt lgkmcnt(0)
	s_sub_i32 s3, s14, s9
	s_delay_alu instid0(SALU_CYCLE_1)
	s_cmp_ge_i32 s3, s13
	s_cbranch_scc1 .LBB100_17
; %bb.1:
	s_load_b128 s[4:7], s[0:1], 0x28
	s_mov_b32 s16, exec_lo
                                        ; implicit-def: $sgpr10_sgpr11
                                        ; implicit-def: $sgpr3
	v_cmpx_le_i32_e64 s13, v0
	s_xor_b32 s16, exec_lo, s16
	s_cbranch_execz .LBB100_3
; %bb.2:
	s_load_b32 s3, s[0:1], 0x64
	s_mov_b64 s[10:11], 1.0
.LBB100_3:
	s_or_saveexec_b32 s16, s16
	v_dual_mov_b32 v1, s10 :: v_dual_mov_b32 v2, s11
	s_waitcnt lgkmcnt(0)
	v_mov_b32_e32 v4, s3
	s_xor_b32 exec_lo, exec_lo, s16
	s_cbranch_execz .LBB100_9
; %bb.4:
	s_clause 0x1
	s_load_b128 s[20:23], s[0:1], 0x8
	s_load_b32 s10, s[0:1], 0x64
	s_ashr_i32 s3, s2, 31
	s_mul_i32 s18, s12, s8
	v_add_nc_u32_e32 v5, s9, v0
	v_dual_mov_b32 v1, 0 :: v_dual_mov_b32 v6, v0
	v_mov_b32_e32 v2, 0x3ff00000
	s_delay_alu instid0(VALU_DEP_3) | instskip(NEXT) | instid1(VALU_DEP_1)
	v_mad_u64_u32 v[3:4], null, s8, v5, s[14:15]
	v_subrev_nc_u32_e32 v3, s9, v3
	s_waitcnt lgkmcnt(0)
	s_mul_i32 s0, s2, s23
	s_mul_hi_u32 s1, s2, s22
	s_mul_i32 s3, s3, s22
	s_add_i32 s0, s1, s0
	s_mul_i32 s2, s2, s22
	s_add_i32 s3, s0, s3
	s_mul_i32 s0, s8, s8
	s_lshl_b64 s[2:3], s[2:3], 3
	s_mov_b32 s1, 0
	s_add_u32 s11, s20, s2
	s_addc_u32 s17, s21, s3
	s_lshl_b32 s2, s18, 1
	s_delay_alu instid0(SALU_CYCLE_1) | instskip(NEXT) | instid1(SALU_CYCLE_1)
	s_ashr_i32 s3, s2, 31
	s_lshl_b64 s[2:3], s[2:3], 3
	s_delay_alu instid0(SALU_CYCLE_1) | instskip(SKIP_2) | instid1(SALU_CYCLE_1)
	s_add_u32 s6, s6, s2
	s_addc_u32 s7, s7, s3
	s_lshl_b64 s[2:3], s[0:1], 3
	s_add_u32 s0, s6, s2
	s_addc_u32 s6, s7, s3
	s_lshl_b64 s[2:3], s[14:15], 3
	s_delay_alu instid0(SALU_CYCLE_1)
	s_add_u32 s2, s11, s2
	s_addc_u32 s3, s17, s3
	s_and_b32 s7, s10, 0xffff
	s_sub_i32 s18, s9, s14
	s_mul_i32 s19, s8, s7
	s_branch .LBB100_6
.LBB100_5:                              ;   in Loop: Header=BB100_6 Depth=1
	s_or_b32 exec_lo, exec_lo, s20
	s_waitcnt vmcnt(0)
	s_delay_alu instid0(VALU_DEP_1) | instskip(SKIP_2) | instid1(VALU_DEP_2)
	v_mul_f64 v[1:2], v[1:2], v[4:5]
	v_add_nc_u32_e32 v6, s7, v6
	v_add_nc_u32_e32 v3, s19, v3
	v_cmp_le_i32_e32 vcc_lo, s13, v6
	s_or_b32 s1, vcc_lo, s1
	s_delay_alu instid0(SALU_CYCLE_1)
	s_and_not1_b32 exec_lo, exec_lo, s1
	s_cbranch_execz .LBB100_8
.LBB100_6:                              ; =>This Inner Loop Header: Depth=1
	v_ashrrev_i32_e32 v4, 31, v3
	v_add_nc_u32_e32 v7, s18, v6
	s_mov_b32 s20, exec_lo
	s_delay_alu instid0(VALU_DEP_2) | instskip(NEXT) | instid1(VALU_DEP_1)
	v_lshlrev_b64 v[4:5], 3, v[3:4]
	v_add_co_u32 v4, vcc_lo, s0, v4
	s_delay_alu instid0(VALU_DEP_2)
	v_add_co_ci_u32_e32 v5, vcc_lo, s6, v5, vcc_lo
	global_load_b64 v[4:5], v[4:5], off
	v_cmpx_ne_u32_e32 0, v7
	s_cbranch_execz .LBB100_5
; %bb.7:                                ;   in Loop: Header=BB100_6 Depth=1
	v_add_nc_u32_e32 v7, s9, v6
	s_load_b64 s[22:23], s[2:3], 0x0
	s_delay_alu instid0(VALU_DEP_1) | instskip(NEXT) | instid1(VALU_DEP_1)
	v_ashrrev_i32_e32 v8, 31, v7
	v_lshlrev_b64 v[7:8], 3, v[7:8]
	s_delay_alu instid0(VALU_DEP_1) | instskip(NEXT) | instid1(VALU_DEP_2)
	v_add_co_u32 v7, vcc_lo, s11, v7
	v_add_co_ci_u32_e32 v8, vcc_lo, s17, v8, vcc_lo
	global_load_b64 v[7:8], v[7:8], off
	s_waitcnt vmcnt(0) lgkmcnt(0)
	v_add_f64 v[7:8], s[22:23], -v[7:8]
	s_delay_alu instid0(VALU_DEP_1) | instskip(NEXT) | instid1(VALU_DEP_1)
	v_div_scale_f64 v[9:10], null, v[7:8], v[7:8], v[4:5]
	v_rcp_f64_e32 v[11:12], v[9:10]
	s_waitcnt_depctr 0xfff
	v_fma_f64 v[13:14], -v[9:10], v[11:12], 1.0
	s_delay_alu instid0(VALU_DEP_1) | instskip(NEXT) | instid1(VALU_DEP_1)
	v_fma_f64 v[11:12], v[11:12], v[13:14], v[11:12]
	v_fma_f64 v[13:14], -v[9:10], v[11:12], 1.0
	s_delay_alu instid0(VALU_DEP_1) | instskip(SKIP_1) | instid1(VALU_DEP_1)
	v_fma_f64 v[11:12], v[11:12], v[13:14], v[11:12]
	v_div_scale_f64 v[13:14], vcc_lo, v[4:5], v[7:8], v[4:5]
	v_mul_f64 v[15:16], v[13:14], v[11:12]
	s_delay_alu instid0(VALU_DEP_1) | instskip(NEXT) | instid1(VALU_DEP_1)
	v_fma_f64 v[9:10], -v[9:10], v[15:16], v[13:14]
	v_div_fmas_f64 v[9:10], v[9:10], v[11:12], v[15:16]
	s_delay_alu instid0(VALU_DEP_1)
	v_div_fixup_f64 v[4:5], v[9:10], v[7:8], v[4:5]
	s_branch .LBB100_5
.LBB100_8:
	s_or_b32 exec_lo, exec_lo, s1
	v_mov_b32_e32 v4, s10
.LBB100_9:
	s_or_b32 exec_lo, exec_lo, s16
	v_lshlrev_b32_e32 v3, 3, v0
	s_mov_b32 s0, exec_lo
	ds_store_b64 v3, v[1:2]
	s_waitcnt lgkmcnt(0)
	s_barrier
	buffer_gl0_inv
	v_cmpx_lt_u16_e32 1, v4
	s_cbranch_execz .LBB100_15
; %bb.10:
	v_lshrrev_b16 v4, 1, v4
	s_mov_b32 s1, 0
	s_delay_alu instid0(VALU_DEP_1)
	v_and_b32_e32 v4, 0xffff, v4
	s_branch .LBB100_12
	.p2align	6
.LBB100_11:                             ;   in Loop: Header=BB100_12 Depth=1
	s_or_b32 exec_lo, exec_lo, s2
	v_lshrrev_b32_e32 v5, 1, v4
	v_cmp_gt_u32_e32 vcc_lo, 2, v4
	s_waitcnt lgkmcnt(0)
	s_barrier
	buffer_gl0_inv
	v_mov_b32_e32 v4, v5
	s_or_b32 s1, vcc_lo, s1
	s_delay_alu instid0(SALU_CYCLE_1)
	s_and_not1_b32 exec_lo, exec_lo, s1
	s_cbranch_execz .LBB100_14
.LBB100_12:                             ; =>This Inner Loop Header: Depth=1
	s_mov_b32 s2, exec_lo
	s_delay_alu instid0(VALU_DEP_1)
	v_cmpx_lt_u32_e64 v0, v4
	s_cbranch_execz .LBB100_11
; %bb.13:                               ;   in Loop: Header=BB100_12 Depth=1
	v_lshl_add_u32 v5, v4, 3, v3
	ds_load_b64 v[5:6], v5
	s_waitcnt lgkmcnt(0)
	v_mul_f64 v[1:2], v[1:2], v[5:6]
	ds_store_b64 v3, v[1:2]
	s_branch .LBB100_11
.LBB100_14:
	s_or_b32 exec_lo, exec_lo, s1
.LBB100_15:
	s_delay_alu instid0(SALU_CYCLE_1) | instskip(NEXT) | instid1(SALU_CYCLE_1)
	s_or_b32 exec_lo, exec_lo, s0
	s_mov_b32 s0, exec_lo
	v_cmpx_eq_u32_e32 0, v0
	s_cbranch_execz .LBB100_17
; %bb.16:
	v_cmp_gt_f64_e64 s0, 0x10000000, |v[1:2]|
	s_delay_alu instid0(VALU_DEP_1) | instskip(NEXT) | instid1(VALU_DEP_1)
	v_cndmask_b32_e64 v0, 0, 1, s0
	v_lshlrev_b32_e32 v0, 8, v0
	s_delay_alu instid0(VALU_DEP_1) | instskip(NEXT) | instid1(VALU_DEP_1)
	v_ldexp_f64 v[0:1], |v[1:2]|, v0
	v_rsq_f64_e32 v[2:3], v[0:1]
	v_cmp_class_f64_e64 vcc_lo, v[0:1], 0x260
	s_waitcnt_depctr 0xfff
	v_mul_f64 v[4:5], v[0:1], v[2:3]
	v_mul_f64 v[2:3], v[2:3], 0.5
	s_delay_alu instid0(VALU_DEP_1) | instskip(NEXT) | instid1(VALU_DEP_1)
	v_fma_f64 v[6:7], -v[2:3], v[4:5], 0.5
	v_fma_f64 v[4:5], v[4:5], v[6:7], v[4:5]
	v_fma_f64 v[2:3], v[2:3], v[6:7], v[2:3]
	s_delay_alu instid0(VALU_DEP_2) | instskip(NEXT) | instid1(VALU_DEP_1)
	v_fma_f64 v[6:7], -v[4:5], v[4:5], v[0:1]
	v_fma_f64 v[4:5], v[6:7], v[2:3], v[4:5]
	s_delay_alu instid0(VALU_DEP_1) | instskip(NEXT) | instid1(VALU_DEP_1)
	v_fma_f64 v[6:7], -v[4:5], v[4:5], v[0:1]
	v_fma_f64 v[2:3], v[6:7], v[2:3], v[4:5]
	v_cndmask_b32_e64 v4, 0, 0xffffff80, s0
	s_mul_i32 s0, s12, 10
	s_delay_alu instid0(SALU_CYCLE_1) | instskip(NEXT) | instid1(SALU_CYCLE_1)
	s_ashr_i32 s1, s0, 31
	s_lshl_b64 s[0:1], s[0:1], 3
	s_delay_alu instid0(SALU_CYCLE_1) | instskip(SKIP_2) | instid1(SALU_CYCLE_1)
	s_add_u32 s2, s4, s0
	s_addc_u32 s3, s5, s1
	s_lshl_b32 s0, s8, 3
	s_ashr_i32 s1, s0, 31
	s_delay_alu instid0(SALU_CYCLE_1) | instskip(NEXT) | instid1(SALU_CYCLE_1)
	s_lshl_b64 s[0:1], s[0:1], 3
	s_add_u32 s2, s2, s0
	s_addc_u32 s3, s3, s1
	s_lshl_b64 s[0:1], s[14:15], 3
	s_delay_alu instid0(SALU_CYCLE_1) | instskip(SKIP_2) | instid1(VALU_DEP_2)
	s_add_u32 s0, s2, s0
	s_addc_u32 s1, s3, s1
	s_load_b64 s[2:3], s[0:1], 0x0
	v_ldexp_f64 v[2:3], v[2:3], v4
	s_delay_alu instid0(VALU_DEP_1) | instskip(SKIP_3) | instid1(VALU_DEP_3)
	v_dual_cndmask_b32 v1, v3, v1 :: v_dual_cndmask_b32 v0, v2, v0
	v_mov_b32_e32 v3, 0
	s_waitcnt lgkmcnt(0)
	v_cmp_lt_f64_e64 vcc_lo, s[2:3], 0
	v_xor_b32_e32 v2, 0x80000000, v1
	s_delay_alu instid0(VALU_DEP_1)
	v_cndmask_b32_e32 v1, v1, v2, vcc_lo
	global_store_b64 v3, v[0:1], s[0:1]
.LBB100_17:
	s_nop 0
	s_sendmsg sendmsg(MSG_DEALLOC_VGPRS)
	s_endpgm
	.section	.rodata,"a",@progbits
	.p2align	6, 0x0
	.amdhsa_kernel _ZN9rocsolver6v33100L32stedc_mergeValues_Rescale_kernelIdEEviiPT_lS3_lS3_S3_PiS2_S2_S2_
		.amdhsa_group_segment_fixed_size 4096
		.amdhsa_private_segment_fixed_size 0
		.amdhsa_kernarg_size 344
		.amdhsa_user_sgpr_count 14
		.amdhsa_user_sgpr_dispatch_ptr 0
		.amdhsa_user_sgpr_queue_ptr 0
		.amdhsa_user_sgpr_kernarg_segment_ptr 1
		.amdhsa_user_sgpr_dispatch_id 0
		.amdhsa_user_sgpr_private_segment_size 0
		.amdhsa_wavefront_size32 1
		.amdhsa_uses_dynamic_stack 0
		.amdhsa_enable_private_segment 0
		.amdhsa_system_sgpr_workgroup_id_x 1
		.amdhsa_system_sgpr_workgroup_id_y 1
		.amdhsa_system_sgpr_workgroup_id_z 0
		.amdhsa_system_sgpr_workgroup_info 0
		.amdhsa_system_vgpr_workitem_id 0
		.amdhsa_next_free_vgpr 17
		.amdhsa_next_free_sgpr 24
		.amdhsa_reserve_vcc 1
		.amdhsa_float_round_mode_32 0
		.amdhsa_float_round_mode_16_64 0
		.amdhsa_float_denorm_mode_32 3
		.amdhsa_float_denorm_mode_16_64 3
		.amdhsa_dx10_clamp 1
		.amdhsa_ieee_mode 1
		.amdhsa_fp16_overflow 0
		.amdhsa_workgroup_processor_mode 1
		.amdhsa_memory_ordered 1
		.amdhsa_forward_progress 0
		.amdhsa_shared_vgpr_count 0
		.amdhsa_exception_fp_ieee_invalid_op 0
		.amdhsa_exception_fp_denorm_src 0
		.amdhsa_exception_fp_ieee_div_zero 0
		.amdhsa_exception_fp_ieee_overflow 0
		.amdhsa_exception_fp_ieee_underflow 0
		.amdhsa_exception_fp_ieee_inexact 0
		.amdhsa_exception_int_div_zero 0
	.end_amdhsa_kernel
	.section	.text._ZN9rocsolver6v33100L32stedc_mergeValues_Rescale_kernelIdEEviiPT_lS3_lS3_S3_PiS2_S2_S2_,"axG",@progbits,_ZN9rocsolver6v33100L32stedc_mergeValues_Rescale_kernelIdEEviiPT_lS3_lS3_S3_PiS2_S2_S2_,comdat
.Lfunc_end100:
	.size	_ZN9rocsolver6v33100L32stedc_mergeValues_Rescale_kernelIdEEviiPT_lS3_lS3_S3_PiS2_S2_S2_, .Lfunc_end100-_ZN9rocsolver6v33100L32stedc_mergeValues_Rescale_kernelIdEEviiPT_lS3_lS3_S3_PiS2_S2_S2_
                                        ; -- End function
	.section	.AMDGPU.csdata,"",@progbits
; Kernel info:
; codeLenInByte = 1208
; NumSgprs: 26
; NumVgprs: 17
; ScratchSize: 0
; MemoryBound: 0
; FloatMode: 240
; IeeeMode: 1
; LDSByteSize: 4096 bytes/workgroup (compile time only)
; SGPRBlocks: 3
; VGPRBlocks: 2
; NumSGPRsForWavesPerEU: 26
; NumVGPRsForWavesPerEU: 17
; Occupancy: 16
; WaveLimiterHint : 1
; COMPUTE_PGM_RSRC2:SCRATCH_EN: 0
; COMPUTE_PGM_RSRC2:USER_SGPR: 14
; COMPUTE_PGM_RSRC2:TRAP_HANDLER: 0
; COMPUTE_PGM_RSRC2:TGID_X_EN: 1
; COMPUTE_PGM_RSRC2:TGID_Y_EN: 1
; COMPUTE_PGM_RSRC2:TGID_Z_EN: 0
; COMPUTE_PGM_RSRC2:TIDIG_COMP_CNT: 0
	.section	.text._ZN9rocsolver6v33100L25stedc_mergeVectors_kernelILb1EdEEviiPT0_iilS3_S3_Pi,"axG",@progbits,_ZN9rocsolver6v33100L25stedc_mergeVectors_kernelILb1EdEEviiPT0_iilS3_S3_Pi,comdat
	.globl	_ZN9rocsolver6v33100L25stedc_mergeVectors_kernelILb1EdEEviiPT0_iilS3_S3_Pi ; -- Begin function _ZN9rocsolver6v33100L25stedc_mergeVectors_kernelILb1EdEEviiPT0_iilS3_S3_Pi
	.p2align	8
	.type	_ZN9rocsolver6v33100L25stedc_mergeVectors_kernelILb1EdEEviiPT0_iilS3_S3_Pi,@function
_ZN9rocsolver6v33100L25stedc_mergeVectors_kernelILb1EdEEviiPT0_iilS3_S3_Pi: ; @_ZN9rocsolver6v33100L25stedc_mergeVectors_kernelILb1EdEEviiPT0_iilS3_S3_Pi
; %bb.0:
	s_clause 0x3
	s_load_b32 s4, s[0:1], 0x4
	s_load_b32 s11, s[0:1], 0x44
	s_load_b64 s[6:7], s[0:1], 0x30
	s_load_b128 s[0:3], s[0:1], 0x20
	s_waitcnt lgkmcnt(0)
	s_mul_i32 s10, s15, s4
	s_ashr_i32 s5, s4, 31
	s_mul_i32 s8, s10, 13
	s_and_b32 s12, s11, 0xffff
	s_ashr_i32 s9, s8, 31
	s_mul_i32 s16, s4, 5
	s_lshl_b64 s[8:9], s[8:9], 2
	s_mul_i32 s11, s10, s4
	s_add_u32 s8, s6, s8
	s_addc_u32 s9, s7, s9
	s_ashr_i32 s17, s16, 31
	s_delay_alu instid0(SALU_CYCLE_1) | instskip(NEXT) | instid1(SALU_CYCLE_1)
	s_lshl_b64 s[6:7], s[16:17], 2
	s_add_u32 s13, s8, s6
	s_addc_u32 s18, s9, s7
	s_ashr_i32 s15, s14, 31
	s_lshl_b32 s6, s11, 1
	s_lshl_b64 s[16:17], s[14:15], 2
	s_lshl_b64 s[8:9], s[4:5], 2
	s_ashr_i32 s7, s6, 31
	s_add_u32 s16, s13, s16
	s_addc_u32 s17, s18, s17
	s_add_u32 s18, s16, s8
	s_addc_u32 s19, s17, s9
	;; [unrolled: 2-line block ×3, first 2 shown]
	s_clause 0x2
	s_load_b32 s5, s[18:19], 0x0
	s_load_b32 s13, s[8:9], 0x0
	;; [unrolled: 1-line block ×3, first 2 shown]
	s_mul_i32 s8, s4, s4
	s_mov_b32 s9, 0
	s_waitcnt lgkmcnt(0)
	s_barrier
	buffer_gl0_inv
	s_sub_i32 s11, s14, s5
	s_delay_alu instid0(SALU_CYCLE_1) | instskip(SKIP_1) | instid1(SALU_CYCLE_1)
	s_cmp_ge_i32 s11, s13
	s_cselect_b32 s15, -1, 0
	s_and_b32 vcc_lo, exec_lo, s15
	s_cbranch_vccnz .LBB101_10
; %bb.1:
	v_mov_b32_e32 v1, 0
	v_mov_b32_e32 v2, 0
	s_mov_b32 s17, exec_lo
	v_cmpx_gt_i32_e64 s13, v0
	s_cbranch_execz .LBB101_5
; %bb.2:
	v_mad_u64_u32 v[1:2], null, s14, s4, v[0:1]
	s_lshl_b64 s[22:23], s[6:7], 3
	s_mul_i32 s10, s10, 10
	s_lshl_b32 s20, s4, 3
	v_add_nc_u32_e32 v7, s5, v0
	s_lshl_b64 s[18:19], s[8:9], 3
	s_ashr_i32 s11, s10, 31
	s_delay_alu instid0(VALU_DEP_2)
	v_ashrrev_i32_e32 v2, 31, v1
	s_ashr_i32 s21, s20, 31
	s_add_u32 s24, s2, s18
	s_addc_u32 s19, s3, s19
	v_ashrrev_i32_e32 v8, 31, v7
	v_lshlrev_b64 v[1:2], 3, v[1:2]
	s_lshl_b64 s[10:11], s[10:11], 3
	s_lshl_b64 s[20:21], s[20:21], 3
	s_lshl_b32 s18, s12, 3
	s_add_u32 s10, s10, s20
	s_addc_u32 s11, s11, s21
	v_add_co_u32 v1, vcc_lo, s22, v1
	v_add_co_ci_u32_e32 v2, vcc_lo, s23, v2, vcc_lo
	s_add_u32 s0, s0, s10
	s_delay_alu instid0(VALU_DEP_2) | instskip(NEXT) | instid1(VALU_DEP_2)
	v_add_co_u32 v3, vcc_lo, s24, v1
	v_add_co_ci_u32_e32 v4, vcc_lo, s19, v2, vcc_lo
	v_add_co_u32 v5, vcc_lo, s2, v1
	v_add_co_ci_u32_e32 v6, vcc_lo, s3, v2, vcc_lo
	v_lshlrev_b64 v[1:2], 3, v[7:8]
	s_addc_u32 s1, s1, s11
	v_mov_b32_e32 v9, v0
	s_mov_b64 s[10:11], 0
	s_delay_alu instid0(VALU_DEP_2) | instskip(NEXT) | instid1(VALU_DEP_3)
	v_add_co_u32 v7, vcc_lo, s0, v1
	v_add_co_ci_u32_e32 v8, vcc_lo, s1, v2, vcc_lo
	v_mov_b32_e32 v1, 0
	v_mov_b32_e32 v2, 0
	s_mov_b32 s1, 0
	s_set_inst_prefetch_distance 0x1
	.p2align	6
.LBB101_3:                              ; =>This Inner Loop Header: Depth=1
	v_add_co_u32 v10, vcc_lo, v7, s10
	v_add_co_ci_u32_e32 v11, vcc_lo, s11, v8, vcc_lo
	v_add_co_u32 v12, vcc_lo, v3, s10
	v_add_co_ci_u32_e32 v13, vcc_lo, s11, v4, vcc_lo
	v_add_nc_u32_e32 v9, s12, v9
	global_load_b64 v[10:11], v[10:11], off
	global_load_b64 v[12:13], v[12:13], off
	v_cmp_le_i32_e64 s0, s13, v9
	s_waitcnt vmcnt(0)
	v_div_scale_f64 v[14:15], null, v[12:13], v[12:13], v[10:11]
	v_div_scale_f64 v[20:21], vcc_lo, v[10:11], v[12:13], v[10:11]
	s_delay_alu instid0(VALU_DEP_2) | instskip(SKIP_2) | instid1(VALU_DEP_1)
	v_rcp_f64_e32 v[16:17], v[14:15]
	s_waitcnt_depctr 0xfff
	v_fma_f64 v[18:19], -v[14:15], v[16:17], 1.0
	v_fma_f64 v[16:17], v[16:17], v[18:19], v[16:17]
	s_delay_alu instid0(VALU_DEP_1) | instskip(NEXT) | instid1(VALU_DEP_1)
	v_fma_f64 v[18:19], -v[14:15], v[16:17], 1.0
	v_fma_f64 v[16:17], v[16:17], v[18:19], v[16:17]
	s_delay_alu instid0(VALU_DEP_1) | instskip(NEXT) | instid1(VALU_DEP_1)
	v_mul_f64 v[18:19], v[20:21], v[16:17]
	v_fma_f64 v[14:15], -v[14:15], v[18:19], v[20:21]
	s_delay_alu instid0(VALU_DEP_1) | instskip(NEXT) | instid1(VALU_DEP_1)
	v_div_fmas_f64 v[14:15], v[14:15], v[16:17], v[18:19]
	v_div_fixup_f64 v[10:11], v[14:15], v[12:13], v[10:11]
	v_add_co_u32 v12, vcc_lo, v5, s10
	v_add_co_ci_u32_e32 v13, vcc_lo, s11, v6, vcc_lo
	s_add_u32 s10, s10, s18
	s_addc_u32 s11, s11, 0
	s_or_b32 s1, s0, s1
	s_delay_alu instid0(VALU_DEP_3)
	v_fma_f64 v[1:2], v[10:11], v[10:11], v[1:2]
	global_store_b64 v[12:13], v[10:11], off
	s_and_not1_b32 exec_lo, exec_lo, s1
	s_cbranch_execnz .LBB101_3
; %bb.4:
	s_set_inst_prefetch_distance 0x2
	s_or_b32 exec_lo, exec_lo, s1
.LBB101_5:
	s_delay_alu instid0(SALU_CYCLE_1)
	s_or_b32 exec_lo, exec_lo, s17
	v_lshlrev_b32_e32 v3, 3, v0
	s_cmp_lt_u32 s12, 2
	ds_store_b64 v3, v[1:2]
	s_cbranch_scc1 .LBB101_11
; %bb.6:
	s_mov_b32 s0, s12
	s_branch .LBB101_8
	.p2align	6
.LBB101_7:                              ;   in Loop: Header=BB101_8 Depth=1
	s_or_b32 exec_lo, exec_lo, s10
	s_cmp_lt_u32 s0, 4
	s_mov_b32 s0, s1
	s_cbranch_scc1 .LBB101_11
.LBB101_8:                              ; =>This Inner Loop Header: Depth=1
	s_lshr_b32 s1, s0, 1
	s_mov_b32 s10, exec_lo
	s_waitcnt lgkmcnt(0)
	s_waitcnt_vscnt null, 0x0
	s_barrier
	buffer_gl0_inv
	v_cmpx_gt_u32_e64 s1, v0
	s_cbranch_execz .LBB101_7
; %bb.9:                                ;   in Loop: Header=BB101_8 Depth=1
	v_lshl_add_u32 v4, s1, 3, v3
	ds_load_b64 v[4:5], v4
	s_waitcnt lgkmcnt(0)
	v_add_f64 v[1:2], v[1:2], v[4:5]
	ds_store_b64 v3, v[1:2]
	s_branch .LBB101_7
.LBB101_10:
                                        ; implicit-def: $vgpr1_vgpr2
	s_add_i32 s16, s16, s5
	s_mov_b32 s0, exec_lo
	v_cmpx_gt_i32_e64 s16, v0
	s_cbranch_execnz .LBB101_12
	s_branch .LBB101_18
.LBB101_11:
	v_mov_b32_e32 v1, 0
	s_waitcnt lgkmcnt(0)
	s_waitcnt_vscnt null, 0x0
	s_barrier
	buffer_gl0_inv
	ds_load_b64 v[1:2], v1
	s_waitcnt lgkmcnt(0)
	v_cmp_gt_f64_e32 vcc_lo, 0x10000000, v[1:2]
	v_cndmask_b32_e64 v3, 0, 1, vcc_lo
	s_and_b32 s0, vcc_lo, exec_lo
	s_cselect_b32 s0, 0xffffff80, 0
	s_delay_alu instid0(VALU_DEP_1) | instskip(NEXT) | instid1(VALU_DEP_1)
	v_lshlrev_b32_e32 v3, 8, v3
	v_ldexp_f64 v[1:2], v[1:2], v3
	s_delay_alu instid0(VALU_DEP_1) | instskip(SKIP_4) | instid1(VALU_DEP_1)
	v_rsq_f64_e32 v[3:4], v[1:2]
	v_cmp_class_f64_e64 vcc_lo, v[1:2], 0x260
	s_waitcnt_depctr 0xfff
	v_mul_f64 v[5:6], v[1:2], v[3:4]
	v_mul_f64 v[3:4], v[3:4], 0.5
	v_fma_f64 v[7:8], -v[3:4], v[5:6], 0.5
	s_delay_alu instid0(VALU_DEP_1) | instskip(SKIP_1) | instid1(VALU_DEP_2)
	v_fma_f64 v[5:6], v[5:6], v[7:8], v[5:6]
	v_fma_f64 v[3:4], v[3:4], v[7:8], v[3:4]
	v_fma_f64 v[7:8], -v[5:6], v[5:6], v[1:2]
	s_delay_alu instid0(VALU_DEP_1) | instskip(NEXT) | instid1(VALU_DEP_1)
	v_fma_f64 v[5:6], v[7:8], v[3:4], v[5:6]
	v_fma_f64 v[7:8], -v[5:6], v[5:6], v[1:2]
	s_delay_alu instid0(VALU_DEP_1) | instskip(NEXT) | instid1(VALU_DEP_1)
	v_fma_f64 v[3:4], v[7:8], v[3:4], v[5:6]
	v_ldexp_f64 v[3:4], v[3:4], s0
	s_delay_alu instid0(VALU_DEP_1)
	v_dual_cndmask_b32 v2, v4, v2 :: v_dual_cndmask_b32 v1, v3, v1
	s_add_i32 s16, s16, s5
	s_mov_b32 s0, exec_lo
	v_cmpx_gt_i32_e64 s16, v0
	s_cbranch_execz .LBB101_18
.LBB101_12:
	s_lshl_b64 s[6:7], s[6:7], 3
	s_delay_alu instid0(SALU_CYCLE_1)
	s_add_u32 s1, s2, s6
	s_addc_u32 s2, s3, s7
	s_lshl_b64 s[6:7], s[8:9], 3
	s_mul_i32 s3, s14, s4
	s_add_u32 s4, s1, s6
	s_addc_u32 s6, s2, s7
	s_mov_b32 s7, 0
	s_sub_i32 s8, 0, s5
	s_sub_i32 s9, s3, s5
	s_xor_b32 s10, s15, -1
	s_branch .LBB101_15
.LBB101_13:                             ;   in Loop: Header=BB101_15 Depth=1
	s_or_b32 exec_lo, exec_lo, s11
.LBB101_14:                             ;   in Loop: Header=BB101_15 Depth=1
	s_delay_alu instid0(SALU_CYCLE_1) | instskip(SKIP_2) | instid1(VALU_DEP_2)
	s_or_b32 exec_lo, exec_lo, s0
	v_add_nc_u32_e32 v5, s3, v0
	v_add_nc_u32_e32 v0, s12, v0
	v_ashrrev_i32_e32 v6, 31, v5
	s_delay_alu instid0(VALU_DEP_2) | instskip(NEXT) | instid1(VALU_DEP_2)
	v_cmp_le_i32_e32 vcc_lo, s16, v0
	v_lshlrev_b64 v[5:6], 3, v[5:6]
	s_or_b32 s7, vcc_lo, s7
	s_delay_alu instid0(VALU_DEP_1) | instskip(NEXT) | instid1(VALU_DEP_1)
	v_add_co_u32 v5, s0, s4, v5
	v_add_co_ci_u32_e64 v6, s0, s6, v6, s0
	global_store_b64 v[5:6], v[3:4], off
	s_and_not1_b32 exec_lo, exec_lo, s7
	s_cbranch_execz .LBB101_18
.LBB101_15:                             ; =>This Inner Loop Header: Depth=1
	v_cmp_le_i32_e32 vcc_lo, s5, v0
	v_mov_b32_e32 v3, 0
	v_mov_b32_e32 v4, 0
	s_and_b32 s11, s10, vcc_lo
	s_delay_alu instid0(SALU_CYCLE_1)
	s_and_saveexec_b32 s0, s11
	s_cbranch_execz .LBB101_14
; %bb.16:                               ;   in Loop: Header=BB101_15 Depth=1
	v_mov_b32_e32 v3, 0
	v_dual_mov_b32 v4, 0 :: v_dual_add_nc_u32 v5, s8, v0
	s_mov_b32 s11, exec_lo
	s_delay_alu instid0(VALU_DEP_1)
	v_cmpx_gt_i32_e64 s13, v5
	s_cbranch_execz .LBB101_13
; %bb.17:                               ;   in Loop: Header=BB101_15 Depth=1
	v_add_nc_u32_e32 v3, s9, v0
	s_delay_alu instid0(VALU_DEP_1) | instskip(NEXT) | instid1(VALU_DEP_1)
	v_ashrrev_i32_e32 v4, 31, v3
	v_lshlrev_b64 v[3:4], 3, v[3:4]
	s_delay_alu instid0(VALU_DEP_1) | instskip(NEXT) | instid1(VALU_DEP_2)
	v_add_co_u32 v3, vcc_lo, s1, v3
	v_add_co_ci_u32_e32 v4, vcc_lo, s2, v4, vcc_lo
	global_load_b64 v[3:4], v[3:4], off
	s_waitcnt vmcnt(0)
	v_div_scale_f64 v[5:6], null, v[1:2], v[1:2], v[3:4]
	s_delay_alu instid0(VALU_DEP_1) | instskip(SKIP_2) | instid1(VALU_DEP_1)
	v_rcp_f64_e32 v[7:8], v[5:6]
	s_waitcnt_depctr 0xfff
	v_fma_f64 v[9:10], -v[5:6], v[7:8], 1.0
	v_fma_f64 v[7:8], v[7:8], v[9:10], v[7:8]
	s_delay_alu instid0(VALU_DEP_1) | instskip(NEXT) | instid1(VALU_DEP_1)
	v_fma_f64 v[9:10], -v[5:6], v[7:8], 1.0
	v_fma_f64 v[7:8], v[7:8], v[9:10], v[7:8]
	v_div_scale_f64 v[9:10], vcc_lo, v[3:4], v[1:2], v[3:4]
	s_delay_alu instid0(VALU_DEP_1) | instskip(NEXT) | instid1(VALU_DEP_1)
	v_mul_f64 v[11:12], v[9:10], v[7:8]
	v_fma_f64 v[5:6], -v[5:6], v[11:12], v[9:10]
	s_delay_alu instid0(VALU_DEP_1) | instskip(NEXT) | instid1(VALU_DEP_1)
	v_div_fmas_f64 v[5:6], v[5:6], v[7:8], v[11:12]
	v_div_fixup_f64 v[3:4], v[5:6], v[1:2], v[3:4]
	s_branch .LBB101_13
.LBB101_18:
	s_nop 0
	s_sendmsg sendmsg(MSG_DEALLOC_VGPRS)
	s_endpgm
	.section	.rodata,"a",@progbits
	.p2align	6, 0x0
	.amdhsa_kernel _ZN9rocsolver6v33100L25stedc_mergeVectors_kernelILb1EdEEviiPT0_iilS3_S3_Pi
		.amdhsa_group_segment_fixed_size 4096
		.amdhsa_private_segment_fixed_size 0
		.amdhsa_kernarg_size 312
		.amdhsa_user_sgpr_count 14
		.amdhsa_user_sgpr_dispatch_ptr 0
		.amdhsa_user_sgpr_queue_ptr 0
		.amdhsa_user_sgpr_kernarg_segment_ptr 1
		.amdhsa_user_sgpr_dispatch_id 0
		.amdhsa_user_sgpr_private_segment_size 0
		.amdhsa_wavefront_size32 1
		.amdhsa_uses_dynamic_stack 0
		.amdhsa_enable_private_segment 0
		.amdhsa_system_sgpr_workgroup_id_x 1
		.amdhsa_system_sgpr_workgroup_id_y 1
		.amdhsa_system_sgpr_workgroup_id_z 0
		.amdhsa_system_sgpr_workgroup_info 0
		.amdhsa_system_vgpr_workitem_id 0
		.amdhsa_next_free_vgpr 22
		.amdhsa_next_free_sgpr 25
		.amdhsa_reserve_vcc 1
		.amdhsa_float_round_mode_32 0
		.amdhsa_float_round_mode_16_64 0
		.amdhsa_float_denorm_mode_32 3
		.amdhsa_float_denorm_mode_16_64 3
		.amdhsa_dx10_clamp 1
		.amdhsa_ieee_mode 1
		.amdhsa_fp16_overflow 0
		.amdhsa_workgroup_processor_mode 1
		.amdhsa_memory_ordered 1
		.amdhsa_forward_progress 0
		.amdhsa_shared_vgpr_count 0
		.amdhsa_exception_fp_ieee_invalid_op 0
		.amdhsa_exception_fp_denorm_src 0
		.amdhsa_exception_fp_ieee_div_zero 0
		.amdhsa_exception_fp_ieee_overflow 0
		.amdhsa_exception_fp_ieee_underflow 0
		.amdhsa_exception_fp_ieee_inexact 0
		.amdhsa_exception_int_div_zero 0
	.end_amdhsa_kernel
	.section	.text._ZN9rocsolver6v33100L25stedc_mergeVectors_kernelILb1EdEEviiPT0_iilS3_S3_Pi,"axG",@progbits,_ZN9rocsolver6v33100L25stedc_mergeVectors_kernelILb1EdEEviiPT0_iilS3_S3_Pi,comdat
.Lfunc_end101:
	.size	_ZN9rocsolver6v33100L25stedc_mergeVectors_kernelILb1EdEEviiPT0_iilS3_S3_Pi, .Lfunc_end101-_ZN9rocsolver6v33100L25stedc_mergeVectors_kernelILb1EdEEviiPT0_iilS3_S3_Pi
                                        ; -- End function
	.section	.AMDGPU.csdata,"",@progbits
; Kernel info:
; codeLenInByte = 1392
; NumSgprs: 27
; NumVgprs: 22
; ScratchSize: 0
; MemoryBound: 0
; FloatMode: 240
; IeeeMode: 1
; LDSByteSize: 4096 bytes/workgroup (compile time only)
; SGPRBlocks: 3
; VGPRBlocks: 2
; NumSGPRsForWavesPerEU: 27
; NumVGPRsForWavesPerEU: 22
; Occupancy: 16
; WaveLimiterHint : 1
; COMPUTE_PGM_RSRC2:SCRATCH_EN: 0
; COMPUTE_PGM_RSRC2:USER_SGPR: 14
; COMPUTE_PGM_RSRC2:TRAP_HANDLER: 0
; COMPUTE_PGM_RSRC2:TGID_X_EN: 1
; COMPUTE_PGM_RSRC2:TGID_Y_EN: 1
; COMPUTE_PGM_RSRC2:TGID_Z_EN: 0
; COMPUTE_PGM_RSRC2:TIDIG_COMP_CNT: 0
	.section	.text._ZN9rocsolver6v33100L24stedc_mergeUpdate_kernelIdEEviiPT_lS3_iilS3_S3_Pi,"axG",@progbits,_ZN9rocsolver6v33100L24stedc_mergeUpdate_kernelIdEEviiPT_lS3_iilS3_S3_Pi,comdat
	.globl	_ZN9rocsolver6v33100L24stedc_mergeUpdate_kernelIdEEviiPT_lS3_iilS3_S3_Pi ; -- Begin function _ZN9rocsolver6v33100L24stedc_mergeUpdate_kernelIdEEviiPT_lS3_iilS3_S3_Pi
	.p2align	8
	.type	_ZN9rocsolver6v33100L24stedc_mergeUpdate_kernelIdEEviiPT_lS3_iilS3_S3_Pi,@function
_ZN9rocsolver6v33100L24stedc_mergeUpdate_kernelIdEEviiPT_lS3_iilS3_S3_Pi: ; @_ZN9rocsolver6v33100L24stedc_mergeUpdate_kernelIdEEviiPT_lS3_iilS3_S3_Pi
; %bb.0:
	s_clause 0x1
	s_load_b32 s12, s[0:1], 0x4
	s_load_b256 s[4:11], s[0:1], 0x28
	s_mov_b32 s2, s15
	s_waitcnt lgkmcnt(0)
	s_mul_i32 s3, s15, s12
	s_mul_i32 s18, s12, 7
	;; [unrolled: 1-line block ×3, first 2 shown]
	s_delay_alu instid0(SALU_CYCLE_1) | instskip(NEXT) | instid1(SALU_CYCLE_1)
	s_ashr_i32 s17, s16, 31
	s_lshl_b64 s[16:17], s[16:17], 2
	s_delay_alu instid0(SALU_CYCLE_1) | instskip(SKIP_2) | instid1(SALU_CYCLE_1)
	s_add_u32 s13, s10, s16
	s_addc_u32 s15, s11, s17
	s_ashr_i32 s19, s18, 31
	s_lshl_b64 s[10:11], s[18:19], 2
	s_delay_alu instid0(SALU_CYCLE_1) | instskip(SKIP_2) | instid1(SALU_CYCLE_1)
	s_add_u32 s22, s13, s10
	s_addc_u32 s23, s15, s11
	s_ashr_i32 s13, s12, 31
	s_lshl_b64 s[20:21], s[12:13], 3
	s_delay_alu instid0(SALU_CYCLE_1) | instskip(SKIP_2) | instid1(SALU_CYCLE_1)
	s_sub_u32 s16, s22, s20
	s_subb_u32 s17, s23, s21
	s_lshl_b64 s[10:11], s[12:13], 2
	s_add_u32 s13, s16, s10
	s_addc_u32 s19, s17, s11
	s_ashr_i32 s15, s14, 31
	s_delay_alu instid0(SALU_CYCLE_1) | instskip(NEXT) | instid1(SALU_CYCLE_1)
	s_lshl_b64 s[10:11], s[14:15], 2
	s_add_u32 s18, s13, s10
	s_addc_u32 s19, s19, s11
	s_add_u32 s24, s22, s10
	s_addc_u32 s25, s23, s11
	s_clause 0x1
	s_load_b32 s22, s[18:19], 0x0
	s_load_b32 s13, s[24:25], 0x0
	s_waitcnt lgkmcnt(0)
	s_sub_i32 s18, s14, s22
	s_delay_alu instid0(SALU_CYCLE_1)
	s_cmp_ge_i32 s18, s13
	s_cbranch_scc1 .LBB102_6
; %bb.1:
	s_ashr_i32 s13, s2, 31
	s_add_u32 s24, s16, s10
	s_addc_u32 s25, s17, s11
	s_clause 0x1
	s_load_b128 s[16:19], s[0:1], 0x8
	s_load_b64 s[10:11], s[0:1], 0x18
	s_load_b32 s23, s[24:25], 0x0
	s_mov_b32 s24, exec_lo
	v_cmpx_eq_u32_e32 0, v0
	s_cbranch_execz .LBB102_3
; %bb.2:
	s_waitcnt lgkmcnt(0)
	s_mul_i32 s19, s2, s19
	s_mul_hi_u32 s25, s2, s18
	s_delay_alu instid0(SALU_CYCLE_1) | instskip(SKIP_3) | instid1(SALU_CYCLE_1)
	s_add_i32 s19, s25, s19
	s_mul_i32 s25, s13, s18
	s_mul_i32 s18, s2, s18
	s_add_i32 s19, s19, s25
	s_lshl_b64 s[18:19], s[18:19], 3
	s_delay_alu instid0(SALU_CYCLE_1)
	s_add_u32 s25, s16, s18
	s_addc_u32 s19, s17, s19
	s_lshl_b64 s[16:17], s[14:15], 3
	s_mul_i32 s18, s3, 10
	s_add_u32 s26, s25, s16
	s_addc_u32 s27, s19, s17
	s_ashr_i32 s19, s18, 31
	s_delay_alu instid0(SALU_CYCLE_1) | instskip(NEXT) | instid1(SALU_CYCLE_1)
	s_lshl_b64 s[18:19], s[18:19], 3
	s_add_u32 s6, s6, s18
	s_addc_u32 s7, s7, s19
	s_add_u32 s6, s6, s20
	s_addc_u32 s7, s7, s21
	;; [unrolled: 2-line block ×3, first 2 shown]
	s_load_b64 s[6:7], s[6:7], 0x0
	v_mov_b32_e32 v3, 0
	s_waitcnt lgkmcnt(0)
	v_dual_mov_b32 v1, s6 :: v_dual_mov_b32 v2, s7
	global_store_b64 v3, v[1:2], s[26:27]
.LBB102_3:
	s_or_b32 exec_lo, exec_lo, s24
	v_add_nc_u32_e32 v0, s22, v0
	s_waitcnt lgkmcnt(0)
	s_add_i32 s6, s23, s22
	s_mov_b32 s7, exec_lo
	s_delay_alu instid0(VALU_DEP_1)
	v_cmpx_gt_i32_e64 s6, v0
	s_cbranch_execz .LBB102_6
; %bb.4:
	s_clause 0x1
	s_load_b64 s[16:17], s[0:1], 0x20
	s_load_b32 s15, s[0:1], 0x54
	s_mul_i32 s5, s2, s5
	s_mul_hi_u32 s7, s2, s4
	s_mul_i32 s13, s13, s4
	s_mul_i32 s4, s2, s4
	s_add_i32 s2, s7, s5
	s_mul_i32 s3, s3, s12
	s_add_i32 s5, s2, s13
	s_delay_alu instid0(SALU_CYCLE_1)
	s_lshl_b64 s[0:1], s[4:5], 3
	s_waitcnt lgkmcnt(0)
	s_ashr_i32 s5, s16, 31
	s_mov_b32 s4, s16
	s_add_u32 s0, s10, s0
	s_addc_u32 s2, s11, s1
	s_lshl_b64 s[4:5], s[4:5], 3
	s_delay_alu instid0(SALU_CYCLE_1) | instskip(SKIP_4) | instid1(SALU_CYCLE_1)
	s_add_u32 s1, s0, s4
	s_addc_u32 s2, s2, s5
	s_lshl_b32 s4, s3, 1
	s_mul_i32 s3, s14, s12
	s_ashr_i32 s5, s4, 31
	s_lshl_b64 s[10:11], s[4:5], 3
	s_mul_i32 s4, s14, s17
	s_add_u32 s5, s8, s10
	s_addc_u32 s7, s9, s11
	s_and_b32 s8, s15, 0xffff
	s_mov_b32 s9, 0
	.p2align	6
.LBB102_5:                              ; =>This Inner Loop Header: Depth=1
	v_add_nc_u32_e32 v1, s3, v0
	v_add_nc_u32_e32 v3, s4, v0
	v_add_nc_u32_e32 v0, s8, v0
	s_delay_alu instid0(VALU_DEP_3) | instskip(NEXT) | instid1(VALU_DEP_3)
	v_ashrrev_i32_e32 v2, 31, v1
	v_ashrrev_i32_e32 v4, 31, v3
	s_delay_alu instid0(VALU_DEP_2) | instskip(NEXT) | instid1(VALU_DEP_2)
	v_lshlrev_b64 v[1:2], 3, v[1:2]
	v_lshlrev_b64 v[3:4], 3, v[3:4]
	s_delay_alu instid0(VALU_DEP_2) | instskip(NEXT) | instid1(VALU_DEP_3)
	v_add_co_u32 v1, vcc_lo, s5, v1
	v_add_co_ci_u32_e32 v2, vcc_lo, s7, v2, vcc_lo
	v_cmp_le_i32_e32 vcc_lo, s6, v0
	s_delay_alu instid0(VALU_DEP_4)
	v_add_co_u32 v3, s0, s1, v3
	global_load_b64 v[1:2], v[1:2], off
	v_add_co_ci_u32_e64 v4, s0, s2, v4, s0
	s_or_b32 s9, vcc_lo, s9
	s_waitcnt vmcnt(0)
	global_store_b64 v[3:4], v[1:2], off
	s_and_not1_b32 exec_lo, exec_lo, s9
	s_cbranch_execnz .LBB102_5
.LBB102_6:
	s_nop 0
	s_sendmsg sendmsg(MSG_DEALLOC_VGPRS)
	s_endpgm
	.section	.rodata,"a",@progbits
	.p2align	6, 0x0
	.amdhsa_kernel _ZN9rocsolver6v33100L24stedc_mergeUpdate_kernelIdEEviiPT_lS3_iilS3_S3_Pi
		.amdhsa_group_segment_fixed_size 0
		.amdhsa_private_segment_fixed_size 0
		.amdhsa_kernarg_size 328
		.amdhsa_user_sgpr_count 14
		.amdhsa_user_sgpr_dispatch_ptr 0
		.amdhsa_user_sgpr_queue_ptr 0
		.amdhsa_user_sgpr_kernarg_segment_ptr 1
		.amdhsa_user_sgpr_dispatch_id 0
		.amdhsa_user_sgpr_private_segment_size 0
		.amdhsa_wavefront_size32 1
		.amdhsa_uses_dynamic_stack 0
		.amdhsa_enable_private_segment 0
		.amdhsa_system_sgpr_workgroup_id_x 1
		.amdhsa_system_sgpr_workgroup_id_y 1
		.amdhsa_system_sgpr_workgroup_id_z 0
		.amdhsa_system_sgpr_workgroup_info 0
		.amdhsa_system_vgpr_workitem_id 0
		.amdhsa_next_free_vgpr 5
		.amdhsa_next_free_sgpr 28
		.amdhsa_reserve_vcc 1
		.amdhsa_float_round_mode_32 0
		.amdhsa_float_round_mode_16_64 0
		.amdhsa_float_denorm_mode_32 3
		.amdhsa_float_denorm_mode_16_64 3
		.amdhsa_dx10_clamp 1
		.amdhsa_ieee_mode 1
		.amdhsa_fp16_overflow 0
		.amdhsa_workgroup_processor_mode 1
		.amdhsa_memory_ordered 1
		.amdhsa_forward_progress 0
		.amdhsa_shared_vgpr_count 0
		.amdhsa_exception_fp_ieee_invalid_op 0
		.amdhsa_exception_fp_denorm_src 0
		.amdhsa_exception_fp_ieee_div_zero 0
		.amdhsa_exception_fp_ieee_overflow 0
		.amdhsa_exception_fp_ieee_underflow 0
		.amdhsa_exception_fp_ieee_inexact 0
		.amdhsa_exception_int_div_zero 0
	.end_amdhsa_kernel
	.section	.text._ZN9rocsolver6v33100L24stedc_mergeUpdate_kernelIdEEviiPT_lS3_iilS3_S3_Pi,"axG",@progbits,_ZN9rocsolver6v33100L24stedc_mergeUpdate_kernelIdEEviiPT_lS3_iilS3_S3_Pi,comdat
.Lfunc_end102:
	.size	_ZN9rocsolver6v33100L24stedc_mergeUpdate_kernelIdEEviiPT_lS3_iilS3_S3_Pi, .Lfunc_end102-_ZN9rocsolver6v33100L24stedc_mergeUpdate_kernelIdEEviiPT_lS3_iilS3_S3_Pi
                                        ; -- End function
	.section	.AMDGPU.csdata,"",@progbits
; Kernel info:
; codeLenInByte = 664
; NumSgprs: 30
; NumVgprs: 5
; ScratchSize: 0
; MemoryBound: 0
; FloatMode: 240
; IeeeMode: 1
; LDSByteSize: 0 bytes/workgroup (compile time only)
; SGPRBlocks: 3
; VGPRBlocks: 0
; NumSGPRsForWavesPerEU: 30
; NumVGPRsForWavesPerEU: 5
; Occupancy: 16
; WaveLimiterHint : 0
; COMPUTE_PGM_RSRC2:SCRATCH_EN: 0
; COMPUTE_PGM_RSRC2:USER_SGPR: 14
; COMPUTE_PGM_RSRC2:TRAP_HANDLER: 0
; COMPUTE_PGM_RSRC2:TGID_X_EN: 1
; COMPUTE_PGM_RSRC2:TGID_Y_EN: 1
; COMPUTE_PGM_RSRC2:TGID_Z_EN: 0
; COMPUTE_PGM_RSRC2:TIDIG_COMP_CNT: 0
	.section	.text._ZN9rocsolver6v33100L11stedc_copyDIdEEviPT_lS3_l,"axG",@progbits,_ZN9rocsolver6v33100L11stedc_copyDIdEEviPT_lS3_l,comdat
	.globl	_ZN9rocsolver6v33100L11stedc_copyDIdEEviPT_lS3_l ; -- Begin function _ZN9rocsolver6v33100L11stedc_copyDIdEEviPT_lS3_l
	.p2align	8
	.type	_ZN9rocsolver6v33100L11stedc_copyDIdEEviPT_lS3_l,@function
_ZN9rocsolver6v33100L11stedc_copyDIdEEviPT_lS3_l: ; @_ZN9rocsolver6v33100L11stedc_copyDIdEEviPT_lS3_l
; %bb.0:
	s_clause 0x1
	s_load_b32 s2, s[0:1], 0x34
	s_load_b32 s18, s[0:1], 0x0
	s_waitcnt lgkmcnt(0)
	s_and_b32 s16, s2, 0xffff
	s_add_i32 s4, s18, -1
	s_lshl_b32 s17, s16, 4
	s_abs_i32 s5, s4
	v_cvt_f32_u32_e32 v1, s17
	s_sub_i32 s3, 0, s17
	s_ashr_i32 s4, s4, 31
	s_delay_alu instid0(VALU_DEP_1) | instskip(SKIP_2) | instid1(VALU_DEP_1)
	v_rcp_iflag_f32_e32 v1, v1
	s_waitcnt_depctr 0xfff
	v_mul_f32_e32 v1, 0x4f7ffffe, v1
	v_cvt_u32_f32_e32 v1, v1
	s_delay_alu instid0(VALU_DEP_1) | instskip(NEXT) | instid1(VALU_DEP_1)
	v_readfirstlane_b32 s2, v1
	s_mul_i32 s3, s3, s2
	s_delay_alu instid0(SALU_CYCLE_1) | instskip(NEXT) | instid1(SALU_CYCLE_1)
	s_mul_hi_u32 s3, s2, s3
	s_add_i32 s2, s2, s3
	s_delay_alu instid0(SALU_CYCLE_1) | instskip(NEXT) | instid1(SALU_CYCLE_1)
	s_mul_hi_u32 s2, s5, s2
	s_mul_i32 s3, s2, s17
	s_delay_alu instid0(SALU_CYCLE_1)
	s_sub_i32 s3, s5, s3
	s_add_i32 s5, s2, 1
	s_sub_i32 s6, s3, s17
	s_cmp_ge_u32 s3, s17
	s_cselect_b32 s2, s5, s2
	s_cselect_b32 s3, s6, s3
	s_add_i32 s5, s2, 1
	s_cmp_ge_u32 s3, s17
	s_cselect_b32 s2, s5, s2
	s_delay_alu instid0(SALU_CYCLE_1) | instskip(NEXT) | instid1(SALU_CYCLE_1)
	s_xor_b32 s2, s2, s4
	s_sub_i32 s8, s2, s4
	s_delay_alu instid0(SALU_CYCLE_1)
	s_cmp_lt_i32 s8, 0
	s_cbranch_scc1 .LBB103_67
; %bb.1:
	s_load_b256 s[0:7], s[0:1], 0x8
	s_ashr_i32 s9, s15, 31
	s_mul_i32 s19, s16, 3
	s_mul_i32 s20, s16, 5
	;; [unrolled: 1-line block ×11, first 2 shown]
                                        ; implicit-def: $vgpr2_vgpr3_vgpr4_vgpr5_vgpr6_vgpr7_vgpr8_vgpr9_vgpr10_vgpr11_vgpr12_vgpr13_vgpr14_vgpr15_vgpr16_vgpr17_vgpr18_vgpr19_vgpr20_vgpr21_vgpr22_vgpr23_vgpr24_vgpr25_vgpr26_vgpr27_vgpr28_vgpr29_vgpr30_vgpr31_vgpr32_vgpr33
	s_waitcnt lgkmcnt(0)
	s_mul_i32 s3, s15, s3
	s_mul_hi_u32 s10, s15, s2
	s_mul_i32 s11, s9, s2
	s_add_i32 s3, s10, s3
	s_mul_i32 s2, s15, s2
	s_add_i32 s3, s3, s11
	s_mul_i32 s7, s15, s7
	s_lshl_b64 s[2:3], s[2:3], 3
	s_mul_hi_u32 s10, s15, s6
	s_add_u32 s27, s0, s2
	s_mul_i32 s9, s9, s6
	s_addc_u32 s28, s1, s3
	s_add_i32 s1, s10, s7
	s_mul_i32 s0, s15, s6
	s_add_i32 s1, s1, s9
	s_delay_alu instid0(SALU_CYCLE_1) | instskip(NEXT) | instid1(SALU_CYCLE_1)
	s_lshl_b64 s[0:1], s[0:1], 3
	s_add_u32 s31, s4, s0
	s_addc_u32 s33, s5, s1
	s_add_i32 s34, s8, 1
	s_lshl_b32 s35, s16, 1
	s_lshl_b32 s36, s16, 2
	;; [unrolled: 1-line block ×3, first 2 shown]
	s_branch .LBB103_3
.LBB103_2:                              ;   in Loop: Header=BB103_3 Depth=1
	s_or_b32 exec_lo, exec_lo, s0
	v_add_nc_u32_e32 v0, s17, v0
	s_add_i32 s34, s34, -1
	s_delay_alu instid0(SALU_CYCLE_1)
	s_cmp_eq_u32 s34, 0
	s_cbranch_scc1 .LBB103_67
.LBB103_3:                              ; =>This Inner Loop Header: Depth=1
	s_delay_alu instid0(VALU_DEP_1)
	v_cmp_gt_i32_e32 vcc_lo, s18, v0
	v_ashrrev_i32_e32 v1, 31, v0
	s_and_saveexec_b32 s1, vcc_lo
	s_cbranch_execz .LBB103_5
; %bb.4:                                ;   in Loop: Header=BB103_3 Depth=1
	s_waitcnt vmcnt(0)
	s_delay_alu instid0(VALU_DEP_1) | instskip(NEXT) | instid1(VALU_DEP_1)
	v_lshlrev_b64 v[2:3], 3, v[0:1]
	v_add_co_u32 v2, s0, s27, v2
	s_delay_alu instid0(VALU_DEP_1)
	v_add_co_ci_u32_e64 v3, s0, s28, v3, s0
	global_load_b64 v[2:3], v[2:3], off
.LBB103_5:                              ;   in Loop: Header=BB103_3 Depth=1
	s_or_b32 exec_lo, exec_lo, s1
	v_add_nc_u32_e32 v34, s16, v0
	s_delay_alu instid0(VALU_DEP_1) | instskip(SKIP_1) | instid1(VALU_DEP_2)
	v_cmp_gt_i32_e64 s0, s18, v34
	v_ashrrev_i32_e32 v35, 31, v34
	s_and_saveexec_b32 s2, s0
	s_cbranch_execz .LBB103_7
; %bb.6:                                ;   in Loop: Header=BB103_3 Depth=1
	s_waitcnt vmcnt(0)
	s_delay_alu instid0(VALU_DEP_1) | instskip(NEXT) | instid1(VALU_DEP_1)
	v_lshlrev_b64 v[4:5], 3, v[34:35]
	v_add_co_u32 v4, s1, s27, v4
	s_delay_alu instid0(VALU_DEP_1)
	v_add_co_ci_u32_e64 v5, s1, s28, v5, s1
	global_load_b64 v[4:5], v[4:5], off
.LBB103_7:                              ;   in Loop: Header=BB103_3 Depth=1
	s_or_b32 exec_lo, exec_lo, s2
	v_add_nc_u32_e32 v38, s16, v34
	v_add_nc_u32_e32 v36, s35, v0
	s_delay_alu instid0(VALU_DEP_2) | instskip(NEXT) | instid1(VALU_DEP_2)
	v_cmp_gt_i32_e64 s1, s18, v38
	v_ashrrev_i32_e32 v37, 31, v36
	s_delay_alu instid0(VALU_DEP_2)
	s_and_saveexec_b32 s3, s1
	s_cbranch_execz .LBB103_9
; %bb.8:                                ;   in Loop: Header=BB103_3 Depth=1
	s_waitcnt vmcnt(0)
	s_delay_alu instid0(VALU_DEP_1) | instskip(NEXT) | instid1(VALU_DEP_1)
	v_lshlrev_b64 v[6:7], 3, v[36:37]
	v_add_co_u32 v6, s2, s27, v6
	s_delay_alu instid0(VALU_DEP_1)
	v_add_co_ci_u32_e64 v7, s2, s28, v7, s2
	global_load_b64 v[6:7], v[6:7], off
.LBB103_9:                              ;   in Loop: Header=BB103_3 Depth=1
	s_or_b32 exec_lo, exec_lo, s3
	v_add_nc_u32_e32 v40, s16, v38
	v_add_nc_u32_e32 v38, s19, v0
	s_delay_alu instid0(VALU_DEP_2) | instskip(NEXT) | instid1(VALU_DEP_2)
	v_cmp_gt_i32_e64 s2, s18, v40
	v_ashrrev_i32_e32 v39, 31, v38
	s_delay_alu instid0(VALU_DEP_2)
	s_and_saveexec_b32 s4, s2
	s_cbranch_execz .LBB103_11
; %bb.10:                               ;   in Loop: Header=BB103_3 Depth=1
	s_waitcnt vmcnt(0)
	s_delay_alu instid0(VALU_DEP_1) | instskip(NEXT) | instid1(VALU_DEP_1)
	v_lshlrev_b64 v[8:9], 3, v[38:39]
	v_add_co_u32 v8, s3, s27, v8
	s_delay_alu instid0(VALU_DEP_1)
	v_add_co_ci_u32_e64 v9, s3, s28, v9, s3
	global_load_b64 v[8:9], v[8:9], off
.LBB103_11:                             ;   in Loop: Header=BB103_3 Depth=1
	s_or_b32 exec_lo, exec_lo, s4
	v_add_nc_u32_e32 v42, s16, v40
	v_add_nc_u32_e32 v40, s36, v0
	s_delay_alu instid0(VALU_DEP_2) | instskip(NEXT) | instid1(VALU_DEP_2)
	v_cmp_gt_i32_e64 s3, s18, v42
	v_ashrrev_i32_e32 v41, 31, v40
	s_delay_alu instid0(VALU_DEP_2)
	s_and_saveexec_b32 s5, s3
	s_cbranch_execz .LBB103_13
; %bb.12:                               ;   in Loop: Header=BB103_3 Depth=1
	s_waitcnt vmcnt(0)
	s_delay_alu instid0(VALU_DEP_1) | instskip(NEXT) | instid1(VALU_DEP_1)
	v_lshlrev_b64 v[10:11], 3, v[40:41]
	v_add_co_u32 v10, s4, s27, v10
	s_delay_alu instid0(VALU_DEP_1)
	v_add_co_ci_u32_e64 v11, s4, s28, v11, s4
	global_load_b64 v[10:11], v[10:11], off
.LBB103_13:                             ;   in Loop: Header=BB103_3 Depth=1
	;; [unrolled: 18-line block ×12, first 2 shown]
	s_or_b32 exec_lo, exec_lo, s15
	v_add_nc_u32_e32 v63, s16, v62
	v_add_nc_u32_e32 v62, s38, v0
	s_delay_alu instid0(VALU_DEP_2) | instskip(NEXT) | instid1(VALU_DEP_2)
	v_cmp_gt_i32_e64 s14, s18, v63
	v_ashrrev_i32_e32 v63, 31, v62
	s_delay_alu instid0(VALU_DEP_2)
	s_and_saveexec_b32 s39, s14
	s_cbranch_execnz .LBB103_50
; %bb.34:                               ;   in Loop: Header=BB103_3 Depth=1
	s_or_b32 exec_lo, exec_lo, s39
	s_and_saveexec_b32 s15, vcc_lo
	s_cbranch_execnz .LBB103_51
.LBB103_35:                             ;   in Loop: Header=BB103_3 Depth=1
	s_or_b32 exec_lo, exec_lo, s15
	s_and_saveexec_b32 s15, s0
	s_cbranch_execnz .LBB103_52
.LBB103_36:                             ;   in Loop: Header=BB103_3 Depth=1
	s_or_b32 exec_lo, exec_lo, s15
	s_and_saveexec_b32 s0, s1
	s_cbranch_execnz .LBB103_53
.LBB103_37:                             ;   in Loop: Header=BB103_3 Depth=1
	s_or_b32 exec_lo, exec_lo, s0
	s_and_saveexec_b32 s0, s2
	s_cbranch_execnz .LBB103_54
.LBB103_38:                             ;   in Loop: Header=BB103_3 Depth=1
	s_or_b32 exec_lo, exec_lo, s0
	s_and_saveexec_b32 s0, s3
	s_cbranch_execnz .LBB103_55
.LBB103_39:                             ;   in Loop: Header=BB103_3 Depth=1
	s_or_b32 exec_lo, exec_lo, s0
	s_and_saveexec_b32 s0, s4
	s_cbranch_execnz .LBB103_56
.LBB103_40:                             ;   in Loop: Header=BB103_3 Depth=1
	s_or_b32 exec_lo, exec_lo, s0
	s_and_saveexec_b32 s0, s5
	s_cbranch_execnz .LBB103_57
.LBB103_41:                             ;   in Loop: Header=BB103_3 Depth=1
	s_or_b32 exec_lo, exec_lo, s0
	s_and_saveexec_b32 s0, s6
	s_cbranch_execnz .LBB103_58
.LBB103_42:                             ;   in Loop: Header=BB103_3 Depth=1
	s_or_b32 exec_lo, exec_lo, s0
	s_and_saveexec_b32 s0, s7
	s_cbranch_execnz .LBB103_59
.LBB103_43:                             ;   in Loop: Header=BB103_3 Depth=1
	s_or_b32 exec_lo, exec_lo, s0
	s_and_saveexec_b32 s0, s8
	s_cbranch_execnz .LBB103_60
.LBB103_44:                             ;   in Loop: Header=BB103_3 Depth=1
	s_or_b32 exec_lo, exec_lo, s0
	s_and_saveexec_b32 s0, s9
	s_cbranch_execnz .LBB103_61
.LBB103_45:                             ;   in Loop: Header=BB103_3 Depth=1
	s_or_b32 exec_lo, exec_lo, s0
	s_and_saveexec_b32 s0, s10
	s_cbranch_execnz .LBB103_62
.LBB103_46:                             ;   in Loop: Header=BB103_3 Depth=1
	s_or_b32 exec_lo, exec_lo, s0
	s_and_saveexec_b32 s0, s11
	s_cbranch_execnz .LBB103_63
.LBB103_47:                             ;   in Loop: Header=BB103_3 Depth=1
	s_or_b32 exec_lo, exec_lo, s0
	s_and_saveexec_b32 s0, s12
	s_cbranch_execnz .LBB103_64
.LBB103_48:                             ;   in Loop: Header=BB103_3 Depth=1
	s_or_b32 exec_lo, exec_lo, s0
	s_and_saveexec_b32 s0, s13
	s_cbranch_execnz .LBB103_65
.LBB103_49:                             ;   in Loop: Header=BB103_3 Depth=1
	s_or_b32 exec_lo, exec_lo, s0
	s_and_saveexec_b32 s0, s14
	s_cbranch_execz .LBB103_2
	s_branch .LBB103_66
.LBB103_50:                             ;   in Loop: Header=BB103_3 Depth=1
	s_waitcnt vmcnt(0)
	s_delay_alu instid0(VALU_DEP_1) | instskip(NEXT) | instid1(VALU_DEP_1)
	v_lshlrev_b64 v[32:33], 3, v[62:63]
	v_add_co_u32 v32, s15, s27, v32
	s_delay_alu instid0(VALU_DEP_1)
	v_add_co_ci_u32_e64 v33, s15, s28, v33, s15
	global_load_b64 v[32:33], v[32:33], off
	s_or_b32 exec_lo, exec_lo, s39
	s_and_saveexec_b32 s15, vcc_lo
	s_cbranch_execz .LBB103_35
.LBB103_51:                             ;   in Loop: Header=BB103_3 Depth=1
	v_lshlrev_b64 v[64:65], 3, v[0:1]
	s_delay_alu instid0(VALU_DEP_1) | instskip(NEXT) | instid1(VALU_DEP_2)
	v_add_co_u32 v64, vcc_lo, s31, v64
	v_add_co_ci_u32_e32 v65, vcc_lo, s33, v65, vcc_lo
	s_waitcnt vmcnt(0)
	global_store_b64 v[64:65], v[2:3], off
	s_or_b32 exec_lo, exec_lo, s15
	s_and_saveexec_b32 s15, s0
	s_cbranch_execz .LBB103_36
.LBB103_52:                             ;   in Loop: Header=BB103_3 Depth=1
	v_lshlrev_b64 v[34:35], 3, v[34:35]
	s_delay_alu instid0(VALU_DEP_1) | instskip(NEXT) | instid1(VALU_DEP_2)
	v_add_co_u32 v34, vcc_lo, s31, v34
	v_add_co_ci_u32_e32 v35, vcc_lo, s33, v35, vcc_lo
	s_waitcnt vmcnt(0)
	global_store_b64 v[34:35], v[4:5], off
	s_or_b32 exec_lo, exec_lo, s15
	s_and_saveexec_b32 s0, s1
	s_cbranch_execz .LBB103_37
.LBB103_53:                             ;   in Loop: Header=BB103_3 Depth=1
	v_lshlrev_b64 v[34:35], 3, v[36:37]
	s_delay_alu instid0(VALU_DEP_1) | instskip(NEXT) | instid1(VALU_DEP_2)
	v_add_co_u32 v34, vcc_lo, s31, v34
	v_add_co_ci_u32_e32 v35, vcc_lo, s33, v35, vcc_lo
	s_waitcnt vmcnt(0)
	global_store_b64 v[34:35], v[6:7], off
	s_or_b32 exec_lo, exec_lo, s0
	s_and_saveexec_b32 s0, s2
	s_cbranch_execz .LBB103_38
.LBB103_54:                             ;   in Loop: Header=BB103_3 Depth=1
	v_lshlrev_b64 v[34:35], 3, v[38:39]
	s_delay_alu instid0(VALU_DEP_1) | instskip(NEXT) | instid1(VALU_DEP_2)
	v_add_co_u32 v34, vcc_lo, s31, v34
	v_add_co_ci_u32_e32 v35, vcc_lo, s33, v35, vcc_lo
	s_waitcnt vmcnt(0)
	global_store_b64 v[34:35], v[8:9], off
	s_or_b32 exec_lo, exec_lo, s0
	s_and_saveexec_b32 s0, s3
	s_cbranch_execz .LBB103_39
.LBB103_55:                             ;   in Loop: Header=BB103_3 Depth=1
	v_lshlrev_b64 v[34:35], 3, v[40:41]
	s_delay_alu instid0(VALU_DEP_1) | instskip(NEXT) | instid1(VALU_DEP_2)
	v_add_co_u32 v34, vcc_lo, s31, v34
	v_add_co_ci_u32_e32 v35, vcc_lo, s33, v35, vcc_lo
	s_waitcnt vmcnt(0)
	global_store_b64 v[34:35], v[10:11], off
	s_or_b32 exec_lo, exec_lo, s0
	s_and_saveexec_b32 s0, s4
	s_cbranch_execz .LBB103_40
.LBB103_56:                             ;   in Loop: Header=BB103_3 Depth=1
	v_lshlrev_b64 v[34:35], 3, v[42:43]
	s_delay_alu instid0(VALU_DEP_1) | instskip(NEXT) | instid1(VALU_DEP_2)
	v_add_co_u32 v34, vcc_lo, s31, v34
	v_add_co_ci_u32_e32 v35, vcc_lo, s33, v35, vcc_lo
	s_waitcnt vmcnt(0)
	global_store_b64 v[34:35], v[12:13], off
	s_or_b32 exec_lo, exec_lo, s0
	s_and_saveexec_b32 s0, s5
	s_cbranch_execz .LBB103_41
.LBB103_57:                             ;   in Loop: Header=BB103_3 Depth=1
	v_lshlrev_b64 v[34:35], 3, v[44:45]
	s_delay_alu instid0(VALU_DEP_1) | instskip(NEXT) | instid1(VALU_DEP_2)
	v_add_co_u32 v34, vcc_lo, s31, v34
	v_add_co_ci_u32_e32 v35, vcc_lo, s33, v35, vcc_lo
	s_waitcnt vmcnt(0)
	global_store_b64 v[34:35], v[14:15], off
	s_or_b32 exec_lo, exec_lo, s0
	s_and_saveexec_b32 s0, s6
	s_cbranch_execz .LBB103_42
.LBB103_58:                             ;   in Loop: Header=BB103_3 Depth=1
	v_lshlrev_b64 v[34:35], 3, v[46:47]
	s_delay_alu instid0(VALU_DEP_1) | instskip(NEXT) | instid1(VALU_DEP_2)
	v_add_co_u32 v34, vcc_lo, s31, v34
	v_add_co_ci_u32_e32 v35, vcc_lo, s33, v35, vcc_lo
	s_waitcnt vmcnt(0)
	global_store_b64 v[34:35], v[16:17], off
	s_or_b32 exec_lo, exec_lo, s0
	s_and_saveexec_b32 s0, s7
	s_cbranch_execz .LBB103_43
.LBB103_59:                             ;   in Loop: Header=BB103_3 Depth=1
	v_lshlrev_b64 v[34:35], 3, v[48:49]
	s_delay_alu instid0(VALU_DEP_1) | instskip(NEXT) | instid1(VALU_DEP_2)
	v_add_co_u32 v34, vcc_lo, s31, v34
	v_add_co_ci_u32_e32 v35, vcc_lo, s33, v35, vcc_lo
	s_waitcnt vmcnt(0)
	global_store_b64 v[34:35], v[18:19], off
	s_or_b32 exec_lo, exec_lo, s0
	s_and_saveexec_b32 s0, s8
	s_cbranch_execz .LBB103_44
.LBB103_60:                             ;   in Loop: Header=BB103_3 Depth=1
	v_lshlrev_b64 v[34:35], 3, v[50:51]
	s_delay_alu instid0(VALU_DEP_1) | instskip(NEXT) | instid1(VALU_DEP_2)
	v_add_co_u32 v34, vcc_lo, s31, v34
	v_add_co_ci_u32_e32 v35, vcc_lo, s33, v35, vcc_lo
	s_waitcnt vmcnt(0)
	global_store_b64 v[34:35], v[20:21], off
	s_or_b32 exec_lo, exec_lo, s0
	s_and_saveexec_b32 s0, s9
	s_cbranch_execz .LBB103_45
.LBB103_61:                             ;   in Loop: Header=BB103_3 Depth=1
	v_lshlrev_b64 v[34:35], 3, v[52:53]
	s_delay_alu instid0(VALU_DEP_1) | instskip(NEXT) | instid1(VALU_DEP_2)
	v_add_co_u32 v34, vcc_lo, s31, v34
	v_add_co_ci_u32_e32 v35, vcc_lo, s33, v35, vcc_lo
	s_waitcnt vmcnt(0)
	global_store_b64 v[34:35], v[22:23], off
	s_or_b32 exec_lo, exec_lo, s0
	s_and_saveexec_b32 s0, s10
	s_cbranch_execz .LBB103_46
.LBB103_62:                             ;   in Loop: Header=BB103_3 Depth=1
	v_lshlrev_b64 v[34:35], 3, v[54:55]
	s_delay_alu instid0(VALU_DEP_1) | instskip(NEXT) | instid1(VALU_DEP_2)
	v_add_co_u32 v34, vcc_lo, s31, v34
	v_add_co_ci_u32_e32 v35, vcc_lo, s33, v35, vcc_lo
	s_waitcnt vmcnt(0)
	global_store_b64 v[34:35], v[24:25], off
	s_or_b32 exec_lo, exec_lo, s0
	s_and_saveexec_b32 s0, s11
	s_cbranch_execz .LBB103_47
.LBB103_63:                             ;   in Loop: Header=BB103_3 Depth=1
	v_lshlrev_b64 v[34:35], 3, v[56:57]
	s_delay_alu instid0(VALU_DEP_1) | instskip(NEXT) | instid1(VALU_DEP_2)
	v_add_co_u32 v34, vcc_lo, s31, v34
	v_add_co_ci_u32_e32 v35, vcc_lo, s33, v35, vcc_lo
	s_waitcnt vmcnt(0)
	global_store_b64 v[34:35], v[26:27], off
	s_or_b32 exec_lo, exec_lo, s0
	s_and_saveexec_b32 s0, s12
	s_cbranch_execz .LBB103_48
.LBB103_64:                             ;   in Loop: Header=BB103_3 Depth=1
	v_lshlrev_b64 v[34:35], 3, v[58:59]
	s_delay_alu instid0(VALU_DEP_1) | instskip(NEXT) | instid1(VALU_DEP_2)
	v_add_co_u32 v34, vcc_lo, s31, v34
	v_add_co_ci_u32_e32 v35, vcc_lo, s33, v35, vcc_lo
	s_waitcnt vmcnt(0)
	global_store_b64 v[34:35], v[28:29], off
	s_or_b32 exec_lo, exec_lo, s0
	s_and_saveexec_b32 s0, s13
	s_cbranch_execz .LBB103_49
.LBB103_65:                             ;   in Loop: Header=BB103_3 Depth=1
	v_lshlrev_b64 v[34:35], 3, v[60:61]
	s_delay_alu instid0(VALU_DEP_1) | instskip(NEXT) | instid1(VALU_DEP_2)
	v_add_co_u32 v34, vcc_lo, s31, v34
	v_add_co_ci_u32_e32 v35, vcc_lo, s33, v35, vcc_lo
	s_waitcnt vmcnt(0)
	global_store_b64 v[34:35], v[30:31], off
	s_or_b32 exec_lo, exec_lo, s0
	s_and_saveexec_b32 s0, s14
	s_cbranch_execz .LBB103_2
.LBB103_66:                             ;   in Loop: Header=BB103_3 Depth=1
	v_lshlrev_b64 v[34:35], 3, v[62:63]
	s_delay_alu instid0(VALU_DEP_1) | instskip(NEXT) | instid1(VALU_DEP_2)
	v_add_co_u32 v34, vcc_lo, s31, v34
	v_add_co_ci_u32_e32 v35, vcc_lo, s33, v35, vcc_lo
	s_waitcnt vmcnt(0)
	global_store_b64 v[34:35], v[32:33], off
	s_branch .LBB103_2
.LBB103_67:
	s_nop 0
	s_sendmsg sendmsg(MSG_DEALLOC_VGPRS)
	s_endpgm
	.section	.rodata,"a",@progbits
	.p2align	6, 0x0
	.amdhsa_kernel _ZN9rocsolver6v33100L11stedc_copyDIdEEviPT_lS3_l
		.amdhsa_group_segment_fixed_size 0
		.amdhsa_private_segment_fixed_size 0
		.amdhsa_kernarg_size 296
		.amdhsa_user_sgpr_count 14
		.amdhsa_user_sgpr_dispatch_ptr 0
		.amdhsa_user_sgpr_queue_ptr 0
		.amdhsa_user_sgpr_kernarg_segment_ptr 1
		.amdhsa_user_sgpr_dispatch_id 0
		.amdhsa_user_sgpr_private_segment_size 0
		.amdhsa_wavefront_size32 1
		.amdhsa_uses_dynamic_stack 0
		.amdhsa_enable_private_segment 0
		.amdhsa_system_sgpr_workgroup_id_x 1
		.amdhsa_system_sgpr_workgroup_id_y 1
		.amdhsa_system_sgpr_workgroup_id_z 0
		.amdhsa_system_sgpr_workgroup_info 0
		.amdhsa_system_vgpr_workitem_id 0
		.amdhsa_next_free_vgpr 66
		.amdhsa_next_free_sgpr 40
		.amdhsa_reserve_vcc 1
		.amdhsa_float_round_mode_32 0
		.amdhsa_float_round_mode_16_64 0
		.amdhsa_float_denorm_mode_32 3
		.amdhsa_float_denorm_mode_16_64 3
		.amdhsa_dx10_clamp 1
		.amdhsa_ieee_mode 1
		.amdhsa_fp16_overflow 0
		.amdhsa_workgroup_processor_mode 1
		.amdhsa_memory_ordered 1
		.amdhsa_forward_progress 0
		.amdhsa_shared_vgpr_count 0
		.amdhsa_exception_fp_ieee_invalid_op 0
		.amdhsa_exception_fp_denorm_src 0
		.amdhsa_exception_fp_ieee_div_zero 0
		.amdhsa_exception_fp_ieee_overflow 0
		.amdhsa_exception_fp_ieee_underflow 0
		.amdhsa_exception_fp_ieee_inexact 0
		.amdhsa_exception_int_div_zero 0
	.end_amdhsa_kernel
	.section	.text._ZN9rocsolver6v33100L11stedc_copyDIdEEviPT_lS3_l,"axG",@progbits,_ZN9rocsolver6v33100L11stedc_copyDIdEEviPT_lS3_l,comdat
.Lfunc_end103:
	.size	_ZN9rocsolver6v33100L11stedc_copyDIdEEviPT_lS3_l, .Lfunc_end103-_ZN9rocsolver6v33100L11stedc_copyDIdEEviPT_lS3_l
                                        ; -- End function
	.section	.AMDGPU.csdata,"",@progbits
; Kernel info:
; codeLenInByte = 2656
; NumSgprs: 42
; NumVgprs: 66
; ScratchSize: 0
; MemoryBound: 0
; FloatMode: 240
; IeeeMode: 1
; LDSByteSize: 0 bytes/workgroup (compile time only)
; SGPRBlocks: 5
; VGPRBlocks: 8
; NumSGPRsForWavesPerEU: 42
; NumVGPRsForWavesPerEU: 66
; Occupancy: 16
; WaveLimiterHint : 0
; COMPUTE_PGM_RSRC2:SCRATCH_EN: 0
; COMPUTE_PGM_RSRC2:USER_SGPR: 14
; COMPUTE_PGM_RSRC2:TRAP_HANDLER: 0
; COMPUTE_PGM_RSRC2:TGID_X_EN: 1
; COMPUTE_PGM_RSRC2:TGID_Y_EN: 1
; COMPUTE_PGM_RSRC2:TGID_Z_EN: 0
; COMPUTE_PGM_RSRC2:TIDIG_COMP_CNT: 0
	.section	.text._ZN9rocsolver6v33100L10stedc_sortIddPdS2_EEviPT0_lS4_lT1_iilT2_iil,"axG",@progbits,_ZN9rocsolver6v33100L10stedc_sortIddPdS2_EEviPT0_lS4_lT1_iilT2_iil,comdat
	.globl	_ZN9rocsolver6v33100L10stedc_sortIddPdS2_EEviPT0_lS4_lT1_iilT2_iil ; -- Begin function _ZN9rocsolver6v33100L10stedc_sortIddPdS2_EEviPT0_lS4_lT1_iilT2_iil
	.p2align	8
	.type	_ZN9rocsolver6v33100L10stedc_sortIddPdS2_EEviPT0_lS4_lT1_iilT2_iil,@function
_ZN9rocsolver6v33100L10stedc_sortIddPdS2_EEviPT0_lS4_lT1_iilT2_iil: ; @_ZN9rocsolver6v33100L10stedc_sortIddPdS2_EEviPT0_lS4_lT1_iilT2_iil
; %bb.0:
	s_clause 0x1
	s_load_b256 s[20:27], s[0:1], 0x8
	s_load_b32 s3, s[0:1], 0x64
	s_ashr_i32 s46, s15, 31
	s_mov_b32 s2, s15
	s_load_b32 s34, s[0:1], 0x0
	s_waitcnt lgkmcnt(0)
	s_mul_i32 s4, s15, s23
	s_mul_hi_u32 s5, s15, s22
	s_mul_i32 s6, s46, s22
	s_add_i32 s5, s5, s4
	s_mul_i32 s4, s15, s22
	s_load_b64 s[22:23], s[0:1], 0x28
	s_add_i32 s5, s5, s6
	s_delay_alu instid0(SALU_CYCLE_1) | instskip(NEXT) | instid1(SALU_CYCLE_1)
	s_lshl_b64 s[4:5], s[4:5], 3
	s_add_u32 s49, s20, s4
	s_addc_u32 s50, s21, s5
	s_ashr_i32 s15, s14, 31
	s_delay_alu instid0(SALU_CYCLE_1) | instskip(NEXT) | instid1(SALU_CYCLE_1)
	s_lshl_b64 s[28:29], s[14:15], 3
	s_add_u32 s4, s49, s28
	s_addc_u32 s5, s50, s29
	s_and_b32 s21, s3, 0xffff
	s_add_i32 s7, s34, -1
	s_lshl_b32 s33, s21, 4
	s_load_b64 s[30:31], s[4:5], 0x0
	v_cvt_f32_u32_e32 v1, s33
	s_sub_i32 s8, 0, s33
	s_ashr_i32 s4, s7, 31
	s_abs_i32 s7, s7
	s_mov_b32 s3, -1
	v_rcp_iflag_f32_e32 v1, v1
	s_mul_i32 s35, s21, 3
	s_mul_i32 s36, s21, 5
	;; [unrolled: 1-line block ×9, first 2 shown]
	s_waitcnt_depctr 0xfff
	v_mul_f32_e32 v1, 0x4f7ffffe, v1
	s_mul_i32 s44, s21, 14
	s_mul_i32 s45, s21, 15
	s_delay_alu instid0(VALU_DEP_1) | instskip(NEXT) | instid1(VALU_DEP_1)
	v_cvt_u32_f32_e32 v1, v1
	v_readfirstlane_b32 s6, v1
	v_mov_b32_e32 v1, 0
	s_delay_alu instid0(VALU_DEP_2) | instskip(NEXT) | instid1(SALU_CYCLE_1)
	s_mul_i32 s8, s8, s6
	s_mul_hi_u32 s5, s6, s8
	s_delay_alu instid0(SALU_CYCLE_1) | instskip(NEXT) | instid1(SALU_CYCLE_1)
	s_add_i32 s6, s6, s5
	s_mul_hi_u32 s5, s7, s6
	s_delay_alu instid0(SALU_CYCLE_1) | instskip(NEXT) | instid1(SALU_CYCLE_1)
	s_mul_i32 s6, s5, s33
	s_sub_i32 s6, s7, s6
	s_add_i32 s7, s5, 1
	s_sub_i32 s8, s6, s33
	s_cmp_ge_u32 s6, s33
	s_cselect_b32 s5, s7, s5
	s_cselect_b32 s6, s8, s6
	s_add_i32 s7, s5, 1
	s_cmp_ge_u32 s6, s33
	s_cselect_b32 s5, s7, s5
	s_delay_alu instid0(SALU_CYCLE_1) | instskip(NEXT) | instid1(SALU_CYCLE_1)
	s_xor_b32 s5, s5, s4
	s_sub_i32 s47, s5, s4
	s_delay_alu instid0(SALU_CYCLE_1)
	s_cmp_gt_i32 s47, -1
	s_cselect_b32 s48, -1, 0
	s_cmp_lt_i32 s47, 0
	s_cbranch_scc1 .LBB104_67
; %bb.1:
	v_dual_mov_b32 v64, 0 :: v_dual_mov_b32 v1, v0
	v_dual_mov_b32 v65, 0 :: v_dual_mov_b32 v66, 0
	s_add_i32 s51, s47, 1
	s_lshl_b32 s52, s21, 1
	s_lshl_b32 s53, s21, 2
	;; [unrolled: 1-line block ×3, first 2 shown]
                                        ; implicit-def: $vgpr2_vgpr3_vgpr4_vgpr5_vgpr6_vgpr7_vgpr8_vgpr9_vgpr10_vgpr11_vgpr12_vgpr13_vgpr14_vgpr15_vgpr16_vgpr17_vgpr18_vgpr19_vgpr20_vgpr21_vgpr22_vgpr23_vgpr24_vgpr25_vgpr26_vgpr27_vgpr28_vgpr29_vgpr30_vgpr31_vgpr32_vgpr33
	s_branch .LBB104_3
.LBB104_2:                              ;   in Loop: Header=BB104_3 Depth=1
	s_or_b32 exec_lo, exec_lo, s5
	v_add_nc_u32_e32 v1, s33, v1
	s_add_i32 s51, s51, -1
	s_delay_alu instid0(SALU_CYCLE_1)
	s_cmp_eq_u32 s51, 0
	s_cbranch_scc1 .LBB104_68
.LBB104_3:                              ; =>This Inner Loop Header: Depth=1
	s_delay_alu instid0(VALU_DEP_1) | instskip(NEXT) | instid1(VALU_DEP_1)
	v_cmp_gt_i32_e64 s18, s34, v1
	s_and_saveexec_b32 s3, s18
	s_cbranch_execz .LBB104_5
; %bb.4:                                ;   in Loop: Header=BB104_3 Depth=1
	s_waitcnt vmcnt(0)
	v_ashrrev_i32_e32 v2, 31, v1
	s_delay_alu instid0(VALU_DEP_1) | instskip(NEXT) | instid1(VALU_DEP_1)
	v_lshlrev_b64 v[2:3], 3, v[1:2]
	v_add_co_u32 v2, vcc_lo, s49, v2
	s_delay_alu instid0(VALU_DEP_2)
	v_add_co_ci_u32_e32 v3, vcc_lo, s50, v3, vcc_lo
	global_load_b64 v[2:3], v[2:3], off
.LBB104_5:                              ;   in Loop: Header=BB104_3 Depth=1
	s_or_b32 exec_lo, exec_lo, s3
	v_add_nc_u32_e32 v62, s21, v1
	s_delay_alu instid0(VALU_DEP_1) | instskip(NEXT) | instid1(VALU_DEP_1)
	v_cmp_gt_i32_e64 s17, s34, v62
	s_and_saveexec_b32 s3, s17
	s_cbranch_execz .LBB104_7
; %bb.6:                                ;   in Loop: Header=BB104_3 Depth=1
	v_ashrrev_i32_e32 v63, 31, v62
	s_waitcnt vmcnt(0)
	s_delay_alu instid0(VALU_DEP_1) | instskip(NEXT) | instid1(VALU_DEP_1)
	v_lshlrev_b64 v[4:5], 3, v[62:63]
	v_add_co_u32 v4, vcc_lo, s49, v4
	s_delay_alu instid0(VALU_DEP_2)
	v_add_co_ci_u32_e32 v5, vcc_lo, s50, v5, vcc_lo
	global_load_b64 v[4:5], v[4:5], off
.LBB104_7:                              ;   in Loop: Header=BB104_3 Depth=1
	s_or_b32 exec_lo, exec_lo, s3
	v_add_nc_u32_e32 v60, s52, v1
	s_delay_alu instid0(VALU_DEP_1) | instskip(NEXT) | instid1(VALU_DEP_1)
	v_cmp_gt_i32_e64 s16, s34, v60
	s_and_saveexec_b32 s3, s16
	s_cbranch_execz .LBB104_9
; %bb.8:                                ;   in Loop: Header=BB104_3 Depth=1
	v_ashrrev_i32_e32 v61, 31, v60
	s_waitcnt vmcnt(0)
	s_delay_alu instid0(VALU_DEP_1) | instskip(NEXT) | instid1(VALU_DEP_1)
	v_lshlrev_b64 v[6:7], 3, v[60:61]
	v_add_co_u32 v6, vcc_lo, s49, v6
	s_delay_alu instid0(VALU_DEP_2)
	v_add_co_ci_u32_e32 v7, vcc_lo, s50, v7, vcc_lo
	global_load_b64 v[6:7], v[6:7], off
.LBB104_9:                              ;   in Loop: Header=BB104_3 Depth=1
	s_or_b32 exec_lo, exec_lo, s3
	v_add_nc_u32_e32 v58, s35, v1
	s_delay_alu instid0(VALU_DEP_1) | instskip(NEXT) | instid1(VALU_DEP_1)
	v_cmp_gt_i32_e64 s15, s34, v58
	s_and_saveexec_b32 s3, s15
	s_cbranch_execz .LBB104_11
; %bb.10:                               ;   in Loop: Header=BB104_3 Depth=1
	v_ashrrev_i32_e32 v59, 31, v58
	s_waitcnt vmcnt(0)
	s_delay_alu instid0(VALU_DEP_1) | instskip(NEXT) | instid1(VALU_DEP_1)
	v_lshlrev_b64 v[8:9], 3, v[58:59]
	v_add_co_u32 v8, vcc_lo, s49, v8
	s_delay_alu instid0(VALU_DEP_2)
	v_add_co_ci_u32_e32 v9, vcc_lo, s50, v9, vcc_lo
	global_load_b64 v[8:9], v[8:9], off
.LBB104_11:                             ;   in Loop: Header=BB104_3 Depth=1
	s_or_b32 exec_lo, exec_lo, s3
	v_add_nc_u32_e32 v56, s53, v1
	s_delay_alu instid0(VALU_DEP_1) | instskip(NEXT) | instid1(VALU_DEP_1)
	v_cmp_gt_i32_e64 s13, s34, v56
	s_and_saveexec_b32 s3, s13
	s_cbranch_execz .LBB104_13
; %bb.12:                               ;   in Loop: Header=BB104_3 Depth=1
	v_ashrrev_i32_e32 v57, 31, v56
	s_waitcnt vmcnt(0)
	s_delay_alu instid0(VALU_DEP_1) | instskip(NEXT) | instid1(VALU_DEP_1)
	v_lshlrev_b64 v[10:11], 3, v[56:57]
	v_add_co_u32 v10, vcc_lo, s49, v10
	s_delay_alu instid0(VALU_DEP_2)
	v_add_co_ci_u32_e32 v11, vcc_lo, s50, v11, vcc_lo
	global_load_b64 v[10:11], v[10:11], off
.LBB104_13:                             ;   in Loop: Header=BB104_3 Depth=1
	s_or_b32 exec_lo, exec_lo, s3
	v_add_nc_u32_e32 v54, s36, v1
	s_delay_alu instid0(VALU_DEP_1) | instskip(NEXT) | instid1(VALU_DEP_1)
	v_cmp_gt_i32_e64 s12, s34, v54
	s_and_saveexec_b32 s3, s12
	s_cbranch_execz .LBB104_15
; %bb.14:                               ;   in Loop: Header=BB104_3 Depth=1
	v_ashrrev_i32_e32 v55, 31, v54
	s_waitcnt vmcnt(0)
	s_delay_alu instid0(VALU_DEP_1) | instskip(NEXT) | instid1(VALU_DEP_1)
	v_lshlrev_b64 v[12:13], 3, v[54:55]
	v_add_co_u32 v12, vcc_lo, s49, v12
	s_delay_alu instid0(VALU_DEP_2)
	v_add_co_ci_u32_e32 v13, vcc_lo, s50, v13, vcc_lo
	global_load_b64 v[12:13], v[12:13], off
.LBB104_15:                             ;   in Loop: Header=BB104_3 Depth=1
	s_or_b32 exec_lo, exec_lo, s3
	v_add_nc_u32_e32 v52, s37, v1
	s_delay_alu instid0(VALU_DEP_1) | instskip(NEXT) | instid1(VALU_DEP_1)
	v_cmp_gt_i32_e64 s11, s34, v52
	s_and_saveexec_b32 s3, s11
	s_cbranch_execz .LBB104_17
; %bb.16:                               ;   in Loop: Header=BB104_3 Depth=1
	v_ashrrev_i32_e32 v53, 31, v52
	s_waitcnt vmcnt(0)
	s_delay_alu instid0(VALU_DEP_1) | instskip(NEXT) | instid1(VALU_DEP_1)
	v_lshlrev_b64 v[14:15], 3, v[52:53]
	v_add_co_u32 v14, vcc_lo, s49, v14
	s_delay_alu instid0(VALU_DEP_2)
	v_add_co_ci_u32_e32 v15, vcc_lo, s50, v15, vcc_lo
	global_load_b64 v[14:15], v[14:15], off
.LBB104_17:                             ;   in Loop: Header=BB104_3 Depth=1
	s_or_b32 exec_lo, exec_lo, s3
	v_add_nc_u32_e32 v50, s38, v1
	s_delay_alu instid0(VALU_DEP_1) | instskip(NEXT) | instid1(VALU_DEP_1)
	v_cmp_gt_i32_e64 s10, s34, v50
	s_and_saveexec_b32 s3, s10
	s_cbranch_execz .LBB104_19
; %bb.18:                               ;   in Loop: Header=BB104_3 Depth=1
	v_ashrrev_i32_e32 v51, 31, v50
	s_waitcnt vmcnt(0)
	s_delay_alu instid0(VALU_DEP_1) | instskip(NEXT) | instid1(VALU_DEP_1)
	v_lshlrev_b64 v[16:17], 3, v[50:51]
	v_add_co_u32 v16, vcc_lo, s49, v16
	s_delay_alu instid0(VALU_DEP_2)
	v_add_co_ci_u32_e32 v17, vcc_lo, s50, v17, vcc_lo
	global_load_b64 v[16:17], v[16:17], off
.LBB104_19:                             ;   in Loop: Header=BB104_3 Depth=1
	s_or_b32 exec_lo, exec_lo, s3
	v_add_nc_u32_e32 v48, s54, v1
	s_delay_alu instid0(VALU_DEP_1) | instskip(NEXT) | instid1(VALU_DEP_1)
	v_cmp_gt_i32_e64 s9, s34, v48
	s_and_saveexec_b32 s3, s9
	s_cbranch_execz .LBB104_21
; %bb.20:                               ;   in Loop: Header=BB104_3 Depth=1
	v_ashrrev_i32_e32 v49, 31, v48
	s_waitcnt vmcnt(0)
	s_delay_alu instid0(VALU_DEP_1) | instskip(NEXT) | instid1(VALU_DEP_1)
	v_lshlrev_b64 v[18:19], 3, v[48:49]
	v_add_co_u32 v18, vcc_lo, s49, v18
	s_delay_alu instid0(VALU_DEP_2)
	v_add_co_ci_u32_e32 v19, vcc_lo, s50, v19, vcc_lo
	global_load_b64 v[18:19], v[18:19], off
.LBB104_21:                             ;   in Loop: Header=BB104_3 Depth=1
	s_or_b32 exec_lo, exec_lo, s3
	v_add_nc_u32_e32 v46, s39, v1
	s_delay_alu instid0(VALU_DEP_1) | instskip(NEXT) | instid1(VALU_DEP_1)
	v_cmp_gt_i32_e64 s8, s34, v46
	s_and_saveexec_b32 s3, s8
	s_cbranch_execz .LBB104_23
; %bb.22:                               ;   in Loop: Header=BB104_3 Depth=1
	v_ashrrev_i32_e32 v47, 31, v46
	s_waitcnt vmcnt(0)
	s_delay_alu instid0(VALU_DEP_1) | instskip(NEXT) | instid1(VALU_DEP_1)
	v_lshlrev_b64 v[20:21], 3, v[46:47]
	v_add_co_u32 v20, vcc_lo, s49, v20
	s_delay_alu instid0(VALU_DEP_2)
	v_add_co_ci_u32_e32 v21, vcc_lo, s50, v21, vcc_lo
	global_load_b64 v[20:21], v[20:21], off
.LBB104_23:                             ;   in Loop: Header=BB104_3 Depth=1
	s_or_b32 exec_lo, exec_lo, s3
	v_add_nc_u32_e32 v44, s40, v1
	s_delay_alu instid0(VALU_DEP_1) | instskip(NEXT) | instid1(VALU_DEP_1)
	v_cmp_gt_i32_e64 s7, s34, v44
	s_and_saveexec_b32 s3, s7
	s_cbranch_execz .LBB104_25
; %bb.24:                               ;   in Loop: Header=BB104_3 Depth=1
	v_ashrrev_i32_e32 v45, 31, v44
	s_waitcnt vmcnt(0)
	s_delay_alu instid0(VALU_DEP_1) | instskip(NEXT) | instid1(VALU_DEP_1)
	v_lshlrev_b64 v[22:23], 3, v[44:45]
	v_add_co_u32 v22, vcc_lo, s49, v22
	s_delay_alu instid0(VALU_DEP_2)
	v_add_co_ci_u32_e32 v23, vcc_lo, s50, v23, vcc_lo
	global_load_b64 v[22:23], v[22:23], off
.LBB104_25:                             ;   in Loop: Header=BB104_3 Depth=1
	s_or_b32 exec_lo, exec_lo, s3
	v_add_nc_u32_e32 v42, s41, v1
	s_delay_alu instid0(VALU_DEP_1) | instskip(NEXT) | instid1(VALU_DEP_1)
	v_cmp_gt_i32_e64 s6, s34, v42
	s_and_saveexec_b32 s3, s6
	s_cbranch_execz .LBB104_27
; %bb.26:                               ;   in Loop: Header=BB104_3 Depth=1
	v_ashrrev_i32_e32 v43, 31, v42
	s_waitcnt vmcnt(0)
	s_delay_alu instid0(VALU_DEP_1) | instskip(NEXT) | instid1(VALU_DEP_1)
	v_lshlrev_b64 v[24:25], 3, v[42:43]
	v_add_co_u32 v24, vcc_lo, s49, v24
	s_delay_alu instid0(VALU_DEP_2)
	v_add_co_ci_u32_e32 v25, vcc_lo, s50, v25, vcc_lo
	global_load_b64 v[24:25], v[24:25], off
.LBB104_27:                             ;   in Loop: Header=BB104_3 Depth=1
	s_or_b32 exec_lo, exec_lo, s3
	v_add_nc_u32_e32 v40, s42, v1
	s_delay_alu instid0(VALU_DEP_1) | instskip(NEXT) | instid1(VALU_DEP_1)
	v_cmp_gt_i32_e64 s5, s34, v40
	s_and_saveexec_b32 s3, s5
	s_cbranch_execz .LBB104_29
; %bb.28:                               ;   in Loop: Header=BB104_3 Depth=1
	v_ashrrev_i32_e32 v41, 31, v40
	s_waitcnt vmcnt(0)
	s_delay_alu instid0(VALU_DEP_1) | instskip(NEXT) | instid1(VALU_DEP_1)
	v_lshlrev_b64 v[26:27], 3, v[40:41]
	v_add_co_u32 v26, vcc_lo, s49, v26
	s_delay_alu instid0(VALU_DEP_2)
	v_add_co_ci_u32_e32 v27, vcc_lo, s50, v27, vcc_lo
	global_load_b64 v[26:27], v[26:27], off
.LBB104_29:                             ;   in Loop: Header=BB104_3 Depth=1
	s_or_b32 exec_lo, exec_lo, s3
	v_add_nc_u32_e32 v38, s43, v1
	s_delay_alu instid0(VALU_DEP_1) | instskip(NEXT) | instid1(VALU_DEP_1)
	v_cmp_gt_i32_e64 s4, s34, v38
	s_and_saveexec_b32 s3, s4
	s_cbranch_execz .LBB104_31
; %bb.30:                               ;   in Loop: Header=BB104_3 Depth=1
	v_ashrrev_i32_e32 v39, 31, v38
	s_waitcnt vmcnt(0)
	s_delay_alu instid0(VALU_DEP_1) | instskip(NEXT) | instid1(VALU_DEP_1)
	v_lshlrev_b64 v[28:29], 3, v[38:39]
	v_add_co_u32 v28, vcc_lo, s49, v28
	s_delay_alu instid0(VALU_DEP_2)
	v_add_co_ci_u32_e32 v29, vcc_lo, s50, v29, vcc_lo
	global_load_b64 v[28:29], v[28:29], off
.LBB104_31:                             ;   in Loop: Header=BB104_3 Depth=1
	s_or_b32 exec_lo, exec_lo, s3
	v_add_nc_u32_e32 v36, s44, v1
	s_delay_alu instid0(VALU_DEP_1) | instskip(NEXT) | instid1(VALU_DEP_1)
	v_cmp_gt_i32_e64 s3, s34, v36
	s_and_saveexec_b32 s19, s3
	s_cbranch_execz .LBB104_33
; %bb.32:                               ;   in Loop: Header=BB104_3 Depth=1
	v_ashrrev_i32_e32 v37, 31, v36
	s_waitcnt vmcnt(0)
	s_delay_alu instid0(VALU_DEP_1) | instskip(NEXT) | instid1(VALU_DEP_1)
	v_lshlrev_b64 v[30:31], 3, v[36:37]
	v_add_co_u32 v30, vcc_lo, s49, v30
	s_delay_alu instid0(VALU_DEP_2)
	v_add_co_ci_u32_e32 v31, vcc_lo, s50, v31, vcc_lo
	global_load_b64 v[30:31], v[30:31], off
.LBB104_33:                             ;   in Loop: Header=BB104_3 Depth=1
	s_or_b32 exec_lo, exec_lo, s19
	v_add_nc_u32_e32 v34, s45, v1
	s_delay_alu instid0(VALU_DEP_1)
	v_cmp_gt_i32_e32 vcc_lo, s34, v34
	s_and_saveexec_b32 s20, vcc_lo
	s_cbranch_execnz .LBB104_50
; %bb.34:                               ;   in Loop: Header=BB104_3 Depth=1
	s_or_b32 exec_lo, exec_lo, s20
	s_and_saveexec_b32 s55, s18
	s_cbranch_execnz .LBB104_51
.LBB104_35:                             ;   in Loop: Header=BB104_3 Depth=1
	s_or_b32 exec_lo, exec_lo, s55
	s_and_saveexec_b32 s20, s17
	s_cbranch_execnz .LBB104_52
.LBB104_36:                             ;   in Loop: Header=BB104_3 Depth=1
	s_or_b32 exec_lo, exec_lo, s20
	s_and_saveexec_b32 s19, s16
	s_cbranch_execnz .LBB104_53
.LBB104_37:                             ;   in Loop: Header=BB104_3 Depth=1
	s_or_b32 exec_lo, exec_lo, s19
	s_and_saveexec_b32 s18, s15
	s_cbranch_execnz .LBB104_54
.LBB104_38:                             ;   in Loop: Header=BB104_3 Depth=1
	s_or_b32 exec_lo, exec_lo, s18
	s_and_saveexec_b32 s17, s13
	s_cbranch_execnz .LBB104_55
.LBB104_39:                             ;   in Loop: Header=BB104_3 Depth=1
	s_or_b32 exec_lo, exec_lo, s17
	s_and_saveexec_b32 s16, s12
	s_cbranch_execnz .LBB104_56
.LBB104_40:                             ;   in Loop: Header=BB104_3 Depth=1
	s_or_b32 exec_lo, exec_lo, s16
	s_and_saveexec_b32 s15, s11
	s_cbranch_execnz .LBB104_57
.LBB104_41:                             ;   in Loop: Header=BB104_3 Depth=1
	s_or_b32 exec_lo, exec_lo, s15
	s_and_saveexec_b32 s13, s10
	s_cbranch_execnz .LBB104_58
.LBB104_42:                             ;   in Loop: Header=BB104_3 Depth=1
	s_or_b32 exec_lo, exec_lo, s13
	s_and_saveexec_b32 s12, s9
	s_cbranch_execnz .LBB104_59
.LBB104_43:                             ;   in Loop: Header=BB104_3 Depth=1
	s_or_b32 exec_lo, exec_lo, s12
	s_and_saveexec_b32 s11, s8
	s_cbranch_execnz .LBB104_60
.LBB104_44:                             ;   in Loop: Header=BB104_3 Depth=1
	s_or_b32 exec_lo, exec_lo, s11
	s_and_saveexec_b32 s10, s7
	s_cbranch_execnz .LBB104_61
.LBB104_45:                             ;   in Loop: Header=BB104_3 Depth=1
	s_or_b32 exec_lo, exec_lo, s10
	s_and_saveexec_b32 s9, s6
	s_cbranch_execnz .LBB104_62
.LBB104_46:                             ;   in Loop: Header=BB104_3 Depth=1
	s_or_b32 exec_lo, exec_lo, s9
	s_and_saveexec_b32 s8, s5
	s_cbranch_execnz .LBB104_63
.LBB104_47:                             ;   in Loop: Header=BB104_3 Depth=1
	s_or_b32 exec_lo, exec_lo, s8
	s_and_saveexec_b32 s7, s4
	s_cbranch_execnz .LBB104_64
.LBB104_48:                             ;   in Loop: Header=BB104_3 Depth=1
	s_or_b32 exec_lo, exec_lo, s7
	s_and_saveexec_b32 s6, s3
	s_cbranch_execnz .LBB104_65
.LBB104_49:                             ;   in Loop: Header=BB104_3 Depth=1
	s_or_b32 exec_lo, exec_lo, s6
	s_and_saveexec_b32 s5, vcc_lo
	s_cbranch_execz .LBB104_2
	s_branch .LBB104_66
.LBB104_50:                             ;   in Loop: Header=BB104_3 Depth=1
	v_ashrrev_i32_e32 v35, 31, v34
	s_waitcnt vmcnt(0)
	s_delay_alu instid0(VALU_DEP_1) | instskip(NEXT) | instid1(VALU_DEP_1)
	v_lshlrev_b64 v[32:33], 3, v[34:35]
	v_add_co_u32 v32, s19, s49, v32
	s_delay_alu instid0(VALU_DEP_1)
	v_add_co_ci_u32_e64 v33, s19, s50, v33, s19
	global_load_b64 v[32:33], v[32:33], off
	s_or_b32 exec_lo, exec_lo, s20
	s_and_saveexec_b32 s55, s18
	s_cbranch_execz .LBB104_35
.LBB104_51:                             ;   in Loop: Header=BB104_3 Depth=1
	s_waitcnt vmcnt(0)
	v_cmp_u_f64_e64 s20, v[2:3], v[2:3]
	s_waitcnt lgkmcnt(0)
	v_cmp_eq_f64_e64 s18, s[30:31], v[2:3]
	v_cmp_gt_i32_e64 s19, s14, v1
	s_delay_alu instid0(VALU_DEP_3) | instskip(SKIP_1) | instid1(VALU_DEP_3)
	v_add_co_ci_u32_e64 v64, s20, 0, v64, s20
	v_cmp_gt_f64_e64 s20, s[30:31], v[2:3]
	s_and_b32 s18, s18, s19
	s_delay_alu instid0(SALU_CYCLE_1) | instskip(NEXT) | instid1(VALU_DEP_2)
	v_add_co_ci_u32_e64 v66, s18, 0, v66, s18
	v_add_co_ci_u32_e64 v65, s20, 0, v65, s20
	s_or_b32 exec_lo, exec_lo, s55
	s_and_saveexec_b32 s20, s17
	s_cbranch_execz .LBB104_36
.LBB104_52:                             ;   in Loop: Header=BB104_3 Depth=1
	s_waitcnt vmcnt(0)
	v_cmp_u_f64_e64 s19, v[4:5], v[4:5]
	s_waitcnt lgkmcnt(0)
	v_cmp_eq_f64_e64 s17, s[30:31], v[4:5]
	v_cmp_gt_i32_e64 s18, s14, v62
	s_delay_alu instid0(VALU_DEP_3) | instskip(SKIP_1) | instid1(VALU_DEP_3)
	v_add_co_ci_u32_e64 v64, s19, 0, v64, s19
	v_cmp_gt_f64_e64 s19, s[30:31], v[4:5]
	s_and_b32 s17, s17, s18
	s_delay_alu instid0(SALU_CYCLE_1) | instskip(NEXT) | instid1(VALU_DEP_2)
	v_add_co_ci_u32_e64 v66, s17, 0, v66, s17
	v_add_co_ci_u32_e64 v65, s19, 0, v65, s19
	s_or_b32 exec_lo, exec_lo, s20
	s_and_saveexec_b32 s19, s16
	s_cbranch_execz .LBB104_37
.LBB104_53:                             ;   in Loop: Header=BB104_3 Depth=1
	s_waitcnt vmcnt(0)
	v_cmp_u_f64_e64 s18, v[6:7], v[6:7]
	s_waitcnt lgkmcnt(0)
	v_cmp_eq_f64_e64 s16, s[30:31], v[6:7]
	v_cmp_gt_i32_e64 s17, s14, v60
	s_delay_alu instid0(VALU_DEP_3) | instskip(SKIP_1) | instid1(VALU_DEP_3)
	v_add_co_ci_u32_e64 v64, s18, 0, v64, s18
	v_cmp_gt_f64_e64 s18, s[30:31], v[6:7]
	s_and_b32 s16, s16, s17
	s_delay_alu instid0(SALU_CYCLE_1) | instskip(NEXT) | instid1(VALU_DEP_2)
	v_add_co_ci_u32_e64 v66, s16, 0, v66, s16
	v_add_co_ci_u32_e64 v65, s18, 0, v65, s18
	s_or_b32 exec_lo, exec_lo, s19
	s_and_saveexec_b32 s18, s15
	s_cbranch_execz .LBB104_38
.LBB104_54:                             ;   in Loop: Header=BB104_3 Depth=1
	s_waitcnt vmcnt(0)
	v_cmp_u_f64_e64 s17, v[8:9], v[8:9]
	s_waitcnt lgkmcnt(0)
	v_cmp_eq_f64_e64 s15, s[30:31], v[8:9]
	v_cmp_gt_i32_e64 s16, s14, v58
	s_delay_alu instid0(VALU_DEP_3) | instskip(SKIP_1) | instid1(VALU_DEP_3)
	v_add_co_ci_u32_e64 v64, s17, 0, v64, s17
	v_cmp_gt_f64_e64 s17, s[30:31], v[8:9]
	s_and_b32 s15, s15, s16
	s_delay_alu instid0(SALU_CYCLE_1) | instskip(NEXT) | instid1(VALU_DEP_2)
	v_add_co_ci_u32_e64 v66, s15, 0, v66, s15
	v_add_co_ci_u32_e64 v65, s17, 0, v65, s17
	s_or_b32 exec_lo, exec_lo, s18
	s_and_saveexec_b32 s17, s13
	s_cbranch_execz .LBB104_39
.LBB104_55:                             ;   in Loop: Header=BB104_3 Depth=1
	s_waitcnt vmcnt(0)
	v_cmp_u_f64_e64 s16, v[10:11], v[10:11]
	s_waitcnt lgkmcnt(0)
	v_cmp_eq_f64_e64 s13, s[30:31], v[10:11]
	v_cmp_gt_i32_e64 s15, s14, v56
	s_delay_alu instid0(VALU_DEP_3) | instskip(SKIP_1) | instid1(VALU_DEP_3)
	v_add_co_ci_u32_e64 v64, s16, 0, v64, s16
	v_cmp_gt_f64_e64 s16, s[30:31], v[10:11]
	s_and_b32 s13, s13, s15
	s_delay_alu instid0(SALU_CYCLE_1) | instskip(NEXT) | instid1(VALU_DEP_2)
	v_add_co_ci_u32_e64 v66, s13, 0, v66, s13
	v_add_co_ci_u32_e64 v65, s16, 0, v65, s16
	s_or_b32 exec_lo, exec_lo, s17
	s_and_saveexec_b32 s16, s12
	s_cbranch_execz .LBB104_40
.LBB104_56:                             ;   in Loop: Header=BB104_3 Depth=1
	s_waitcnt vmcnt(0)
	v_cmp_u_f64_e64 s15, v[12:13], v[12:13]
	s_waitcnt lgkmcnt(0)
	v_cmp_eq_f64_e64 s12, s[30:31], v[12:13]
	v_cmp_gt_i32_e64 s13, s14, v54
	s_delay_alu instid0(VALU_DEP_3) | instskip(SKIP_1) | instid1(VALU_DEP_3)
	v_add_co_ci_u32_e64 v64, s15, 0, v64, s15
	v_cmp_gt_f64_e64 s15, s[30:31], v[12:13]
	s_and_b32 s12, s12, s13
	s_delay_alu instid0(SALU_CYCLE_1) | instskip(NEXT) | instid1(VALU_DEP_2)
	v_add_co_ci_u32_e64 v66, s12, 0, v66, s12
	v_add_co_ci_u32_e64 v65, s15, 0, v65, s15
	s_or_b32 exec_lo, exec_lo, s16
	s_and_saveexec_b32 s15, s11
	s_cbranch_execz .LBB104_41
.LBB104_57:                             ;   in Loop: Header=BB104_3 Depth=1
	s_waitcnt vmcnt(0)
	v_cmp_u_f64_e64 s13, v[14:15], v[14:15]
	s_waitcnt lgkmcnt(0)
	v_cmp_eq_f64_e64 s11, s[30:31], v[14:15]
	v_cmp_gt_i32_e64 s12, s14, v52
	s_delay_alu instid0(VALU_DEP_3) | instskip(SKIP_1) | instid1(VALU_DEP_3)
	v_add_co_ci_u32_e64 v64, s13, 0, v64, s13
	v_cmp_gt_f64_e64 s13, s[30:31], v[14:15]
	s_and_b32 s11, s11, s12
	s_delay_alu instid0(SALU_CYCLE_1) | instskip(NEXT) | instid1(VALU_DEP_2)
	v_add_co_ci_u32_e64 v66, s11, 0, v66, s11
	v_add_co_ci_u32_e64 v65, s13, 0, v65, s13
	s_or_b32 exec_lo, exec_lo, s15
	s_and_saveexec_b32 s13, s10
	s_cbranch_execz .LBB104_42
.LBB104_58:                             ;   in Loop: Header=BB104_3 Depth=1
	s_waitcnt vmcnt(0)
	v_cmp_u_f64_e64 s12, v[16:17], v[16:17]
	s_waitcnt lgkmcnt(0)
	v_cmp_eq_f64_e64 s10, s[30:31], v[16:17]
	v_cmp_gt_i32_e64 s11, s14, v50
	s_delay_alu instid0(VALU_DEP_3) | instskip(SKIP_1) | instid1(VALU_DEP_3)
	v_add_co_ci_u32_e64 v64, s12, 0, v64, s12
	v_cmp_gt_f64_e64 s12, s[30:31], v[16:17]
	s_and_b32 s10, s10, s11
	s_delay_alu instid0(SALU_CYCLE_1) | instskip(NEXT) | instid1(VALU_DEP_2)
	v_add_co_ci_u32_e64 v66, s10, 0, v66, s10
	v_add_co_ci_u32_e64 v65, s12, 0, v65, s12
	s_or_b32 exec_lo, exec_lo, s13
	s_and_saveexec_b32 s12, s9
	s_cbranch_execz .LBB104_43
.LBB104_59:                             ;   in Loop: Header=BB104_3 Depth=1
	s_waitcnt vmcnt(0)
	v_cmp_u_f64_e64 s11, v[18:19], v[18:19]
	s_waitcnt lgkmcnt(0)
	v_cmp_eq_f64_e64 s9, s[30:31], v[18:19]
	v_cmp_gt_i32_e64 s10, s14, v48
	s_delay_alu instid0(VALU_DEP_3) | instskip(SKIP_1) | instid1(VALU_DEP_3)
	v_add_co_ci_u32_e64 v64, s11, 0, v64, s11
	v_cmp_gt_f64_e64 s11, s[30:31], v[18:19]
	s_and_b32 s9, s9, s10
	s_delay_alu instid0(SALU_CYCLE_1) | instskip(NEXT) | instid1(VALU_DEP_2)
	v_add_co_ci_u32_e64 v66, s9, 0, v66, s9
	v_add_co_ci_u32_e64 v65, s11, 0, v65, s11
	s_or_b32 exec_lo, exec_lo, s12
	s_and_saveexec_b32 s11, s8
	s_cbranch_execz .LBB104_44
.LBB104_60:                             ;   in Loop: Header=BB104_3 Depth=1
	s_waitcnt vmcnt(0)
	v_cmp_u_f64_e64 s10, v[20:21], v[20:21]
	s_waitcnt lgkmcnt(0)
	v_cmp_eq_f64_e64 s8, s[30:31], v[20:21]
	v_cmp_gt_i32_e64 s9, s14, v46
	s_delay_alu instid0(VALU_DEP_3) | instskip(SKIP_1) | instid1(VALU_DEP_3)
	v_add_co_ci_u32_e64 v64, s10, 0, v64, s10
	v_cmp_gt_f64_e64 s10, s[30:31], v[20:21]
	s_and_b32 s8, s8, s9
	s_delay_alu instid0(SALU_CYCLE_1) | instskip(NEXT) | instid1(VALU_DEP_2)
	v_add_co_ci_u32_e64 v66, s8, 0, v66, s8
	v_add_co_ci_u32_e64 v65, s10, 0, v65, s10
	s_or_b32 exec_lo, exec_lo, s11
	s_and_saveexec_b32 s10, s7
	s_cbranch_execz .LBB104_45
.LBB104_61:                             ;   in Loop: Header=BB104_3 Depth=1
	s_waitcnt vmcnt(0)
	v_cmp_u_f64_e64 s9, v[22:23], v[22:23]
	s_waitcnt lgkmcnt(0)
	v_cmp_eq_f64_e64 s7, s[30:31], v[22:23]
	v_cmp_gt_i32_e64 s8, s14, v44
	s_delay_alu instid0(VALU_DEP_3) | instskip(SKIP_1) | instid1(VALU_DEP_3)
	v_add_co_ci_u32_e64 v64, s9, 0, v64, s9
	v_cmp_gt_f64_e64 s9, s[30:31], v[22:23]
	s_and_b32 s7, s7, s8
	s_delay_alu instid0(SALU_CYCLE_1) | instskip(NEXT) | instid1(VALU_DEP_2)
	v_add_co_ci_u32_e64 v66, s7, 0, v66, s7
	v_add_co_ci_u32_e64 v65, s9, 0, v65, s9
	s_or_b32 exec_lo, exec_lo, s10
	s_and_saveexec_b32 s9, s6
	s_cbranch_execz .LBB104_46
.LBB104_62:                             ;   in Loop: Header=BB104_3 Depth=1
	s_waitcnt vmcnt(0)
	v_cmp_u_f64_e64 s8, v[24:25], v[24:25]
	s_waitcnt lgkmcnt(0)
	v_cmp_eq_f64_e64 s6, s[30:31], v[24:25]
	v_cmp_gt_i32_e64 s7, s14, v42
	s_delay_alu instid0(VALU_DEP_3) | instskip(SKIP_1) | instid1(VALU_DEP_3)
	v_add_co_ci_u32_e64 v64, s8, 0, v64, s8
	v_cmp_gt_f64_e64 s8, s[30:31], v[24:25]
	s_and_b32 s6, s6, s7
	s_delay_alu instid0(SALU_CYCLE_1) | instskip(NEXT) | instid1(VALU_DEP_2)
	v_add_co_ci_u32_e64 v66, s6, 0, v66, s6
	v_add_co_ci_u32_e64 v65, s8, 0, v65, s8
	s_or_b32 exec_lo, exec_lo, s9
	s_and_saveexec_b32 s8, s5
	s_cbranch_execz .LBB104_47
.LBB104_63:                             ;   in Loop: Header=BB104_3 Depth=1
	s_waitcnt vmcnt(0)
	v_cmp_u_f64_e64 s7, v[26:27], v[26:27]
	s_waitcnt lgkmcnt(0)
	v_cmp_eq_f64_e64 s5, s[30:31], v[26:27]
	v_cmp_gt_i32_e64 s6, s14, v40
	s_delay_alu instid0(VALU_DEP_3) | instskip(SKIP_1) | instid1(VALU_DEP_3)
	v_add_co_ci_u32_e64 v64, s7, 0, v64, s7
	v_cmp_gt_f64_e64 s7, s[30:31], v[26:27]
	s_and_b32 s5, s5, s6
	s_delay_alu instid0(SALU_CYCLE_1) | instskip(NEXT) | instid1(VALU_DEP_2)
	v_add_co_ci_u32_e64 v66, s5, 0, v66, s5
	v_add_co_ci_u32_e64 v65, s7, 0, v65, s7
	s_or_b32 exec_lo, exec_lo, s8
	s_and_saveexec_b32 s7, s4
	s_cbranch_execz .LBB104_48
.LBB104_64:                             ;   in Loop: Header=BB104_3 Depth=1
	s_waitcnt vmcnt(0)
	v_cmp_u_f64_e64 s6, v[28:29], v[28:29]
	s_waitcnt lgkmcnt(0)
	v_cmp_eq_f64_e64 s4, s[30:31], v[28:29]
	v_cmp_gt_i32_e64 s5, s14, v38
	s_delay_alu instid0(VALU_DEP_3) | instskip(SKIP_1) | instid1(VALU_DEP_3)
	v_add_co_ci_u32_e64 v64, s6, 0, v64, s6
	v_cmp_gt_f64_e64 s6, s[30:31], v[28:29]
	s_and_b32 s4, s4, s5
	s_delay_alu instid0(SALU_CYCLE_1) | instskip(NEXT) | instid1(VALU_DEP_2)
	v_add_co_ci_u32_e64 v66, s4, 0, v66, s4
	v_add_co_ci_u32_e64 v65, s6, 0, v65, s6
	s_or_b32 exec_lo, exec_lo, s7
	s_and_saveexec_b32 s6, s3
	s_cbranch_execz .LBB104_49
.LBB104_65:                             ;   in Loop: Header=BB104_3 Depth=1
	s_waitcnt vmcnt(0)
	v_cmp_u_f64_e64 s5, v[30:31], v[30:31]
	s_waitcnt lgkmcnt(0)
	v_cmp_eq_f64_e64 s3, s[30:31], v[30:31]
	v_cmp_gt_i32_e64 s4, s14, v36
	s_delay_alu instid0(VALU_DEP_3) | instskip(SKIP_1) | instid1(VALU_DEP_3)
	v_add_co_ci_u32_e64 v64, s5, 0, v64, s5
	v_cmp_gt_f64_e64 s5, s[30:31], v[30:31]
	s_and_b32 s3, s3, s4
	s_delay_alu instid0(SALU_CYCLE_1) | instskip(NEXT) | instid1(VALU_DEP_2)
	v_add_co_ci_u32_e64 v66, s3, 0, v66, s3
	v_add_co_ci_u32_e64 v65, s5, 0, v65, s5
	s_or_b32 exec_lo, exec_lo, s6
	s_and_saveexec_b32 s5, vcc_lo
	s_cbranch_execz .LBB104_2
.LBB104_66:                             ;   in Loop: Header=BB104_3 Depth=1
	s_waitcnt vmcnt(0)
	v_cmp_u_f64_e64 s4, v[32:33], v[32:33]
	s_waitcnt lgkmcnt(0)
	v_cmp_eq_f64_e32 vcc_lo, s[30:31], v[32:33]
	v_cmp_gt_i32_e64 s3, s14, v34
	s_delay_alu instid0(VALU_DEP_3) | instskip(SKIP_1) | instid1(VALU_DEP_3)
	v_add_co_ci_u32_e64 v64, s4, 0, v64, s4
	v_cmp_gt_f64_e64 s4, s[30:31], v[32:33]
	s_and_b32 vcc_lo, vcc_lo, s3
	v_add_co_ci_u32_e32 v66, vcc_lo, 0, v66, vcc_lo
	s_delay_alu instid0(VALU_DEP_2)
	v_add_co_ci_u32_e64 v65, s4, 0, v65, s4
	s_branch .LBB104_2
.LBB104_67:
                                        ; implicit-def: $vgpr2_vgpr3_vgpr4_vgpr5_vgpr6_vgpr7_vgpr8_vgpr9_vgpr10_vgpr11_vgpr12_vgpr13_vgpr14_vgpr15_vgpr16_vgpr17_vgpr18_vgpr19_vgpr20_vgpr21_vgpr22_vgpr23_vgpr24_vgpr25_vgpr26_vgpr27_vgpr28_vgpr29_vgpr30_vgpr31_vgpr32_vgpr33
	v_lshlrev_b32_e32 v34, 2, v0
	s_cmp_lt_u32 s21, 2
	ds_store_b32 v34, v1
	s_cbranch_scc0 .LBB104_69
	s_branch .LBB104_73
.LBB104_68:
	v_add_nc_u32_e32 v1, v65, v66
	v_cmp_eq_u32_e64 s3, 0, v64
	v_lshlrev_b32_e32 v34, 2, v0
	s_cmp_lt_u32 s21, 2
	ds_store_b32 v34, v1
	s_cbranch_scc1 .LBB104_73
.LBB104_69:
	s_mov_b32 s4, s21
	s_branch .LBB104_71
	.p2align	6
.LBB104_70:                             ;   in Loop: Header=BB104_71 Depth=1
	s_or_b32 exec_lo, exec_lo, s6
	s_cmp_lt_u32 s4, 4
	s_mov_b32 s4, s5
	s_cbranch_scc1 .LBB104_73
.LBB104_71:                             ; =>This Inner Loop Header: Depth=1
	s_lshr_b32 s5, s4, 1
	s_mov_b32 s6, exec_lo
	s_waitcnt vmcnt(0) lgkmcnt(0)
	s_barrier
	buffer_gl0_inv
	v_cmpx_gt_u32_e64 s5, v0
	s_cbranch_execz .LBB104_70
; %bb.72:                               ;   in Loop: Header=BB104_71 Depth=1
	v_lshl_add_u32 v35, s5, 2, v34
	ds_load_b32 v35, v35
	s_waitcnt lgkmcnt(0)
	v_add_nc_u32_e32 v1, v35, v1
	ds_store_b32 v34, v1
	s_branch .LBB104_70
.LBB104_73:
	v_mov_b32_e32 v1, 0
	s_waitcnt vmcnt(0) lgkmcnt(0)
	s_barrier
	buffer_gl0_inv
	s_mul_i32 s4, s2, s27
	ds_load_b32 v34, v1
	s_mul_hi_u32 s5, s2, s26
	s_mul_i32 s6, s46, s26
	s_add_i32 s5, s5, s4
	s_mul_i32 s4, s2, s26
	s_add_i32 s5, s5, s6
	s_delay_alu instid0(SALU_CYCLE_1)
	s_lshl_b64 s[6:7], s[4:5], 3
	s_xor_b32 s5, s3, -1
	s_add_u32 s3, s24, s6
	s_addc_u32 s4, s25, s7
	s_mov_b32 s6, exec_lo
	s_waitcnt lgkmcnt(0)
	v_readfirstlane_b32 s12, v34
	v_cmpx_eq_u32_e32 0, v0
	s_cbranch_execnz .LBB104_76
; %bb.74:
	s_or_b32 exec_lo, exec_lo, s6
	s_and_saveexec_b32 s6, s5
	s_cbranch_execnz .LBB104_77
.LBB104_75:
	s_or_b32 exec_lo, exec_lo, s6
	s_delay_alu instid0(SALU_CYCLE_1)
	s_and_not1_b32 vcc_lo, exec_lo, s48
	s_cbranch_vccz .LBB104_78
	s_branch .LBB104_144
.LBB104_76:
	s_delay_alu instid0(VALU_DEP_2) | instskip(SKIP_2) | instid1(SALU_CYCLE_1)
	s_ashr_i32 s13, s12, 31
	v_dual_mov_b32 v35, s31 :: v_dual_mov_b32 v34, s30
	s_lshl_b64 s[8:9], s[12:13], 3
	s_add_u32 s8, s3, s8
	s_addc_u32 s9, s4, s9
	global_store_b64 v1, v[34:35], s[8:9]
	s_or_b32 exec_lo, exec_lo, s6
	s_and_saveexec_b32 s6, s5
	s_cbranch_execz .LBB104_75
.LBB104_77:
	v_dual_mov_b32 v34, 0 :: v_dual_mov_b32 v35, 0x7ff80000
	s_add_u32 s8, s3, s28
	s_addc_u32 s9, s4, s29
	global_store_b64 v34, v[34:35], s[8:9]
	s_or_b32 exec_lo, exec_lo, s6
	s_delay_alu instid0(SALU_CYCLE_1)
	s_and_not1_b32 vcc_lo, exec_lo, s48
	s_cbranch_vccnz .LBB104_144
.LBB104_78:
	s_clause 0x1
	s_load_b64 s[16:17], s[0:1], 0x30
	s_load_b256 s[4:11], s[0:1], 0x38
	s_waitcnt lgkmcnt(0)
	s_ashr_i32 s1, s16, 31
	s_mul_i32 s3, s2, s5
	s_mul_hi_u32 s5, s2, s4
	s_mul_i32 s13, s46, s4
	s_add_i32 s3, s5, s3
	s_mul_i32 s4, s2, s4
	s_add_i32 s5, s3, s13
	s_mov_b32 s0, s16
	s_lshl_b64 s[4:5], s[4:5], 3
	s_mul_i32 s3, s2, s11
	s_add_u32 s4, s22, s4
	s_addc_u32 s5, s23, s5
	s_lshl_b64 s[0:1], s[0:1], 3
	s_mul_hi_u32 s11, s2, s10
	s_add_u32 s4, s4, s0
	s_mul_i32 s13, s46, s10
	s_addc_u32 s5, s5, s1
	s_add_i32 s1, s11, s3
	s_mul_i32 s0, s2, s10
	s_add_i32 s1, s1, s13
	s_mov_b32 s2, s8
	s_lshl_b64 s[0:1], s[0:1], 3
	s_ashr_i32 s3, s8, 31
	s_add_u32 s6, s6, s0
	s_addc_u32 s7, s7, s1
	s_lshl_b64 s[0:1], s[2:3], 3
	s_mul_i32 s2, s14, s17
	s_add_u32 s6, s6, s0
	s_addc_u32 s7, s7, s1
	s_ashr_i32 s3, s2, 31
	s_delay_alu instid0(SALU_CYCLE_1) | instskip(SKIP_4) | instid1(SALU_CYCLE_1)
	s_lshl_b64 s[0:1], s[2:3], 3
	s_mul_i32 s2, s12, s9
	s_add_u32 s16, s4, s0
	s_addc_u32 s17, s5, s1
	s_ashr_i32 s3, s2, 31
	s_lshl_b64 s[0:1], s[2:3], 3
	s_delay_alu instid0(SALU_CYCLE_1)
	s_add_u32 s18, s6, s0
	s_addc_u32 s19, s7, s1
	s_add_i32 s20, s47, 1
	s_lshl_b32 s22, s21, 1
	s_lshl_b32 s23, s21, 2
	;; [unrolled: 1-line block ×3, first 2 shown]
	s_branch .LBB104_80
.LBB104_79:                             ;   in Loop: Header=BB104_80 Depth=1
	s_or_b32 exec_lo, exec_lo, s0
	v_add_nc_u32_e32 v0, s33, v0
	s_add_i32 s20, s20, -1
	s_delay_alu instid0(SALU_CYCLE_1)
	s_cmp_eq_u32 s20, 0
	s_cbranch_scc1 .LBB104_144
.LBB104_80:                             ; =>This Inner Loop Header: Depth=1
	s_delay_alu instid0(VALU_DEP_1)
	v_cmp_gt_i32_e32 vcc_lo, s34, v0
	v_ashrrev_i32_e32 v1, 31, v0
	s_and_saveexec_b32 s1, vcc_lo
	s_cbranch_execz .LBB104_82
; %bb.81:                               ;   in Loop: Header=BB104_80 Depth=1
	s_waitcnt vmcnt(0)
	s_delay_alu instid0(VALU_DEP_1) | instskip(NEXT) | instid1(VALU_DEP_1)
	v_lshlrev_b64 v[2:3], 3, v[0:1]
	v_add_co_u32 v2, s0, s16, v2
	s_delay_alu instid0(VALU_DEP_1)
	v_add_co_ci_u32_e64 v3, s0, s17, v3, s0
	global_load_b64 v[2:3], v[2:3], off
.LBB104_82:                             ;   in Loop: Header=BB104_80 Depth=1
	s_or_b32 exec_lo, exec_lo, s1
	v_add_nc_u32_e32 v34, s21, v0
	s_delay_alu instid0(VALU_DEP_1) | instskip(SKIP_1) | instid1(VALU_DEP_2)
	v_cmp_gt_i32_e64 s0, s34, v34
	v_ashrrev_i32_e32 v35, 31, v34
	s_and_saveexec_b32 s2, s0
	s_cbranch_execz .LBB104_84
; %bb.83:                               ;   in Loop: Header=BB104_80 Depth=1
	s_waitcnt vmcnt(0)
	s_delay_alu instid0(VALU_DEP_1) | instskip(NEXT) | instid1(VALU_DEP_1)
	v_lshlrev_b64 v[4:5], 3, v[34:35]
	v_add_co_u32 v4, s1, s16, v4
	s_delay_alu instid0(VALU_DEP_1)
	v_add_co_ci_u32_e64 v5, s1, s17, v5, s1
	global_load_b64 v[4:5], v[4:5], off
.LBB104_84:                             ;   in Loop: Header=BB104_80 Depth=1
	s_or_b32 exec_lo, exec_lo, s2
	v_add_nc_u32_e32 v38, s21, v34
	v_add_nc_u32_e32 v36, s22, v0
	s_delay_alu instid0(VALU_DEP_2) | instskip(NEXT) | instid1(VALU_DEP_2)
	v_cmp_gt_i32_e64 s1, s34, v38
	v_ashrrev_i32_e32 v37, 31, v36
	s_delay_alu instid0(VALU_DEP_2)
	s_and_saveexec_b32 s3, s1
	s_cbranch_execz .LBB104_86
; %bb.85:                               ;   in Loop: Header=BB104_80 Depth=1
	s_waitcnt vmcnt(0)
	s_delay_alu instid0(VALU_DEP_1) | instskip(NEXT) | instid1(VALU_DEP_1)
	v_lshlrev_b64 v[6:7], 3, v[36:37]
	v_add_co_u32 v6, s2, s16, v6
	s_delay_alu instid0(VALU_DEP_1)
	v_add_co_ci_u32_e64 v7, s2, s17, v7, s2
	global_load_b64 v[6:7], v[6:7], off
.LBB104_86:                             ;   in Loop: Header=BB104_80 Depth=1
	s_or_b32 exec_lo, exec_lo, s3
	v_add_nc_u32_e32 v40, s21, v38
	v_add_nc_u32_e32 v38, s35, v0
	s_delay_alu instid0(VALU_DEP_2) | instskip(NEXT) | instid1(VALU_DEP_2)
	v_cmp_gt_i32_e64 s2, s34, v40
	v_ashrrev_i32_e32 v39, 31, v38
	s_delay_alu instid0(VALU_DEP_2)
	;; [unrolled: 18-line block ×8, first 2 shown]
	s_and_saveexec_b32 s10, s8
	s_cbranch_execz .LBB104_100
; %bb.99:                               ;   in Loop: Header=BB104_80 Depth=1
	s_waitcnt vmcnt(0)
	s_delay_alu instid0(VALU_DEP_1) | instskip(NEXT) | instid1(VALU_DEP_1)
	v_lshlrev_b64 v[20:21], 3, v[50:51]
	v_add_co_u32 v20, s9, s16, v20
	s_delay_alu instid0(VALU_DEP_1)
	v_add_co_ci_u32_e64 v21, s9, s17, v21, s9
	global_load_b64 v[20:21], v[20:21], off
.LBB104_100:                            ;   in Loop: Header=BB104_80 Depth=1
	s_or_b32 exec_lo, exec_lo, s10
	v_add_nc_u32_e32 v54, s21, v52
	v_add_nc_u32_e32 v52, s40, v0
	s_delay_alu instid0(VALU_DEP_2) | instskip(NEXT) | instid1(VALU_DEP_2)
	v_cmp_gt_i32_e64 s9, s34, v54
	v_ashrrev_i32_e32 v53, 31, v52
	s_delay_alu instid0(VALU_DEP_2)
	s_and_saveexec_b32 s11, s9
	s_cbranch_execz .LBB104_102
; %bb.101:                              ;   in Loop: Header=BB104_80 Depth=1
	s_waitcnt vmcnt(0)
	s_delay_alu instid0(VALU_DEP_1) | instskip(NEXT) | instid1(VALU_DEP_1)
	v_lshlrev_b64 v[22:23], 3, v[52:53]
	v_add_co_u32 v22, s10, s16, v22
	s_delay_alu instid0(VALU_DEP_1)
	v_add_co_ci_u32_e64 v23, s10, s17, v23, s10
	global_load_b64 v[22:23], v[22:23], off
.LBB104_102:                            ;   in Loop: Header=BB104_80 Depth=1
	s_or_b32 exec_lo, exec_lo, s11
	v_add_nc_u32_e32 v56, s21, v54
	v_add_nc_u32_e32 v54, s41, v0
	s_delay_alu instid0(VALU_DEP_2) | instskip(NEXT) | instid1(VALU_DEP_2)
	v_cmp_gt_i32_e64 s10, s34, v56
	v_ashrrev_i32_e32 v55, 31, v54
	s_delay_alu instid0(VALU_DEP_2)
	s_and_saveexec_b32 s12, s10
	s_cbranch_execz .LBB104_104
; %bb.103:                              ;   in Loop: Header=BB104_80 Depth=1
	s_waitcnt vmcnt(0)
	s_delay_alu instid0(VALU_DEP_1) | instskip(NEXT) | instid1(VALU_DEP_1)
	v_lshlrev_b64 v[24:25], 3, v[54:55]
	v_add_co_u32 v24, s11, s16, v24
	s_delay_alu instid0(VALU_DEP_1)
	v_add_co_ci_u32_e64 v25, s11, s17, v25, s11
	global_load_b64 v[24:25], v[24:25], off
.LBB104_104:                            ;   in Loop: Header=BB104_80 Depth=1
	;; [unrolled: 18-line block ×5, first 2 shown]
	s_or_b32 exec_lo, exec_lo, s15
	v_add_nc_u32_e32 v63, s21, v62
	v_add_nc_u32_e32 v62, s45, v0
	s_delay_alu instid0(VALU_DEP_2) | instskip(NEXT) | instid1(VALU_DEP_2)
	v_cmp_gt_i32_e64 s14, s34, v63
	v_ashrrev_i32_e32 v63, 31, v62
	s_delay_alu instid0(VALU_DEP_2)
	s_and_saveexec_b32 s25, s14
	s_cbranch_execnz .LBB104_127
; %bb.111:                              ;   in Loop: Header=BB104_80 Depth=1
	s_or_b32 exec_lo, exec_lo, s25
	s_and_saveexec_b32 s15, vcc_lo
	s_cbranch_execnz .LBB104_128
.LBB104_112:                            ;   in Loop: Header=BB104_80 Depth=1
	s_or_b32 exec_lo, exec_lo, s15
	s_and_saveexec_b32 s15, s0
	s_cbranch_execnz .LBB104_129
.LBB104_113:                            ;   in Loop: Header=BB104_80 Depth=1
	s_or_b32 exec_lo, exec_lo, s15
	s_and_saveexec_b32 s0, s1
	s_cbranch_execnz .LBB104_130
.LBB104_114:                            ;   in Loop: Header=BB104_80 Depth=1
	s_or_b32 exec_lo, exec_lo, s0
	s_and_saveexec_b32 s0, s2
	s_cbranch_execnz .LBB104_131
.LBB104_115:                            ;   in Loop: Header=BB104_80 Depth=1
	s_or_b32 exec_lo, exec_lo, s0
	s_and_saveexec_b32 s0, s3
	s_cbranch_execnz .LBB104_132
.LBB104_116:                            ;   in Loop: Header=BB104_80 Depth=1
	s_or_b32 exec_lo, exec_lo, s0
	s_and_saveexec_b32 s0, s4
	s_cbranch_execnz .LBB104_133
.LBB104_117:                            ;   in Loop: Header=BB104_80 Depth=1
	s_or_b32 exec_lo, exec_lo, s0
	s_and_saveexec_b32 s0, s5
	s_cbranch_execnz .LBB104_134
.LBB104_118:                            ;   in Loop: Header=BB104_80 Depth=1
	s_or_b32 exec_lo, exec_lo, s0
	s_and_saveexec_b32 s0, s6
	s_cbranch_execnz .LBB104_135
.LBB104_119:                            ;   in Loop: Header=BB104_80 Depth=1
	s_or_b32 exec_lo, exec_lo, s0
	s_and_saveexec_b32 s0, s7
	s_cbranch_execnz .LBB104_136
.LBB104_120:                            ;   in Loop: Header=BB104_80 Depth=1
	s_or_b32 exec_lo, exec_lo, s0
	s_and_saveexec_b32 s0, s8
	s_cbranch_execnz .LBB104_137
.LBB104_121:                            ;   in Loop: Header=BB104_80 Depth=1
	s_or_b32 exec_lo, exec_lo, s0
	s_and_saveexec_b32 s0, s9
	s_cbranch_execnz .LBB104_138
.LBB104_122:                            ;   in Loop: Header=BB104_80 Depth=1
	s_or_b32 exec_lo, exec_lo, s0
	s_and_saveexec_b32 s0, s10
	s_cbranch_execnz .LBB104_139
.LBB104_123:                            ;   in Loop: Header=BB104_80 Depth=1
	s_or_b32 exec_lo, exec_lo, s0
	s_and_saveexec_b32 s0, s11
	s_cbranch_execnz .LBB104_140
.LBB104_124:                            ;   in Loop: Header=BB104_80 Depth=1
	s_or_b32 exec_lo, exec_lo, s0
	s_and_saveexec_b32 s0, s12
	s_cbranch_execnz .LBB104_141
.LBB104_125:                            ;   in Loop: Header=BB104_80 Depth=1
	s_or_b32 exec_lo, exec_lo, s0
	s_and_saveexec_b32 s0, s13
	s_cbranch_execnz .LBB104_142
.LBB104_126:                            ;   in Loop: Header=BB104_80 Depth=1
	s_or_b32 exec_lo, exec_lo, s0
	s_and_saveexec_b32 s0, s14
	s_cbranch_execz .LBB104_79
	s_branch .LBB104_143
.LBB104_127:                            ;   in Loop: Header=BB104_80 Depth=1
	s_waitcnt vmcnt(0)
	s_delay_alu instid0(VALU_DEP_1) | instskip(NEXT) | instid1(VALU_DEP_1)
	v_lshlrev_b64 v[32:33], 3, v[62:63]
	v_add_co_u32 v32, s15, s16, v32
	s_delay_alu instid0(VALU_DEP_1)
	v_add_co_ci_u32_e64 v33, s15, s17, v33, s15
	global_load_b64 v[32:33], v[32:33], off
	s_or_b32 exec_lo, exec_lo, s25
	s_and_saveexec_b32 s15, vcc_lo
	s_cbranch_execz .LBB104_112
.LBB104_128:                            ;   in Loop: Header=BB104_80 Depth=1
	v_lshlrev_b64 v[64:65], 3, v[0:1]
	s_delay_alu instid0(VALU_DEP_1) | instskip(NEXT) | instid1(VALU_DEP_2)
	v_add_co_u32 v64, vcc_lo, s18, v64
	v_add_co_ci_u32_e32 v65, vcc_lo, s19, v65, vcc_lo
	s_waitcnt vmcnt(0)
	global_store_b64 v[64:65], v[2:3], off
	s_or_b32 exec_lo, exec_lo, s15
	s_and_saveexec_b32 s15, s0
	s_cbranch_execz .LBB104_113
.LBB104_129:                            ;   in Loop: Header=BB104_80 Depth=1
	v_lshlrev_b64 v[34:35], 3, v[34:35]
	s_delay_alu instid0(VALU_DEP_1) | instskip(NEXT) | instid1(VALU_DEP_2)
	v_add_co_u32 v34, vcc_lo, s18, v34
	v_add_co_ci_u32_e32 v35, vcc_lo, s19, v35, vcc_lo
	s_waitcnt vmcnt(0)
	global_store_b64 v[34:35], v[4:5], off
	s_or_b32 exec_lo, exec_lo, s15
	s_and_saveexec_b32 s0, s1
	s_cbranch_execz .LBB104_114
.LBB104_130:                            ;   in Loop: Header=BB104_80 Depth=1
	v_lshlrev_b64 v[34:35], 3, v[36:37]
	s_delay_alu instid0(VALU_DEP_1) | instskip(NEXT) | instid1(VALU_DEP_2)
	v_add_co_u32 v34, vcc_lo, s18, v34
	v_add_co_ci_u32_e32 v35, vcc_lo, s19, v35, vcc_lo
	s_waitcnt vmcnt(0)
	global_store_b64 v[34:35], v[6:7], off
	s_or_b32 exec_lo, exec_lo, s0
	s_and_saveexec_b32 s0, s2
	s_cbranch_execz .LBB104_115
.LBB104_131:                            ;   in Loop: Header=BB104_80 Depth=1
	v_lshlrev_b64 v[34:35], 3, v[38:39]
	s_delay_alu instid0(VALU_DEP_1) | instskip(NEXT) | instid1(VALU_DEP_2)
	v_add_co_u32 v34, vcc_lo, s18, v34
	v_add_co_ci_u32_e32 v35, vcc_lo, s19, v35, vcc_lo
	s_waitcnt vmcnt(0)
	global_store_b64 v[34:35], v[8:9], off
	s_or_b32 exec_lo, exec_lo, s0
	s_and_saveexec_b32 s0, s3
	s_cbranch_execz .LBB104_116
.LBB104_132:                            ;   in Loop: Header=BB104_80 Depth=1
	v_lshlrev_b64 v[34:35], 3, v[40:41]
	s_delay_alu instid0(VALU_DEP_1) | instskip(NEXT) | instid1(VALU_DEP_2)
	v_add_co_u32 v34, vcc_lo, s18, v34
	v_add_co_ci_u32_e32 v35, vcc_lo, s19, v35, vcc_lo
	s_waitcnt vmcnt(0)
	global_store_b64 v[34:35], v[10:11], off
	s_or_b32 exec_lo, exec_lo, s0
	s_and_saveexec_b32 s0, s4
	s_cbranch_execz .LBB104_117
.LBB104_133:                            ;   in Loop: Header=BB104_80 Depth=1
	v_lshlrev_b64 v[34:35], 3, v[42:43]
	s_delay_alu instid0(VALU_DEP_1) | instskip(NEXT) | instid1(VALU_DEP_2)
	v_add_co_u32 v34, vcc_lo, s18, v34
	v_add_co_ci_u32_e32 v35, vcc_lo, s19, v35, vcc_lo
	s_waitcnt vmcnt(0)
	global_store_b64 v[34:35], v[12:13], off
	s_or_b32 exec_lo, exec_lo, s0
	s_and_saveexec_b32 s0, s5
	s_cbranch_execz .LBB104_118
.LBB104_134:                            ;   in Loop: Header=BB104_80 Depth=1
	v_lshlrev_b64 v[34:35], 3, v[44:45]
	s_delay_alu instid0(VALU_DEP_1) | instskip(NEXT) | instid1(VALU_DEP_2)
	v_add_co_u32 v34, vcc_lo, s18, v34
	v_add_co_ci_u32_e32 v35, vcc_lo, s19, v35, vcc_lo
	s_waitcnt vmcnt(0)
	global_store_b64 v[34:35], v[14:15], off
	s_or_b32 exec_lo, exec_lo, s0
	s_and_saveexec_b32 s0, s6
	s_cbranch_execz .LBB104_119
.LBB104_135:                            ;   in Loop: Header=BB104_80 Depth=1
	v_lshlrev_b64 v[34:35], 3, v[46:47]
	s_delay_alu instid0(VALU_DEP_1) | instskip(NEXT) | instid1(VALU_DEP_2)
	v_add_co_u32 v34, vcc_lo, s18, v34
	v_add_co_ci_u32_e32 v35, vcc_lo, s19, v35, vcc_lo
	s_waitcnt vmcnt(0)
	global_store_b64 v[34:35], v[16:17], off
	s_or_b32 exec_lo, exec_lo, s0
	s_and_saveexec_b32 s0, s7
	s_cbranch_execz .LBB104_120
.LBB104_136:                            ;   in Loop: Header=BB104_80 Depth=1
	v_lshlrev_b64 v[34:35], 3, v[48:49]
	s_delay_alu instid0(VALU_DEP_1) | instskip(NEXT) | instid1(VALU_DEP_2)
	v_add_co_u32 v34, vcc_lo, s18, v34
	v_add_co_ci_u32_e32 v35, vcc_lo, s19, v35, vcc_lo
	s_waitcnt vmcnt(0)
	global_store_b64 v[34:35], v[18:19], off
	s_or_b32 exec_lo, exec_lo, s0
	s_and_saveexec_b32 s0, s8
	s_cbranch_execz .LBB104_121
.LBB104_137:                            ;   in Loop: Header=BB104_80 Depth=1
	v_lshlrev_b64 v[34:35], 3, v[50:51]
	s_delay_alu instid0(VALU_DEP_1) | instskip(NEXT) | instid1(VALU_DEP_2)
	v_add_co_u32 v34, vcc_lo, s18, v34
	v_add_co_ci_u32_e32 v35, vcc_lo, s19, v35, vcc_lo
	s_waitcnt vmcnt(0)
	global_store_b64 v[34:35], v[20:21], off
	s_or_b32 exec_lo, exec_lo, s0
	s_and_saveexec_b32 s0, s9
	s_cbranch_execz .LBB104_122
.LBB104_138:                            ;   in Loop: Header=BB104_80 Depth=1
	v_lshlrev_b64 v[34:35], 3, v[52:53]
	s_delay_alu instid0(VALU_DEP_1) | instskip(NEXT) | instid1(VALU_DEP_2)
	v_add_co_u32 v34, vcc_lo, s18, v34
	v_add_co_ci_u32_e32 v35, vcc_lo, s19, v35, vcc_lo
	s_waitcnt vmcnt(0)
	global_store_b64 v[34:35], v[22:23], off
	s_or_b32 exec_lo, exec_lo, s0
	s_and_saveexec_b32 s0, s10
	s_cbranch_execz .LBB104_123
.LBB104_139:                            ;   in Loop: Header=BB104_80 Depth=1
	v_lshlrev_b64 v[34:35], 3, v[54:55]
	s_delay_alu instid0(VALU_DEP_1) | instskip(NEXT) | instid1(VALU_DEP_2)
	v_add_co_u32 v34, vcc_lo, s18, v34
	v_add_co_ci_u32_e32 v35, vcc_lo, s19, v35, vcc_lo
	s_waitcnt vmcnt(0)
	global_store_b64 v[34:35], v[24:25], off
	s_or_b32 exec_lo, exec_lo, s0
	s_and_saveexec_b32 s0, s11
	s_cbranch_execz .LBB104_124
.LBB104_140:                            ;   in Loop: Header=BB104_80 Depth=1
	v_lshlrev_b64 v[34:35], 3, v[56:57]
	s_delay_alu instid0(VALU_DEP_1) | instskip(NEXT) | instid1(VALU_DEP_2)
	v_add_co_u32 v34, vcc_lo, s18, v34
	v_add_co_ci_u32_e32 v35, vcc_lo, s19, v35, vcc_lo
	s_waitcnt vmcnt(0)
	global_store_b64 v[34:35], v[26:27], off
	s_or_b32 exec_lo, exec_lo, s0
	s_and_saveexec_b32 s0, s12
	s_cbranch_execz .LBB104_125
.LBB104_141:                            ;   in Loop: Header=BB104_80 Depth=1
	v_lshlrev_b64 v[34:35], 3, v[58:59]
	s_delay_alu instid0(VALU_DEP_1) | instskip(NEXT) | instid1(VALU_DEP_2)
	v_add_co_u32 v34, vcc_lo, s18, v34
	v_add_co_ci_u32_e32 v35, vcc_lo, s19, v35, vcc_lo
	s_waitcnt vmcnt(0)
	global_store_b64 v[34:35], v[28:29], off
	s_or_b32 exec_lo, exec_lo, s0
	s_and_saveexec_b32 s0, s13
	s_cbranch_execz .LBB104_126
.LBB104_142:                            ;   in Loop: Header=BB104_80 Depth=1
	v_lshlrev_b64 v[34:35], 3, v[60:61]
	s_delay_alu instid0(VALU_DEP_1) | instskip(NEXT) | instid1(VALU_DEP_2)
	v_add_co_u32 v34, vcc_lo, s18, v34
	v_add_co_ci_u32_e32 v35, vcc_lo, s19, v35, vcc_lo
	s_waitcnt vmcnt(0)
	global_store_b64 v[34:35], v[30:31], off
	s_or_b32 exec_lo, exec_lo, s0
	s_and_saveexec_b32 s0, s14
	s_cbranch_execz .LBB104_79
.LBB104_143:                            ;   in Loop: Header=BB104_80 Depth=1
	v_lshlrev_b64 v[34:35], 3, v[62:63]
	s_delay_alu instid0(VALU_DEP_1) | instskip(NEXT) | instid1(VALU_DEP_2)
	v_add_co_u32 v34, vcc_lo, s18, v34
	v_add_co_ci_u32_e32 v35, vcc_lo, s19, v35, vcc_lo
	s_waitcnt vmcnt(0)
	global_store_b64 v[34:35], v[32:33], off
	s_branch .LBB104_79
.LBB104_144:
	s_nop 0
	s_sendmsg sendmsg(MSG_DEALLOC_VGPRS)
	s_endpgm
	.section	.rodata,"a",@progbits
	.p2align	6, 0x0
	.amdhsa_kernel _ZN9rocsolver6v33100L10stedc_sortIddPdS2_EEviPT0_lS4_lT1_iilT2_iil
		.amdhsa_group_segment_fixed_size 2048
		.amdhsa_private_segment_fixed_size 0
		.amdhsa_kernarg_size 344
		.amdhsa_user_sgpr_count 14
		.amdhsa_user_sgpr_dispatch_ptr 0
		.amdhsa_user_sgpr_queue_ptr 0
		.amdhsa_user_sgpr_kernarg_segment_ptr 1
		.amdhsa_user_sgpr_dispatch_id 0
		.amdhsa_user_sgpr_private_segment_size 0
		.amdhsa_wavefront_size32 1
		.amdhsa_uses_dynamic_stack 0
		.amdhsa_enable_private_segment 0
		.amdhsa_system_sgpr_workgroup_id_x 1
		.amdhsa_system_sgpr_workgroup_id_y 1
		.amdhsa_system_sgpr_workgroup_id_z 0
		.amdhsa_system_sgpr_workgroup_info 0
		.amdhsa_system_vgpr_workitem_id 0
		.amdhsa_next_free_vgpr 67
		.amdhsa_next_free_sgpr 56
		.amdhsa_reserve_vcc 1
		.amdhsa_float_round_mode_32 0
		.amdhsa_float_round_mode_16_64 0
		.amdhsa_float_denorm_mode_32 3
		.amdhsa_float_denorm_mode_16_64 3
		.amdhsa_dx10_clamp 1
		.amdhsa_ieee_mode 1
		.amdhsa_fp16_overflow 0
		.amdhsa_workgroup_processor_mode 1
		.amdhsa_memory_ordered 1
		.amdhsa_forward_progress 0
		.amdhsa_shared_vgpr_count 0
		.amdhsa_exception_fp_ieee_invalid_op 0
		.amdhsa_exception_fp_denorm_src 0
		.amdhsa_exception_fp_ieee_div_zero 0
		.amdhsa_exception_fp_ieee_overflow 0
		.amdhsa_exception_fp_ieee_underflow 0
		.amdhsa_exception_fp_ieee_inexact 0
		.amdhsa_exception_int_div_zero 0
	.end_amdhsa_kernel
	.section	.text._ZN9rocsolver6v33100L10stedc_sortIddPdS2_EEviPT0_lS4_lT1_iilT2_iil,"axG",@progbits,_ZN9rocsolver6v33100L10stedc_sortIddPdS2_EEviPT0_lS4_lT1_iilT2_iil,comdat
.Lfunc_end104:
	.size	_ZN9rocsolver6v33100L10stedc_sortIddPdS2_EEviPT0_lS4_lT1_iilT2_iil, .Lfunc_end104-_ZN9rocsolver6v33100L10stedc_sortIddPdS2_EEviPT0_lS4_lT1_iilT2_iil
                                        ; -- End function
	.section	.AMDGPU.csdata,"",@progbits
; Kernel info:
; codeLenInByte = 6024
; NumSgprs: 58
; NumVgprs: 67
; ScratchSize: 0
; MemoryBound: 0
; FloatMode: 240
; IeeeMode: 1
; LDSByteSize: 2048 bytes/workgroup (compile time only)
; SGPRBlocks: 7
; VGPRBlocks: 8
; NumSGPRsForWavesPerEU: 58
; NumVGPRsForWavesPerEU: 67
; Occupancy: 16
; WaveLimiterHint : 0
; COMPUTE_PGM_RSRC2:SCRATCH_EN: 0
; COMPUTE_PGM_RSRC2:USER_SGPR: 14
; COMPUTE_PGM_RSRC2:TRAP_HANDLER: 0
; COMPUTE_PGM_RSRC2:TGID_X_EN: 1
; COMPUTE_PGM_RSRC2:TGID_Y_EN: 1
; COMPUTE_PGM_RSRC2:TGID_Z_EN: 0
; COMPUTE_PGM_RSRC2:TIDIG_COMP_CNT: 0
	.section	.text._ZN9rocsolver6v33100L13conj_in_placeIdiPdTnNSt9enable_ifIXnt18rocblas_is_complexIT_EEiE4typeELi0EEEvT0_S7_T1_lS7_l,"axG",@progbits,_ZN9rocsolver6v33100L13conj_in_placeIdiPdTnNSt9enable_ifIXnt18rocblas_is_complexIT_EEiE4typeELi0EEEvT0_S7_T1_lS7_l,comdat
	.globl	_ZN9rocsolver6v33100L13conj_in_placeIdiPdTnNSt9enable_ifIXnt18rocblas_is_complexIT_EEiE4typeELi0EEEvT0_S7_T1_lS7_l ; -- Begin function _ZN9rocsolver6v33100L13conj_in_placeIdiPdTnNSt9enable_ifIXnt18rocblas_is_complexIT_EEiE4typeELi0EEEvT0_S7_T1_lS7_l
	.p2align	8
	.type	_ZN9rocsolver6v33100L13conj_in_placeIdiPdTnNSt9enable_ifIXnt18rocblas_is_complexIT_EEiE4typeELi0EEEvT0_S7_T1_lS7_l,@function
_ZN9rocsolver6v33100L13conj_in_placeIdiPdTnNSt9enable_ifIXnt18rocblas_is_complexIT_EEiE4typeELi0EEEvT0_S7_T1_lS7_l: ; @_ZN9rocsolver6v33100L13conj_in_placeIdiPdTnNSt9enable_ifIXnt18rocblas_is_complexIT_EEiE4typeELi0EEEvT0_S7_T1_lS7_l
; %bb.0:
	s_endpgm
	.section	.rodata,"a",@progbits
	.p2align	6, 0x0
	.amdhsa_kernel _ZN9rocsolver6v33100L13conj_in_placeIdiPdTnNSt9enable_ifIXnt18rocblas_is_complexIT_EEiE4typeELi0EEEvT0_S7_T1_lS7_l
		.amdhsa_group_segment_fixed_size 0
		.amdhsa_private_segment_fixed_size 0
		.amdhsa_kernarg_size 40
		.amdhsa_user_sgpr_count 15
		.amdhsa_user_sgpr_dispatch_ptr 0
		.amdhsa_user_sgpr_queue_ptr 0
		.amdhsa_user_sgpr_kernarg_segment_ptr 1
		.amdhsa_user_sgpr_dispatch_id 0
		.amdhsa_user_sgpr_private_segment_size 0
		.amdhsa_wavefront_size32 1
		.amdhsa_uses_dynamic_stack 0
		.amdhsa_enable_private_segment 0
		.amdhsa_system_sgpr_workgroup_id_x 1
		.amdhsa_system_sgpr_workgroup_id_y 0
		.amdhsa_system_sgpr_workgroup_id_z 0
		.amdhsa_system_sgpr_workgroup_info 0
		.amdhsa_system_vgpr_workitem_id 0
		.amdhsa_next_free_vgpr 1
		.amdhsa_next_free_sgpr 1
		.amdhsa_reserve_vcc 0
		.amdhsa_float_round_mode_32 0
		.amdhsa_float_round_mode_16_64 0
		.amdhsa_float_denorm_mode_32 3
		.amdhsa_float_denorm_mode_16_64 3
		.amdhsa_dx10_clamp 1
		.amdhsa_ieee_mode 1
		.amdhsa_fp16_overflow 0
		.amdhsa_workgroup_processor_mode 1
		.amdhsa_memory_ordered 1
		.amdhsa_forward_progress 0
		.amdhsa_shared_vgpr_count 0
		.amdhsa_exception_fp_ieee_invalid_op 0
		.amdhsa_exception_fp_denorm_src 0
		.amdhsa_exception_fp_ieee_div_zero 0
		.amdhsa_exception_fp_ieee_overflow 0
		.amdhsa_exception_fp_ieee_underflow 0
		.amdhsa_exception_fp_ieee_inexact 0
		.amdhsa_exception_int_div_zero 0
	.end_amdhsa_kernel
	.section	.text._ZN9rocsolver6v33100L13conj_in_placeIdiPdTnNSt9enable_ifIXnt18rocblas_is_complexIT_EEiE4typeELi0EEEvT0_S7_T1_lS7_l,"axG",@progbits,_ZN9rocsolver6v33100L13conj_in_placeIdiPdTnNSt9enable_ifIXnt18rocblas_is_complexIT_EEiE4typeELi0EEEvT0_S7_T1_lS7_l,comdat
.Lfunc_end105:
	.size	_ZN9rocsolver6v33100L13conj_in_placeIdiPdTnNSt9enable_ifIXnt18rocblas_is_complexIT_EEiE4typeELi0EEEvT0_S7_T1_lS7_l, .Lfunc_end105-_ZN9rocsolver6v33100L13conj_in_placeIdiPdTnNSt9enable_ifIXnt18rocblas_is_complexIT_EEiE4typeELi0EEEvT0_S7_T1_lS7_l
                                        ; -- End function
	.section	.AMDGPU.csdata,"",@progbits
; Kernel info:
; codeLenInByte = 4
; NumSgprs: 0
; NumVgprs: 0
; ScratchSize: 0
; MemoryBound: 0
; FloatMode: 240
; IeeeMode: 1
; LDSByteSize: 0 bytes/workgroup (compile time only)
; SGPRBlocks: 0
; VGPRBlocks: 0
; NumSGPRsForWavesPerEU: 1
; NumVGPRsForWavesPerEU: 1
; Occupancy: 16
; WaveLimiterHint : 0
; COMPUTE_PGM_RSRC2:SCRATCH_EN: 0
; COMPUTE_PGM_RSRC2:USER_SGPR: 15
; COMPUTE_PGM_RSRC2:TRAP_HANDLER: 0
; COMPUTE_PGM_RSRC2:TGID_X_EN: 1
; COMPUTE_PGM_RSRC2:TGID_Y_EN: 0
; COMPUTE_PGM_RSRC2:TGID_Z_EN: 0
; COMPUTE_PGM_RSRC2:TIDIG_COMP_CNT: 0
	.section	.text._ZN9rocsolver6v33100L16larf_left_kernelILi1024EdiPdEEvT1_S3_T2_lS3_lPKT0_lS4_lS3_l,"axG",@progbits,_ZN9rocsolver6v33100L16larf_left_kernelILi1024EdiPdEEvT1_S3_T2_lS3_lPKT0_lS4_lS3_l,comdat
	.globl	_ZN9rocsolver6v33100L16larf_left_kernelILi1024EdiPdEEvT1_S3_T2_lS3_lPKT0_lS4_lS3_l ; -- Begin function _ZN9rocsolver6v33100L16larf_left_kernelILi1024EdiPdEEvT1_S3_T2_lS3_lPKT0_lS4_lS3_l
	.p2align	8
	.type	_ZN9rocsolver6v33100L16larf_left_kernelILi1024EdiPdEEvT1_S3_T2_lS3_lPKT0_lS4_lS3_l,@function
_ZN9rocsolver6v33100L16larf_left_kernelILi1024EdiPdEEvT1_S3_T2_lS3_lPKT0_lS4_lS3_l: ; @_ZN9rocsolver6v33100L16larf_left_kernelILi1024EdiPdEEvT1_S3_T2_lS3_lPKT0_lS4_lS3_l
; %bb.0:
	s_clause 0x4
	s_load_b32 s20, s[0:1], 0x0
	s_load_b64 s[2:3], s[0:1], 0x50
	s_load_b32 s16, s[0:1], 0x48
	s_load_b64 s[12:13], s[0:1], 0x40
	s_load_b256 s[4:11], s[0:1], 0x20
	v_mov_b32_e32 v1, 0
	v_dual_mov_b32 v2, 0 :: v_dual_lshlrev_b32 v5, 3, v0
	s_ashr_i32 s24, s15, 31
	s_waitcnt lgkmcnt(0)
	v_cmp_gt_i32_e32 vcc_lo, s20, v0
	s_mul_i32 s21, s2, s24
	s_mul_hi_u32 s22, s2, s15
	s_mul_i32 s23, s3, s15
	s_mul_i32 s18, s2, s15
	s_mul_hi_i32 s17, s14, s16
	s_mul_i32 s16, s14, s16
	s_and_saveexec_b32 s14, vcc_lo
	s_cbranch_execz .LBB106_6
; %bb.1:
	s_clause 0x1
	s_load_b32 s26, s[0:1], 0x18
	s_load_b128 s[0:3], s[0:1], 0x8
	s_sub_i32 s19, 1, s20
	s_mul_i32 s25, s4, s24
	s_mul_hi_u32 s29, s4, s15
	s_mul_i32 s5, s5, s15
	s_mul_i32 s4, s4, s15
	v_add3_u32 v6, v5, 0, 0x100
	s_delay_alu instid0(VALU_DEP_1)
	v_dual_mov_b32 v4, v0 :: v_dual_mov_b32 v3, v6
	s_waitcnt lgkmcnt(0)
	s_ashr_i32 s27, s26, 31
	v_mad_i64_i32 v[1:2], null, s26, v0, 0
	v_cmp_lt_i64_e64 s28, s[26:27], 1
	s_mul_i32 s19, s19, s26
	s_delay_alu instid0(VALU_DEP_1)
	s_and_b32 s28, s28, exec_lo
	s_cselect_b32 s28, s19, 0
	s_add_i32 s19, s29, s25
	s_ashr_i32 s29, s28, 31
	s_add_i32 s5, s19, s5
	s_lshl_b64 s[28:29], s[28:29], 3
	s_lshl_b64 s[2:3], s[2:3], 3
	;; [unrolled: 1-line block ×3, first 2 shown]
	v_lshlrev_b64 v[1:2], 3, v[1:2]
	s_add_u32 s0, s0, s28
	s_addc_u32 s1, s1, s29
	s_add_u32 s0, s0, s2
	s_addc_u32 s1, s1, s3
	;; [unrolled: 2-line block ×3, first 2 shown]
	v_add_co_u32 v1, s0, s0, v1
	s_delay_alu instid0(VALU_DEP_1)
	v_add_co_ci_u32_e64 v2, s0, s1, v2, s0
	s_mov_b32 s4, 0
	s_lshl_b64 s[2:3], s[26:27], 13
	.p2align	6
.LBB106_2:                              ; =>This Inner Loop Header: Depth=1
	global_load_b64 v[7:8], v[1:2], off
	v_add_nc_u32_e32 v4, 0x400, v4
	v_add_co_u32 v1, s0, v1, s2
	s_delay_alu instid0(VALU_DEP_1) | instskip(NEXT) | instid1(VALU_DEP_3)
	v_add_co_ci_u32_e64 v2, s0, s3, v2, s0
	v_cmp_le_i32_e64 s1, s20, v4
	s_delay_alu instid0(VALU_DEP_1)
	s_or_b32 s4, s1, s4
	s_waitcnt vmcnt(0)
	ds_store_b64 v3, v[7:8]
	v_add_nc_u32_e32 v3, 0x2000, v3
	s_and_not1_b32 exec_lo, exec_lo, s4
	s_cbranch_execnz .LBB106_2
; %bb.3:
	s_or_b32 exec_lo, exec_lo, s4
	s_add_i32 s0, s22, s21
	v_lshlrev_b32_e32 v1, 3, v0
	s_add_i32 s19, s0, s23
	s_lshl_b64 s[0:1], s[16:17], 3
	s_lshl_b64 s[2:3], s[18:19], 3
	v_mov_b32_e32 v7, v0
	s_add_u32 s2, s2, s0
	s_addc_u32 s3, s3, s1
	s_lshl_b64 s[0:1], s[12:13], 3
	s_delay_alu instid0(SALU_CYCLE_1)
	s_add_u32 s0, s2, s0
	s_addc_u32 s1, s3, s1
	s_add_u32 s0, s10, s0
	s_addc_u32 s1, s11, s1
	v_add_co_u32 v3, s0, s0, v1
	v_mov_b32_e32 v1, 0
	v_add_co_ci_u32_e64 v4, null, s1, 0, s0
	v_mov_b32_e32 v2, 0
	s_mov_b32 s2, 0
	.p2align	6
.LBB106_4:                              ; =>This Inner Loop Header: Depth=1
	global_load_b64 v[8:9], v[3:4], off
	ds_load_b64 v[10:11], v6
	v_add_nc_u32_e32 v7, 0x400, v7
	v_add_co_u32 v3, s1, 0x2000, v3
	v_add_nc_u32_e32 v6, 0x2000, v6
	v_add_co_ci_u32_e64 v4, s1, 0, v4, s1
	s_delay_alu instid0(VALU_DEP_4) | instskip(NEXT) | instid1(VALU_DEP_1)
	v_cmp_le_i32_e64 s0, s20, v7
	s_or_b32 s2, s0, s2
	s_waitcnt vmcnt(0) lgkmcnt(0)
	v_mul_f64 v[8:9], v[8:9], v[10:11]
	s_delay_alu instid0(VALU_DEP_1)
	v_add_f64 v[1:2], v[1:2], v[8:9]
	s_and_not1_b32 exec_lo, exec_lo, s2
	s_cbranch_execnz .LBB106_4
; %bb.5:
	s_or_b32 exec_lo, exec_lo, s2
.LBB106_6:
	s_delay_alu instid0(SALU_CYCLE_1) | instskip(SKIP_2) | instid1(VALU_DEP_1)
	s_or_b32 exec_lo, exec_lo, s14
	v_mbcnt_lo_u32_b32 v6, -1, 0
	s_mov_b32 s1, exec_lo
	v_cmp_ne_u32_e64 s0, 31, v6
	s_delay_alu instid0(VALU_DEP_1) | instskip(SKIP_1) | instid1(VALU_DEP_2)
	v_add_co_ci_u32_e64 v3, s0, 0, v6, s0
	v_cmp_gt_u32_e64 s0, 30, v6
	v_lshlrev_b32_e32 v4, 2, v3
	ds_bpermute_b32 v3, v4, v1
	ds_bpermute_b32 v4, v4, v2
	s_waitcnt lgkmcnt(0)
	v_add_f64 v[1:2], v[1:2], v[3:4]
	v_cndmask_b32_e64 v3, 0, 1, s0
	v_cmp_gt_u32_e64 s0, 28, v6
	s_delay_alu instid0(VALU_DEP_2) | instskip(NEXT) | instid1(VALU_DEP_1)
	v_lshlrev_b32_e32 v3, 1, v3
	v_add_lshl_u32 v4, v3, v6, 2
	ds_bpermute_b32 v3, v4, v1
	ds_bpermute_b32 v4, v4, v2
	s_waitcnt lgkmcnt(0)
	v_add_f64 v[1:2], v[1:2], v[3:4]
	v_cndmask_b32_e64 v3, 0, 1, s0
	v_cmp_gt_u32_e64 s0, 24, v6
	s_delay_alu instid0(VALU_DEP_2) | instskip(NEXT) | instid1(VALU_DEP_1)
	v_lshlrev_b32_e32 v3, 2, v3
	v_add_lshl_u32 v4, v3, v6, 2
	;; [unrolled: 9-line block ×3, first 2 shown]
	ds_bpermute_b32 v3, v4, v1
	ds_bpermute_b32 v4, v4, v2
	s_waitcnt lgkmcnt(0)
	v_add_f64 v[1:2], v[1:2], v[3:4]
	v_cndmask_b32_e64 v3, 0, 1, s0
	s_delay_alu instid0(VALU_DEP_1) | instskip(NEXT) | instid1(VALU_DEP_1)
	v_lshlrev_b32_e32 v3, 4, v3
	v_add_lshl_u32 v4, v3, v6, 2
	ds_bpermute_b32 v3, v4, v1
	ds_bpermute_b32 v4, v4, v2
	s_waitcnt lgkmcnt(0)
	v_add_f64 v[1:2], v[1:2], v[3:4]
	v_and_b32_e32 v3, 31, v0
	s_delay_alu instid0(VALU_DEP_1)
	v_cmpx_eq_u32_e32 0, v3
	s_cbranch_execz .LBB106_8
; %bb.7:
	v_lshrrev_b32_e32 v3, 2, v0
	s_delay_alu instid0(VALU_DEP_1)
	v_add_nc_u32_e32 v3, 0, v3
	ds_store_b64 v3, v[1:2]
.LBB106_8:
	s_or_b32 exec_lo, exec_lo, s1
	s_delay_alu instid0(SALU_CYCLE_1)
	s_mov_b32 s1, exec_lo
	s_waitcnt lgkmcnt(0)
	s_barrier
	buffer_gl0_inv
	v_cmpx_eq_u32_e32 0, v0
	s_cbranch_execz .LBB106_10
; %bb.9:
	v_mov_b32_e32 v14, 0
	ds_load_2addr_b64 v[6:9], v14 offset0:1 offset1:2
	ds_load_2addr_b64 v[10:13], v14 offset0:3 offset1:4
	s_waitcnt lgkmcnt(1)
	v_add_f64 v[1:2], v[1:2], v[6:7]
	s_delay_alu instid0(VALU_DEP_1) | instskip(SKIP_1) | instid1(VALU_DEP_1)
	v_add_f64 v[1:2], v[1:2], v[8:9]
	s_waitcnt lgkmcnt(0)
	v_add_f64 v[1:2], v[1:2], v[10:11]
	s_delay_alu instid0(VALU_DEP_1) | instskip(SKIP_4) | instid1(VALU_DEP_1)
	v_add_f64 v[10:11], v[1:2], v[12:13]
	ds_load_2addr_b64 v[1:4], v14 offset0:5 offset1:6
	ds_load_2addr_b64 v[6:9], v14 offset0:7 offset1:8
	s_waitcnt lgkmcnt(1)
	v_add_f64 v[1:2], v[10:11], v[1:2]
	v_add_f64 v[1:2], v[1:2], v[3:4]
	s_waitcnt lgkmcnt(0)
	s_delay_alu instid0(VALU_DEP_1) | instskip(NEXT) | instid1(VALU_DEP_1)
	v_add_f64 v[1:2], v[1:2], v[6:7]
	v_add_f64 v[10:11], v[1:2], v[8:9]
	ds_load_2addr_b64 v[1:4], v14 offset0:9 offset1:10
	ds_load_2addr_b64 v[6:9], v14 offset0:11 offset1:12
	s_waitcnt lgkmcnt(1)
	v_add_f64 v[1:2], v[10:11], v[1:2]
	s_delay_alu instid0(VALU_DEP_1) | instskip(SKIP_1) | instid1(VALU_DEP_1)
	v_add_f64 v[1:2], v[1:2], v[3:4]
	s_waitcnt lgkmcnt(0)
	v_add_f64 v[1:2], v[1:2], v[6:7]
	s_delay_alu instid0(VALU_DEP_1) | instskip(SKIP_4) | instid1(VALU_DEP_1)
	v_add_f64 v[10:11], v[1:2], v[8:9]
	ds_load_2addr_b64 v[1:4], v14 offset0:13 offset1:14
	ds_load_2addr_b64 v[6:9], v14 offset0:15 offset1:16
	s_waitcnt lgkmcnt(1)
	v_add_f64 v[1:2], v[10:11], v[1:2]
	v_add_f64 v[1:2], v[1:2], v[3:4]
	s_waitcnt lgkmcnt(0)
	s_delay_alu instid0(VALU_DEP_1) | instskip(NEXT) | instid1(VALU_DEP_1)
	v_add_f64 v[1:2], v[1:2], v[6:7]
	v_add_f64 v[10:11], v[1:2], v[8:9]
	;; [unrolled: 19-line block ×3, first 2 shown]
	ds_load_2addr_b64 v[1:4], v14 offset0:25 offset1:26
	ds_load_2addr_b64 v[6:9], v14 offset0:27 offset1:28
	s_waitcnt lgkmcnt(1)
	v_add_f64 v[1:2], v[10:11], v[1:2]
	s_delay_alu instid0(VALU_DEP_1) | instskip(SKIP_1) | instid1(VALU_DEP_1)
	v_add_f64 v[1:2], v[1:2], v[3:4]
	s_waitcnt lgkmcnt(0)
	v_add_f64 v[1:2], v[1:2], v[6:7]
	s_delay_alu instid0(VALU_DEP_1) | instskip(SKIP_4) | instid1(VALU_DEP_1)
	v_add_f64 v[6:7], v[1:2], v[8:9]
	ds_load_2addr_b64 v[1:4], v14 offset0:29 offset1:30
	ds_load_b64 v[8:9], v14 offset:248
	s_waitcnt lgkmcnt(1)
	v_add_f64 v[1:2], v[6:7], v[1:2]
	v_add_f64 v[1:2], v[1:2], v[3:4]
	s_waitcnt lgkmcnt(0)
	s_delay_alu instid0(VALU_DEP_1)
	v_add_f64 v[1:2], v[1:2], v[8:9]
	ds_store_b64 v14, v[1:2]
.LBB106_10:
	s_or_b32 exec_lo, exec_lo, s1
	s_waitcnt lgkmcnt(0)
	s_barrier
	buffer_gl0_inv
	s_and_saveexec_b32 s0, vcc_lo
	s_cbranch_execz .LBB106_13
; %bb.11:
	s_mul_i32 s0, s15, s9
	s_mul_hi_u32 s1, s15, s8
	s_mul_i32 s2, s24, s8
	s_add_i32 s1, s1, s0
	s_mul_i32 s0, s15, s8
	s_add_i32 s1, s1, s2
	v_mov_b32_e32 v1, 0
	s_lshl_b64 s[0:1], s[0:1], 3
	v_add3_u32 v6, v5, 0, 0x100
	s_add_u32 s0, s6, s0
	s_addc_u32 s1, s7, s1
	ds_load_b64 v[1:2], v1
	s_load_b64 s[0:1], s[0:1], 0x0
	s_lshl_b64 s[2:3], s[16:17], 3
	s_waitcnt lgkmcnt(0)
	v_mul_f64 v[1:2], v[1:2], -s[0:1]
	s_add_i32 s0, s22, s21
	s_delay_alu instid0(SALU_CYCLE_1) | instskip(NEXT) | instid1(SALU_CYCLE_1)
	s_add_i32 s19, s0, s23
	s_lshl_b64 s[0:1], s[18:19], 3
	s_delay_alu instid0(SALU_CYCLE_1) | instskip(SKIP_2) | instid1(SALU_CYCLE_1)
	s_add_u32 s2, s0, s2
	s_addc_u32 s3, s1, s3
	s_lshl_b64 s[0:1], s[12:13], 3
	s_add_u32 s0, s2, s0
	s_addc_u32 s1, s3, s1
	s_add_u32 s0, s10, s0
	s_addc_u32 s1, s11, s1
	v_add_co_u32 v3, s0, s0, v5
	s_delay_alu instid0(VALU_DEP_1)
	v_add_co_ci_u32_e64 v4, null, s1, 0, s0
	s_mov_b32 s1, 0
	.p2align	6
.LBB106_12:                             ; =>This Inner Loop Header: Depth=1
	global_load_b64 v[7:8], v[3:4], off
	ds_load_b64 v[9:10], v6
	v_add_nc_u32_e32 v0, 0x400, v0
	v_add_nc_u32_e32 v6, 0x2000, v6
	s_delay_alu instid0(VALU_DEP_2)
	v_cmp_le_i32_e32 vcc_lo, s20, v0
	s_or_b32 s1, vcc_lo, s1
	s_waitcnt vmcnt(0) lgkmcnt(0)
	v_fma_f64 v[7:8], v[1:2], v[9:10], v[7:8]
	global_store_b64 v[3:4], v[7:8], off
	v_add_co_u32 v3, s0, 0x2000, v3
	s_delay_alu instid0(VALU_DEP_1)
	v_add_co_ci_u32_e64 v4, s0, 0, v4, s0
	s_and_not1_b32 exec_lo, exec_lo, s1
	s_cbranch_execnz .LBB106_12
.LBB106_13:
	s_nop 0
	s_sendmsg sendmsg(MSG_DEALLOC_VGPRS)
	s_endpgm
	.section	.rodata,"a",@progbits
	.p2align	6, 0x0
	.amdhsa_kernel _ZN9rocsolver6v33100L16larf_left_kernelILi1024EdiPdEEvT1_S3_T2_lS3_lPKT0_lS4_lS3_l
		.amdhsa_group_segment_fixed_size 0
		.amdhsa_private_segment_fixed_size 0
		.amdhsa_kernarg_size 88
		.amdhsa_user_sgpr_count 13
		.amdhsa_user_sgpr_dispatch_ptr 0
		.amdhsa_user_sgpr_queue_ptr 0
		.amdhsa_user_sgpr_kernarg_segment_ptr 1
		.amdhsa_user_sgpr_dispatch_id 0
		.amdhsa_user_sgpr_private_segment_size 0
		.amdhsa_wavefront_size32 1
		.amdhsa_uses_dynamic_stack 0
		.amdhsa_enable_private_segment 0
		.amdhsa_system_sgpr_workgroup_id_x 1
		.amdhsa_system_sgpr_workgroup_id_y 1
		.amdhsa_system_sgpr_workgroup_id_z 1
		.amdhsa_system_sgpr_workgroup_info 0
		.amdhsa_system_vgpr_workitem_id 0
		.amdhsa_next_free_vgpr 15
		.amdhsa_next_free_sgpr 30
		.amdhsa_reserve_vcc 1
		.amdhsa_float_round_mode_32 0
		.amdhsa_float_round_mode_16_64 0
		.amdhsa_float_denorm_mode_32 3
		.amdhsa_float_denorm_mode_16_64 3
		.amdhsa_dx10_clamp 1
		.amdhsa_ieee_mode 1
		.amdhsa_fp16_overflow 0
		.amdhsa_workgroup_processor_mode 1
		.amdhsa_memory_ordered 1
		.amdhsa_forward_progress 0
		.amdhsa_shared_vgpr_count 0
		.amdhsa_exception_fp_ieee_invalid_op 0
		.amdhsa_exception_fp_denorm_src 0
		.amdhsa_exception_fp_ieee_div_zero 0
		.amdhsa_exception_fp_ieee_overflow 0
		.amdhsa_exception_fp_ieee_underflow 0
		.amdhsa_exception_fp_ieee_inexact 0
		.amdhsa_exception_int_div_zero 0
	.end_amdhsa_kernel
	.section	.text._ZN9rocsolver6v33100L16larf_left_kernelILi1024EdiPdEEvT1_S3_T2_lS3_lPKT0_lS4_lS3_l,"axG",@progbits,_ZN9rocsolver6v33100L16larf_left_kernelILi1024EdiPdEEvT1_S3_T2_lS3_lPKT0_lS4_lS3_l,comdat
.Lfunc_end106:
	.size	_ZN9rocsolver6v33100L16larf_left_kernelILi1024EdiPdEEvT1_S3_T2_lS3_lPKT0_lS4_lS3_l, .Lfunc_end106-_ZN9rocsolver6v33100L16larf_left_kernelILi1024EdiPdEEvT1_S3_T2_lS3_lPKT0_lS4_lS3_l
                                        ; -- End function
	.section	.AMDGPU.csdata,"",@progbits
; Kernel info:
; codeLenInByte = 1736
; NumSgprs: 32
; NumVgprs: 15
; ScratchSize: 0
; MemoryBound: 0
; FloatMode: 240
; IeeeMode: 1
; LDSByteSize: 0 bytes/workgroup (compile time only)
; SGPRBlocks: 3
; VGPRBlocks: 1
; NumSGPRsForWavesPerEU: 32
; NumVGPRsForWavesPerEU: 15
; Occupancy: 16
; WaveLimiterHint : 0
; COMPUTE_PGM_RSRC2:SCRATCH_EN: 0
; COMPUTE_PGM_RSRC2:USER_SGPR: 13
; COMPUTE_PGM_RSRC2:TRAP_HANDLER: 0
; COMPUTE_PGM_RSRC2:TGID_X_EN: 1
; COMPUTE_PGM_RSRC2:TGID_Y_EN: 1
; COMPUTE_PGM_RSRC2:TGID_Z_EN: 1
; COMPUTE_PGM_RSRC2:TIDIG_COMP_CNT: 0
	.section	.text._ZN9rocsolver6v33100L17larf_right_kernelILi1024EdiPdEEvT1_S3_T2_lS3_lPKT0_lS4_lS3_l,"axG",@progbits,_ZN9rocsolver6v33100L17larf_right_kernelILi1024EdiPdEEvT1_S3_T2_lS3_lPKT0_lS4_lS3_l,comdat
	.globl	_ZN9rocsolver6v33100L17larf_right_kernelILi1024EdiPdEEvT1_S3_T2_lS3_lPKT0_lS4_lS3_l ; -- Begin function _ZN9rocsolver6v33100L17larf_right_kernelILi1024EdiPdEEvT1_S3_T2_lS3_lPKT0_lS4_lS3_l
	.p2align	8
	.type	_ZN9rocsolver6v33100L17larf_right_kernelILi1024EdiPdEEvT1_S3_T2_lS3_lPKT0_lS4_lS3_l,@function
_ZN9rocsolver6v33100L17larf_right_kernelILi1024EdiPdEEvT1_S3_T2_lS3_lPKT0_lS4_lS3_l: ; @_ZN9rocsolver6v33100L17larf_right_kernelILi1024EdiPdEEvT1_S3_T2_lS3_lPKT0_lS4_lS3_l
; %bb.0:
	s_clause 0x4
	s_load_b32 s24, s[0:1], 0x4
	s_load_b64 s[16:17], s[0:1], 0x50
	s_load_b64 s[20:21], s[0:1], 0x40
	s_load_b32 s12, s[0:1], 0x48
	s_load_b256 s[4:11], s[0:1], 0x20
	v_mov_b32_e32 v1, 0
	v_dual_mov_b32 v2, 0 :: v_dual_lshlrev_b32 v5, 3, v0
	s_mov_b32 s2, s15
	s_ashr_i32 s27, s15, 31
	s_ashr_i32 s15, s14, 31
	s_waitcnt lgkmcnt(0)
	v_cmp_gt_i32_e32 vcc_lo, s24, v0
	s_mul_i32 s3, s16, s27
	s_mul_hi_u32 s26, s16, s2
	s_mul_i32 s25, s17, s2
	s_mul_i32 s22, s16, s2
	s_and_saveexec_b32 s28, vcc_lo
	s_cbranch_execz .LBB107_6
; %bb.1:
	s_clause 0x1
	s_load_b32 s30, s[0:1], 0x18
	s_load_b128 s[16:19], s[0:1], 0x8
	s_sub_i32 s1, 1, s24
	s_mul_i32 s13, s4, s27
	s_mul_hi_u32 s29, s4, s2
	s_mul_i32 s0, s4, s2
	s_mul_i32 s33, s5, s2
	v_add3_u32 v6, v5, 0, 0x100
	s_delay_alu instid0(VALU_DEP_1)
	v_dual_mov_b32 v4, v0 :: v_dual_mov_b32 v3, v6
	s_waitcnt lgkmcnt(0)
	s_ashr_i32 s31, s30, 31
	v_mad_i64_i32 v[1:2], null, s30, v0, 0
	v_cmp_lt_i64_e64 s23, s[30:31], 1
	s_mul_i32 s1, s1, s30
	s_delay_alu instid0(VALU_DEP_1)
	s_and_b32 s4, s23, exec_lo
	s_cselect_b32 s4, s1, 0
	s_add_i32 s1, s29, s13
	s_ashr_i32 s5, s4, 31
	s_add_i32 s1, s1, s33
	s_lshl_b64 s[4:5], s[4:5], 3
	s_lshl_b64 s[18:19], s[18:19], 3
	;; [unrolled: 1-line block ×3, first 2 shown]
	v_lshlrev_b64 v[1:2], 3, v[1:2]
	s_add_u32 s4, s16, s4
	s_addc_u32 s5, s17, s5
	s_add_u32 s4, s4, s18
	s_addc_u32 s5, s5, s19
	;; [unrolled: 2-line block ×3, first 2 shown]
	v_add_co_u32 v1, s0, s0, v1
	s_delay_alu instid0(VALU_DEP_1)
	v_add_co_ci_u32_e64 v2, s0, s1, v2, s0
	s_mov_b32 s13, 0
	s_lshl_b64 s[4:5], s[30:31], 13
	.p2align	6
.LBB107_2:                              ; =>This Inner Loop Header: Depth=1
	global_load_b64 v[7:8], v[1:2], off
	v_add_nc_u32_e32 v4, 0x400, v4
	v_add_co_u32 v1, s0, v1, s4
	s_delay_alu instid0(VALU_DEP_1) | instskip(NEXT) | instid1(VALU_DEP_3)
	v_add_co_ci_u32_e64 v2, s0, s5, v2, s0
	v_cmp_le_i32_e64 s1, s24, v4
	s_delay_alu instid0(VALU_DEP_1)
	s_or_b32 s13, s1, s13
	s_waitcnt vmcnt(0)
	ds_store_b64 v3, v[7:8]
	v_add_nc_u32_e32 v3, 0x2000, v3
	s_and_not1_b32 exec_lo, exec_lo, s13
	s_cbranch_execnz .LBB107_2
; %bb.3:
	s_or_b32 exec_lo, exec_lo, s13
	v_mad_i64_i32 v[1:2], null, s12, v0, 0
	s_add_i32 s4, s26, s3
	s_ashr_i32 s13, s12, 31
	s_add_i32 s23, s4, s25
	s_lshl_b64 s[4:5], s[14:15], 3
	s_lshl_b64 s[0:1], s[20:21], 3
	;; [unrolled: 1-line block ×3, first 2 shown]
	s_delay_alu instid0(VALU_DEP_1)
	v_lshlrev_b64 v[1:2], 3, v[1:2]
	s_add_u32 s4, s10, s4
	s_addc_u32 s5, s11, s5
	s_add_u32 s0, s4, s0
	s_addc_u32 s1, s5, s1
	;; [unrolled: 2-line block ×3, first 2 shown]
	v_add_co_u32 v3, s0, s0, v1
	s_delay_alu instid0(VALU_DEP_1)
	v_add_co_ci_u32_e64 v4, s0, s1, v2, s0
	v_mov_b32_e32 v1, 0
	v_dual_mov_b32 v2, 0 :: v_dual_mov_b32 v7, v0
	s_lshl_b64 s[4:5], s[12:13], 13
	s_mov_b32 s13, 0
	.p2align	6
.LBB107_4:                              ; =>This Inner Loop Header: Depth=1
	global_load_b64 v[8:9], v[3:4], off
	ds_load_b64 v[10:11], v6
	v_add_nc_u32_e32 v7, 0x400, v7
	v_add_co_u32 v3, s1, v3, s4
	v_add_nc_u32_e32 v6, 0x2000, v6
	v_add_co_ci_u32_e64 v4, s1, s5, v4, s1
	s_delay_alu instid0(VALU_DEP_4) | instskip(NEXT) | instid1(VALU_DEP_1)
	v_cmp_le_i32_e64 s0, s24, v7
	s_or_b32 s13, s0, s13
	s_waitcnt vmcnt(0) lgkmcnt(0)
	v_mul_f64 v[8:9], v[8:9], v[10:11]
	s_delay_alu instid0(VALU_DEP_1)
	v_add_f64 v[1:2], v[1:2], v[8:9]
	s_and_not1_b32 exec_lo, exec_lo, s13
	s_cbranch_execnz .LBB107_4
; %bb.5:
	s_or_b32 exec_lo, exec_lo, s13
.LBB107_6:
	s_delay_alu instid0(SALU_CYCLE_1) | instskip(SKIP_2) | instid1(VALU_DEP_1)
	s_or_b32 exec_lo, exec_lo, s28
	v_mbcnt_lo_u32_b32 v6, -1, 0
	s_mov_b32 s1, exec_lo
	v_cmp_ne_u32_e64 s0, 31, v6
	s_delay_alu instid0(VALU_DEP_1) | instskip(SKIP_1) | instid1(VALU_DEP_2)
	v_add_co_ci_u32_e64 v3, s0, 0, v6, s0
	v_cmp_gt_u32_e64 s0, 30, v6
	v_lshlrev_b32_e32 v4, 2, v3
	ds_bpermute_b32 v3, v4, v1
	ds_bpermute_b32 v4, v4, v2
	s_waitcnt lgkmcnt(0)
	v_add_f64 v[1:2], v[1:2], v[3:4]
	v_cndmask_b32_e64 v3, 0, 1, s0
	v_cmp_gt_u32_e64 s0, 28, v6
	s_delay_alu instid0(VALU_DEP_2) | instskip(NEXT) | instid1(VALU_DEP_1)
	v_lshlrev_b32_e32 v3, 1, v3
	v_add_lshl_u32 v4, v3, v6, 2
	ds_bpermute_b32 v3, v4, v1
	ds_bpermute_b32 v4, v4, v2
	s_waitcnt lgkmcnt(0)
	v_add_f64 v[1:2], v[1:2], v[3:4]
	v_cndmask_b32_e64 v3, 0, 1, s0
	v_cmp_gt_u32_e64 s0, 24, v6
	s_delay_alu instid0(VALU_DEP_2) | instskip(NEXT) | instid1(VALU_DEP_1)
	v_lshlrev_b32_e32 v3, 2, v3
	v_add_lshl_u32 v4, v3, v6, 2
	;; [unrolled: 9-line block ×3, first 2 shown]
	ds_bpermute_b32 v3, v4, v1
	ds_bpermute_b32 v4, v4, v2
	s_waitcnt lgkmcnt(0)
	v_add_f64 v[1:2], v[1:2], v[3:4]
	v_cndmask_b32_e64 v3, 0, 1, s0
	s_delay_alu instid0(VALU_DEP_1) | instskip(NEXT) | instid1(VALU_DEP_1)
	v_lshlrev_b32_e32 v3, 4, v3
	v_add_lshl_u32 v4, v3, v6, 2
	ds_bpermute_b32 v3, v4, v1
	ds_bpermute_b32 v4, v4, v2
	s_waitcnt lgkmcnt(0)
	v_add_f64 v[1:2], v[1:2], v[3:4]
	v_and_b32_e32 v3, 31, v0
	s_delay_alu instid0(VALU_DEP_1)
	v_cmpx_eq_u32_e32 0, v3
	s_cbranch_execz .LBB107_8
; %bb.7:
	v_lshrrev_b32_e32 v3, 2, v0
	s_delay_alu instid0(VALU_DEP_1)
	v_add_nc_u32_e32 v3, 0, v3
	ds_store_b64 v3, v[1:2]
.LBB107_8:
	s_or_b32 exec_lo, exec_lo, s1
	s_delay_alu instid0(SALU_CYCLE_1)
	s_mov_b32 s1, exec_lo
	s_waitcnt lgkmcnt(0)
	s_barrier
	buffer_gl0_inv
	v_cmpx_eq_u32_e32 0, v0
	s_cbranch_execz .LBB107_10
; %bb.9:
	v_mov_b32_e32 v14, 0
	ds_load_2addr_b64 v[6:9], v14 offset0:1 offset1:2
	ds_load_2addr_b64 v[10:13], v14 offset0:3 offset1:4
	s_waitcnt lgkmcnt(1)
	v_add_f64 v[1:2], v[1:2], v[6:7]
	s_delay_alu instid0(VALU_DEP_1) | instskip(SKIP_1) | instid1(VALU_DEP_1)
	v_add_f64 v[1:2], v[1:2], v[8:9]
	s_waitcnt lgkmcnt(0)
	v_add_f64 v[1:2], v[1:2], v[10:11]
	s_delay_alu instid0(VALU_DEP_1) | instskip(SKIP_4) | instid1(VALU_DEP_1)
	v_add_f64 v[10:11], v[1:2], v[12:13]
	ds_load_2addr_b64 v[1:4], v14 offset0:5 offset1:6
	ds_load_2addr_b64 v[6:9], v14 offset0:7 offset1:8
	s_waitcnt lgkmcnt(1)
	v_add_f64 v[1:2], v[10:11], v[1:2]
	v_add_f64 v[1:2], v[1:2], v[3:4]
	s_waitcnt lgkmcnt(0)
	s_delay_alu instid0(VALU_DEP_1) | instskip(NEXT) | instid1(VALU_DEP_1)
	v_add_f64 v[1:2], v[1:2], v[6:7]
	v_add_f64 v[10:11], v[1:2], v[8:9]
	ds_load_2addr_b64 v[1:4], v14 offset0:9 offset1:10
	ds_load_2addr_b64 v[6:9], v14 offset0:11 offset1:12
	s_waitcnt lgkmcnt(1)
	v_add_f64 v[1:2], v[10:11], v[1:2]
	s_delay_alu instid0(VALU_DEP_1) | instskip(SKIP_1) | instid1(VALU_DEP_1)
	v_add_f64 v[1:2], v[1:2], v[3:4]
	s_waitcnt lgkmcnt(0)
	v_add_f64 v[1:2], v[1:2], v[6:7]
	s_delay_alu instid0(VALU_DEP_1) | instskip(SKIP_4) | instid1(VALU_DEP_1)
	v_add_f64 v[10:11], v[1:2], v[8:9]
	ds_load_2addr_b64 v[1:4], v14 offset0:13 offset1:14
	ds_load_2addr_b64 v[6:9], v14 offset0:15 offset1:16
	s_waitcnt lgkmcnt(1)
	v_add_f64 v[1:2], v[10:11], v[1:2]
	v_add_f64 v[1:2], v[1:2], v[3:4]
	s_waitcnt lgkmcnt(0)
	s_delay_alu instid0(VALU_DEP_1) | instskip(NEXT) | instid1(VALU_DEP_1)
	v_add_f64 v[1:2], v[1:2], v[6:7]
	v_add_f64 v[10:11], v[1:2], v[8:9]
	;; [unrolled: 19-line block ×3, first 2 shown]
	ds_load_2addr_b64 v[1:4], v14 offset0:25 offset1:26
	ds_load_2addr_b64 v[6:9], v14 offset0:27 offset1:28
	s_waitcnt lgkmcnt(1)
	v_add_f64 v[1:2], v[10:11], v[1:2]
	s_delay_alu instid0(VALU_DEP_1) | instskip(SKIP_1) | instid1(VALU_DEP_1)
	v_add_f64 v[1:2], v[1:2], v[3:4]
	s_waitcnt lgkmcnt(0)
	v_add_f64 v[1:2], v[1:2], v[6:7]
	s_delay_alu instid0(VALU_DEP_1) | instskip(SKIP_4) | instid1(VALU_DEP_1)
	v_add_f64 v[6:7], v[1:2], v[8:9]
	ds_load_2addr_b64 v[1:4], v14 offset0:29 offset1:30
	ds_load_b64 v[8:9], v14 offset:248
	s_waitcnt lgkmcnt(1)
	v_add_f64 v[1:2], v[6:7], v[1:2]
	v_add_f64 v[1:2], v[1:2], v[3:4]
	s_waitcnt lgkmcnt(0)
	s_delay_alu instid0(VALU_DEP_1)
	v_add_f64 v[1:2], v[1:2], v[8:9]
	ds_store_b64 v14, v[1:2]
.LBB107_10:
	s_or_b32 exec_lo, exec_lo, s1
	s_waitcnt lgkmcnt(0)
	s_barrier
	buffer_gl0_inv
	s_and_saveexec_b32 s0, vcc_lo
	s_cbranch_execz .LBB107_13
; %bb.11:
	s_mul_i32 s0, s2, s9
	s_mul_hi_u32 s1, s2, s8
	s_mul_i32 s4, s27, s8
	s_add_i32 s1, s1, s0
	s_mul_i32 s0, s2, s8
	s_add_i32 s1, s1, s4
	v_mov_b32_e32 v1, 0
	s_lshl_b64 s[0:1], s[0:1], 3
	v_mad_i64_i32 v[3:4], null, s12, v0, 0
	s_add_u32 s0, s6, s0
	s_addc_u32 s1, s7, s1
	ds_load_b64 v[1:2], v1
	s_load_b64 s[0:1], s[0:1], 0x0
	s_ashr_i32 s13, s12, 31
	s_lshl_b64 s[4:5], s[20:21], 3
	v_lshlrev_b64 v[3:4], 3, v[3:4]
	v_add3_u32 v5, v5, 0, 0x100
	s_waitcnt lgkmcnt(0)
	v_mul_f64 v[1:2], v[1:2], -s[0:1]
	s_add_i32 s0, s26, s3
	s_lshl_b64 s[2:3], s[14:15], 3
	s_add_i32 s23, s0, s25
	s_delay_alu instid0(SALU_CYCLE_1)
	s_lshl_b64 s[0:1], s[22:23], 3
	s_add_u32 s2, s10, s2
	s_addc_u32 s3, s11, s3
	s_add_u32 s2, s2, s4
	s_addc_u32 s3, s3, s5
	;; [unrolled: 2-line block ×3, first 2 shown]
	v_add_co_u32 v3, vcc_lo, s0, v3
	v_add_co_ci_u32_e32 v4, vcc_lo, s1, v4, vcc_lo
	s_mov_b32 s1, 0
	s_lshl_b64 s[2:3], s[12:13], 13
	.p2align	6
.LBB107_12:                             ; =>This Inner Loop Header: Depth=1
	global_load_b64 v[6:7], v[3:4], off
	ds_load_b64 v[8:9], v5
	v_add_nc_u32_e32 v0, 0x400, v0
	v_add_nc_u32_e32 v5, 0x2000, v5
	s_delay_alu instid0(VALU_DEP_2)
	v_cmp_le_i32_e32 vcc_lo, s24, v0
	s_or_b32 s1, vcc_lo, s1
	s_waitcnt vmcnt(0) lgkmcnt(0)
	v_fma_f64 v[6:7], v[1:2], v[8:9], v[6:7]
	global_store_b64 v[3:4], v[6:7], off
	v_add_co_u32 v3, s0, v3, s2
	s_delay_alu instid0(VALU_DEP_1)
	v_add_co_ci_u32_e64 v4, s0, s3, v4, s0
	s_and_not1_b32 exec_lo, exec_lo, s1
	s_cbranch_execnz .LBB107_12
.LBB107_13:
	s_nop 0
	s_sendmsg sendmsg(MSG_DEALLOC_VGPRS)
	s_endpgm
	.section	.rodata,"a",@progbits
	.p2align	6, 0x0
	.amdhsa_kernel _ZN9rocsolver6v33100L17larf_right_kernelILi1024EdiPdEEvT1_S3_T2_lS3_lPKT0_lS4_lS3_l
		.amdhsa_group_segment_fixed_size 0
		.amdhsa_private_segment_fixed_size 0
		.amdhsa_kernarg_size 88
		.amdhsa_user_sgpr_count 13
		.amdhsa_user_sgpr_dispatch_ptr 0
		.amdhsa_user_sgpr_queue_ptr 0
		.amdhsa_user_sgpr_kernarg_segment_ptr 1
		.amdhsa_user_sgpr_dispatch_id 0
		.amdhsa_user_sgpr_private_segment_size 0
		.amdhsa_wavefront_size32 1
		.amdhsa_uses_dynamic_stack 0
		.amdhsa_enable_private_segment 0
		.amdhsa_system_sgpr_workgroup_id_x 1
		.amdhsa_system_sgpr_workgroup_id_y 1
		.amdhsa_system_sgpr_workgroup_id_z 1
		.amdhsa_system_sgpr_workgroup_info 0
		.amdhsa_system_vgpr_workitem_id 0
		.amdhsa_next_free_vgpr 15
		.amdhsa_next_free_sgpr 34
		.amdhsa_reserve_vcc 1
		.amdhsa_float_round_mode_32 0
		.amdhsa_float_round_mode_16_64 0
		.amdhsa_float_denorm_mode_32 3
		.amdhsa_float_denorm_mode_16_64 3
		.amdhsa_dx10_clamp 1
		.amdhsa_ieee_mode 1
		.amdhsa_fp16_overflow 0
		.amdhsa_workgroup_processor_mode 1
		.amdhsa_memory_ordered 1
		.amdhsa_forward_progress 0
		.amdhsa_shared_vgpr_count 0
		.amdhsa_exception_fp_ieee_invalid_op 0
		.amdhsa_exception_fp_denorm_src 0
		.amdhsa_exception_fp_ieee_div_zero 0
		.amdhsa_exception_fp_ieee_overflow 0
		.amdhsa_exception_fp_ieee_underflow 0
		.amdhsa_exception_fp_ieee_inexact 0
		.amdhsa_exception_int_div_zero 0
	.end_amdhsa_kernel
	.section	.text._ZN9rocsolver6v33100L17larf_right_kernelILi1024EdiPdEEvT1_S3_T2_lS3_lPKT0_lS4_lS3_l,"axG",@progbits,_ZN9rocsolver6v33100L17larf_right_kernelILi1024EdiPdEEvT1_S3_T2_lS3_lPKT0_lS4_lS3_l,comdat
.Lfunc_end107:
	.size	_ZN9rocsolver6v33100L17larf_right_kernelILi1024EdiPdEEvT1_S3_T2_lS3_lPKT0_lS4_lS3_l, .Lfunc_end107-_ZN9rocsolver6v33100L17larf_right_kernelILi1024EdiPdEEvT1_S3_T2_lS3_lPKT0_lS4_lS3_l
                                        ; -- End function
	.section	.AMDGPU.csdata,"",@progbits
; Kernel info:
; codeLenInByte = 1764
; NumSgprs: 36
; NumVgprs: 15
; ScratchSize: 0
; MemoryBound: 0
; FloatMode: 240
; IeeeMode: 1
; LDSByteSize: 0 bytes/workgroup (compile time only)
; SGPRBlocks: 4
; VGPRBlocks: 1
; NumSGPRsForWavesPerEU: 36
; NumVGPRsForWavesPerEU: 15
; Occupancy: 16
; WaveLimiterHint : 0
; COMPUTE_PGM_RSRC2:SCRATCH_EN: 0
; COMPUTE_PGM_RSRC2:USER_SGPR: 13
; COMPUTE_PGM_RSRC2:TRAP_HANDLER: 0
; COMPUTE_PGM_RSRC2:TGID_X_EN: 1
; COMPUTE_PGM_RSRC2:TGID_Y_EN: 1
; COMPUTE_PGM_RSRC2:TGID_Z_EN: 1
; COMPUTE_PGM_RSRC2:TIDIG_COMP_CNT: 0
	.section	.text._ZN9rocsolver6v33100L12restore_diagIdidPdEEvPT1_llT2_lT0_lS6_,"axG",@progbits,_ZN9rocsolver6v33100L12restore_diagIdidPdEEvPT1_llT2_lT0_lS6_,comdat
	.globl	_ZN9rocsolver6v33100L12restore_diagIdidPdEEvPT1_llT2_lT0_lS6_ ; -- Begin function _ZN9rocsolver6v33100L12restore_diagIdidPdEEvPT1_llT2_lT0_lS6_
	.p2align	8
	.type	_ZN9rocsolver6v33100L12restore_diagIdidPdEEvPT1_llT2_lT0_lS6_,@function
_ZN9rocsolver6v33100L12restore_diagIdidPdEEvPT1_llT2_lT0_lS6_: ; @_ZN9rocsolver6v33100L12restore_diagIdidPdEEvPT1_llT2_lT0_lS6_
; %bb.0:
	s_clause 0x1
	s_load_b32 s2, s[0:1], 0x4c
	s_load_b32 s3, s[0:1], 0x38
	v_bfe_u32 v2, v0, 10, 10
	s_waitcnt lgkmcnt(0)
	s_lshr_b32 s2, s2, 16
	s_delay_alu instid0(VALU_DEP_1) | instid1(SALU_CYCLE_1)
	v_mad_u64_u32 v[0:1], null, s15, s2, v[2:3]
	s_mov_b32 s2, exec_lo
	s_delay_alu instid0(VALU_DEP_1)
	v_cmpx_gt_i32_e64 s3, v0
	s_cbranch_execz .LBB108_2
; %bb.1:
	s_clause 0x3
	s_load_b64 s[2:3], s[0:1], 0x30
	s_load_b256 s[4:11], s[0:1], 0x0
	s_load_b32 s12, s[0:1], 0x28
	s_load_b64 s[0:1], s[0:1], 0x20
	s_ashr_i32 s13, s14, 31
	s_waitcnt lgkmcnt(0)
	s_mul_i32 s3, s14, s3
	s_mul_hi_u32 s15, s14, s2
	s_mul_i32 s16, s13, s2
	s_add_i32 s3, s15, s3
	s_mul_i32 s2, s14, s2
	s_add_i32 s3, s3, s16
	s_mul_i32 s9, s14, s9
	s_lshl_b64 s[2:3], s[2:3], 3
	s_mul_hi_u32 s15, s14, s8
	s_add_u32 s2, s10, s2
	s_addc_u32 s3, s11, s3
	s_lshl_b64 s[0:1], s[0:1], 3
	s_mul_i32 s13, s13, s8
	s_add_u32 s2, s2, s0
	v_mad_u64_u32 v[2:3], null, v0, s12, v[0:1]
	v_ashrrev_i32_e32 v1, 31, v0
	s_addc_u32 s3, s3, s1
	s_add_i32 s1, s15, s9
	s_mul_i32 s0, s14, s8
	s_add_i32 s1, s1, s13
	v_lshlrev_b64 v[0:1], 3, v[0:1]
	s_lshl_b64 s[0:1], s[0:1], 3
	v_ashrrev_i32_e32 v3, 31, v2
	s_add_u32 s4, s4, s0
	s_addc_u32 s5, s5, s1
	s_lshl_b64 s[0:1], s[6:7], 3
	s_delay_alu instid0(SALU_CYCLE_1)
	s_add_u32 s0, s4, s0
	s_addc_u32 s1, s5, s1
	v_add_co_u32 v0, vcc_lo, s0, v0
	v_add_co_ci_u32_e32 v1, vcc_lo, s1, v1, vcc_lo
	v_lshlrev_b64 v[2:3], 3, v[2:3]
	global_load_b64 v[0:1], v[0:1], off
	v_add_co_u32 v2, vcc_lo, s2, v2
	v_add_co_ci_u32_e32 v3, vcc_lo, s3, v3, vcc_lo
	s_waitcnt vmcnt(0)
	global_store_b64 v[2:3], v[0:1], off
.LBB108_2:
	s_nop 0
	s_sendmsg sendmsg(MSG_DEALLOC_VGPRS)
	s_endpgm
	.section	.rodata,"a",@progbits
	.p2align	6, 0x0
	.amdhsa_kernel _ZN9rocsolver6v33100L12restore_diagIdidPdEEvPT1_llT2_lT0_lS6_
		.amdhsa_group_segment_fixed_size 0
		.amdhsa_private_segment_fixed_size 0
		.amdhsa_kernarg_size 320
		.amdhsa_user_sgpr_count 14
		.amdhsa_user_sgpr_dispatch_ptr 0
		.amdhsa_user_sgpr_queue_ptr 0
		.amdhsa_user_sgpr_kernarg_segment_ptr 1
		.amdhsa_user_sgpr_dispatch_id 0
		.amdhsa_user_sgpr_private_segment_size 0
		.amdhsa_wavefront_size32 1
		.amdhsa_uses_dynamic_stack 0
		.amdhsa_enable_private_segment 0
		.amdhsa_system_sgpr_workgroup_id_x 1
		.amdhsa_system_sgpr_workgroup_id_y 1
		.amdhsa_system_sgpr_workgroup_id_z 0
		.amdhsa_system_sgpr_workgroup_info 0
		.amdhsa_system_vgpr_workitem_id 1
		.amdhsa_next_free_vgpr 4
		.amdhsa_next_free_sgpr 17
		.amdhsa_reserve_vcc 1
		.amdhsa_float_round_mode_32 0
		.amdhsa_float_round_mode_16_64 0
		.amdhsa_float_denorm_mode_32 3
		.amdhsa_float_denorm_mode_16_64 3
		.amdhsa_dx10_clamp 1
		.amdhsa_ieee_mode 1
		.amdhsa_fp16_overflow 0
		.amdhsa_workgroup_processor_mode 1
		.amdhsa_memory_ordered 1
		.amdhsa_forward_progress 0
		.amdhsa_shared_vgpr_count 0
		.amdhsa_exception_fp_ieee_invalid_op 0
		.amdhsa_exception_fp_denorm_src 0
		.amdhsa_exception_fp_ieee_div_zero 0
		.amdhsa_exception_fp_ieee_overflow 0
		.amdhsa_exception_fp_ieee_underflow 0
		.amdhsa_exception_fp_ieee_inexact 0
		.amdhsa_exception_int_div_zero 0
	.end_amdhsa_kernel
	.section	.text._ZN9rocsolver6v33100L12restore_diagIdidPdEEvPT1_llT2_lT0_lS6_,"axG",@progbits,_ZN9rocsolver6v33100L12restore_diagIdidPdEEvPT1_llT2_lT0_lS6_,comdat
.Lfunc_end108:
	.size	_ZN9rocsolver6v33100L12restore_diagIdidPdEEvPT1_llT2_lT0_lS6_, .Lfunc_end108-_ZN9rocsolver6v33100L12restore_diagIdidPdEEvPT1_llT2_lT0_lS6_
                                        ; -- End function
	.section	.AMDGPU.csdata,"",@progbits
; Kernel info:
; codeLenInByte = 300
; NumSgprs: 19
; NumVgprs: 4
; ScratchSize: 0
; MemoryBound: 0
; FloatMode: 240
; IeeeMode: 1
; LDSByteSize: 0 bytes/workgroup (compile time only)
; SGPRBlocks: 2
; VGPRBlocks: 0
; NumSGPRsForWavesPerEU: 19
; NumVGPRsForWavesPerEU: 4
; Occupancy: 16
; WaveLimiterHint : 0
; COMPUTE_PGM_RSRC2:SCRATCH_EN: 0
; COMPUTE_PGM_RSRC2:USER_SGPR: 14
; COMPUTE_PGM_RSRC2:TRAP_HANDLER: 0
; COMPUTE_PGM_RSRC2:TGID_X_EN: 1
; COMPUTE_PGM_RSRC2:TGID_Y_EN: 1
; COMPUTE_PGM_RSRC2:TGID_Z_EN: 0
; COMPUTE_PGM_RSRC2:TIDIG_COMP_CNT: 1
	.section	.text._ZN9rocsolver6v33100L14set_triangularIdPdTnNSt9enable_ifIXnt18rocblas_is_complexIT_EEiE4typeELi0EEEviiT0_iilPS4_lS8_il15rocblas_direct_15rocblas_storev_b,"axG",@progbits,_ZN9rocsolver6v33100L14set_triangularIdPdTnNSt9enable_ifIXnt18rocblas_is_complexIT_EEiE4typeELi0EEEviiT0_iilPS4_lS8_il15rocblas_direct_15rocblas_storev_b,comdat
	.globl	_ZN9rocsolver6v33100L14set_triangularIdPdTnNSt9enable_ifIXnt18rocblas_is_complexIT_EEiE4typeELi0EEEviiT0_iilPS4_lS8_il15rocblas_direct_15rocblas_storev_b ; -- Begin function _ZN9rocsolver6v33100L14set_triangularIdPdTnNSt9enable_ifIXnt18rocblas_is_complexIT_EEiE4typeELi0EEEviiT0_iilPS4_lS8_il15rocblas_direct_15rocblas_storev_b
	.p2align	8
	.type	_ZN9rocsolver6v33100L14set_triangularIdPdTnNSt9enable_ifIXnt18rocblas_is_complexIT_EEiE4typeELi0EEEviiT0_iilPS4_lS8_il15rocblas_direct_15rocblas_storev_b,@function
_ZN9rocsolver6v33100L14set_triangularIdPdTnNSt9enable_ifIXnt18rocblas_is_complexIT_EEiE4typeELi0EEEviiT0_iilPS4_lS8_il15rocblas_direct_15rocblas_storev_b: ; @_ZN9rocsolver6v33100L14set_triangularIdPdTnNSt9enable_ifIXnt18rocblas_is_complexIT_EEiE4typeELi0EEEviiT0_iilPS4_lS8_il15rocblas_direct_15rocblas_storev_b
; %bb.0:
	s_clause 0x1
	s_load_b32 s2, s[0:1], 0x64
	s_load_b64 s[16:17], s[0:1], 0x0
	v_and_b32_e32 v2, 0x3ff, v0
	v_bfe_u32 v4, v0, 10, 10
	s_waitcnt lgkmcnt(0)
	s_lshr_b32 s3, s2, 16
	s_and_b32 s2, s2, 0xffff
	s_delay_alu instid0(SALU_CYCLE_1) | instskip(SKIP_2) | instid1(VALU_DEP_1)
	v_mad_u64_u32 v[0:1], null, s13, s2, v[2:3]
	v_mad_u64_u32 v[2:3], null, s14, s3, v[4:5]
	s_mov_b32 s2, exec_lo
	v_max_u32_e32 v1, v0, v2
	s_delay_alu instid0(VALU_DEP_1)
	v_cmpx_gt_u32_e64 s17, v1
	s_cbranch_execz .LBB109_36
; %bb.1:
	s_clause 0x2
	s_load_b256 s[4:11], s[0:1], 0x18
	s_load_b64 s[2:3], s[0:1], 0x40
	s_load_b32 s12, s[0:1], 0x38
	s_waitcnt lgkmcnt(0)
	s_mul_i32 s9, s15, s9
	s_mul_hi_u32 s13, s15, s8
	s_mul_i32 s8, s15, s8
	s_add_i32 s9, s13, s9
	s_mul_i32 s3, s15, s3
	s_lshl_b64 s[8:9], s[8:9], 3
	s_mul_hi_u32 s18, s15, s2
	s_add_u32 s13, s6, s8
	s_mul_i32 s2, s15, s2
	s_addc_u32 s14, s7, s9
	s_add_i32 s3, s18, s3
	s_delay_alu instid0(SALU_CYCLE_1) | instskip(NEXT) | instid1(SALU_CYCLE_1)
	s_lshl_b64 s[2:3], s[2:3], 3
	s_add_u32 s6, s10, s2
	s_addc_u32 s7, s11, s3
	s_mov_b32 s2, exec_lo
	v_cmpx_ne_u32_e64 v2, v0
	s_xor_b32 s18, exec_lo, s2
	s_cbranch_execz .LBB109_34
; %bb.2:
	s_clause 0x1
	s_load_b128 s[8:11], s[0:1], 0x8
	s_load_b128 s[0:3], s[0:1], 0x48
	s_waitcnt lgkmcnt(0)
	s_mul_i32 s3, s15, s5
	s_mul_hi_u32 s5, s15, s4
	s_mul_i32 s4, s15, s4
	s_add_i32 s5, s5, s3
	v_mov_b32_e32 v1, 0
	s_lshl_b64 s[4:5], s[4:5], 3
	s_ashr_i32 s21, s10, 31
	s_mov_b32 s20, s10
	s_add_u32 s3, s8, s4
	s_addc_u32 s8, s9, s5
	s_lshl_b64 s[4:5], s[20:21], 3
	s_delay_alu instid0(SALU_CYCLE_1) | instskip(SKIP_3) | instid1(SALU_CYCLE_1)
	s_add_u32 s3, s3, s4
	s_addc_u32 s4, s8, s5
	s_bitcmp1_b32 s2, 0
	s_cselect_b32 s2, -1, 0
	s_xor_b32 s2, s2, -1
	s_cmpk_lg_i32 s0, 0xab
	s_mov_b32 s0, -1
	s_cbranch_scc0 .LBB109_18
; %bb.3:
	s_mov_b32 s0, exec_lo
	v_cmpx_le_u32_e64 v2, v0
	s_xor_b32 s0, exec_lo, s0
	s_cbranch_execz .LBB109_5
; %bb.4:
	v_mad_u64_u32 v[4:5], null, v0, s12, 0
	s_ashr_i32 s5, s12, 31
	s_delay_alu instid0(VALU_DEP_1) | instskip(NEXT) | instid1(VALU_DEP_1)
	v_mov_b32_e32 v3, v5
	v_mad_u64_u32 v[5:6], null, v0, s5, v[3:4]
	v_mov_b32_e32 v3, 0
	s_delay_alu instid0(VALU_DEP_1) | instskip(NEXT) | instid1(VALU_DEP_3)
	v_lshlrev_b64 v[6:7], 3, v[2:3]
	v_lshlrev_b64 v[4:5], 3, v[4:5]
	s_delay_alu instid0(VALU_DEP_1) | instskip(NEXT) | instid1(VALU_DEP_2)
	v_add_co_u32 v8, vcc_lo, s6, v4
	v_add_co_ci_u32_e32 v5, vcc_lo, s7, v5, vcc_lo
	v_mov_b32_e32 v4, v3
	s_delay_alu instid0(VALU_DEP_3) | instskip(NEXT) | instid1(VALU_DEP_3)
	v_add_co_u32 v6, vcc_lo, v8, v6
	v_add_co_ci_u32_e32 v7, vcc_lo, v5, v7, vcc_lo
	v_mov_b32_e32 v5, v3
	global_store_b64 v[6:7], v[4:5], off
.LBB109_5:
	s_and_not1_saveexec_b32 s0, s0
	s_cbranch_execz .LBB109_17
; %bb.6:
	v_lshlrev_b64 v[3:4], 3, v[0:1]
	s_cmpk_lg_i32 s1, 0xb5
	s_mov_b32 s5, -1
	s_delay_alu instid0(VALU_DEP_1) | instskip(NEXT) | instid1(VALU_DEP_2)
	v_add_co_u32 v3, vcc_lo, s13, v3
	v_add_co_ci_u32_e32 v4, vcc_lo, s14, v4, vcc_lo
	global_load_b64 v[4:5], v[3:4], off
	s_cbranch_scc0 .LBB109_12
; %bb.7:
	v_mov_b32_e32 v3, 0
	s_and_not1_b32 vcc_lo, exec_lo, s2
	s_delay_alu instid0(VALU_DEP_1)
	v_lshlrev_b64 v[6:7], 3, v[2:3]
	s_cbranch_vccnz .LBB109_9
; %bb.8:
	s_sub_i32 s5, s16, s17
	s_delay_alu instid0(SALU_CYCLE_1) | instskip(SKIP_1) | instid1(VALU_DEP_1)
	v_add_nc_u32_e32 v11, s5, v0
	s_ashr_i32 s5, s11, 31
	v_mad_u64_u32 v[8:9], null, v11, s11, 0
	s_delay_alu instid0(VALU_DEP_1) | instskip(SKIP_1) | instid1(VALU_DEP_1)
	v_mov_b32_e32 v3, v9
	s_waitcnt vmcnt(0)
	v_mad_u64_u32 v[9:10], null, v11, s5, v[3:4]
	v_mad_u64_u32 v[10:11], null, v0, s12, 0
	s_ashr_i32 s5, s12, 31
	s_delay_alu instid0(VALU_DEP_2) | instskip(NEXT) | instid1(VALU_DEP_1)
	v_lshlrev_b64 v[8:9], 3, v[8:9]
	v_add_co_u32 v3, vcc_lo, s3, v8
	s_delay_alu instid0(VALU_DEP_2) | instskip(NEXT) | instid1(VALU_DEP_2)
	v_add_co_ci_u32_e32 v9, vcc_lo, s4, v9, vcc_lo
	v_add_co_u32 v8, vcc_lo, v3, v6
	s_delay_alu instid0(VALU_DEP_2) | instskip(SKIP_4) | instid1(VALU_DEP_1)
	v_add_co_ci_u32_e32 v9, vcc_lo, v9, v7, vcc_lo
	v_mov_b32_e32 v3, v11
	global_load_b64 v[8:9], v[8:9], off
	v_mad_u64_u32 v[11:12], null, v0, s5, v[3:4]
	s_mov_b32 s5, 0
	v_lshlrev_b64 v[10:11], 3, v[10:11]
	s_delay_alu instid0(VALU_DEP_1) | instskip(NEXT) | instid1(VALU_DEP_2)
	v_add_co_u32 v3, vcc_lo, s6, v10
	v_add_co_ci_u32_e32 v11, vcc_lo, s7, v11, vcc_lo
	s_delay_alu instid0(VALU_DEP_2) | instskip(NEXT) | instid1(VALU_DEP_2)
	v_add_co_u32 v10, vcc_lo, v3, v6
	v_add_co_ci_u32_e32 v11, vcc_lo, v11, v7, vcc_lo
	s_waitcnt vmcnt(0)
	v_mul_f64 v[8:9], v[8:9], -v[4:5]
	global_store_b64 v[10:11], v[8:9], off
.LBB109_9:
	s_and_not1_b32 vcc_lo, exec_lo, s5
	s_cbranch_vccnz .LBB109_11
; %bb.10:
	v_mad_u64_u32 v[8:9], null, v0, s12, 0
	s_sub_i32 s5, s16, s17
	s_delay_alu instid0(SALU_CYCLE_1) | instskip(SKIP_1) | instid1(VALU_DEP_2)
	v_add_nc_u32_e32 v14, s5, v0
	s_ashr_i32 s5, s12, 31
	v_mov_b32_e32 v3, v9
	s_delay_alu instid0(VALU_DEP_2) | instskip(NEXT) | instid1(VALU_DEP_1)
	v_mad_u64_u32 v[10:11], null, v14, s11, 0
	v_mov_b32_e32 v9, v11
	s_waitcnt vmcnt(0)
	s_delay_alu instid0(VALU_DEP_3)
	v_mad_u64_u32 v[11:12], null, v0, s5, v[3:4]
	s_ashr_i32 s5, s11, 31
	s_delay_alu instid0(VALU_DEP_2) | instid1(SALU_CYCLE_1)
	v_mad_u64_u32 v[12:13], null, v14, s5, v[9:10]
	s_delay_alu instid0(VALU_DEP_2) | instskip(NEXT) | instid1(VALU_DEP_2)
	v_mov_b32_e32 v9, v11
	v_mov_b32_e32 v11, v12
	s_delay_alu instid0(VALU_DEP_2) | instskip(NEXT) | instid1(VALU_DEP_2)
	v_lshlrev_b64 v[8:9], 3, v[8:9]
	v_lshlrev_b64 v[10:11], 3, v[10:11]
	s_delay_alu instid0(VALU_DEP_2) | instskip(NEXT) | instid1(VALU_DEP_3)
	v_add_co_u32 v3, vcc_lo, s6, v8
	v_add_co_ci_u32_e32 v9, vcc_lo, s7, v9, vcc_lo
	s_delay_alu instid0(VALU_DEP_3) | instskip(NEXT) | instid1(VALU_DEP_4)
	v_add_co_u32 v10, vcc_lo, s3, v10
	v_add_co_ci_u32_e32 v11, vcc_lo, s4, v11, vcc_lo
	s_delay_alu instid0(VALU_DEP_4) | instskip(NEXT) | instid1(VALU_DEP_4)
	v_add_co_u32 v8, vcc_lo, v3, v6
	v_add_co_ci_u32_e32 v9, vcc_lo, v9, v7, vcc_lo
	s_delay_alu instid0(VALU_DEP_4) | instskip(NEXT) | instid1(VALU_DEP_4)
	v_add_co_u32 v6, vcc_lo, v10, v6
	v_add_co_ci_u32_e32 v7, vcc_lo, v11, v7, vcc_lo
	global_load_b64 v[10:11], v[8:9], off
	global_load_b64 v[6:7], v[6:7], off
	s_waitcnt vmcnt(0)
	v_add_f64 v[6:7], v[10:11], v[6:7]
	s_delay_alu instid0(VALU_DEP_1)
	v_mul_f64 v[6:7], v[6:7], -v[4:5]
	global_store_b64 v[8:9], v[6:7], off
.LBB109_11:
	s_mov_b32 s5, 0
.LBB109_12:
	s_delay_alu instid0(SALU_CYCLE_1)
	s_and_not1_b32 vcc_lo, exec_lo, s5
	s_cbranch_vccnz .LBB109_17
; %bb.13:
	s_and_not1_b32 vcc_lo, exec_lo, s2
	s_mov_b32 s5, -1
	s_cbranch_vccnz .LBB109_15
; %bb.14:
	v_mad_u64_u32 v[6:7], null, v2, s11, 0
	s_ashr_i32 s5, s11, 31
	v_mov_b32_e32 v9, 0
	s_delay_alu instid0(VALU_DEP_2) | instskip(SKIP_1) | instid1(VALU_DEP_1)
	v_mov_b32_e32 v3, v7
	s_waitcnt vmcnt(0)
	v_mad_u64_u32 v[7:8], null, v2, s5, v[3:4]
	s_sub_i32 s5, s16, s17
	s_delay_alu instid0(SALU_CYCLE_1) | instskip(SKIP_1) | instid1(VALU_DEP_2)
	v_add_nc_u32_e32 v8, s5, v0
	s_ashr_i32 s5, s12, 31
	v_lshlrev_b64 v[6:7], 3, v[6:7]
	s_delay_alu instid0(VALU_DEP_2) | instskip(NEXT) | instid1(VALU_DEP_2)
	v_lshlrev_b64 v[10:11], 3, v[8:9]
	v_add_co_u32 v3, vcc_lo, s3, v6
	s_delay_alu instid0(VALU_DEP_3) | instskip(NEXT) | instid1(VALU_DEP_2)
	v_add_co_ci_u32_e32 v7, vcc_lo, s4, v7, vcc_lo
	v_add_co_u32 v6, vcc_lo, v3, v10
	s_delay_alu instid0(VALU_DEP_2) | instskip(SKIP_3) | instid1(VALU_DEP_1)
	v_add_co_ci_u32_e32 v7, vcc_lo, v7, v11, vcc_lo
	v_mad_u64_u32 v[10:11], null, v0, s12, 0
	global_load_b64 v[6:7], v[6:7], off
	v_mov_b32_e32 v3, v11
	v_mad_u64_u32 v[11:12], null, v0, s5, v[3:4]
	v_mov_b32_e32 v3, v9
	s_mov_b32 s5, 0
	s_delay_alu instid0(VALU_DEP_2) | instskip(NEXT) | instid1(VALU_DEP_2)
	v_lshlrev_b64 v[8:9], 3, v[10:11]
	v_lshlrev_b64 v[10:11], 3, v[2:3]
	s_delay_alu instid0(VALU_DEP_2) | instskip(NEXT) | instid1(VALU_DEP_3)
	v_add_co_u32 v3, vcc_lo, s6, v8
	v_add_co_ci_u32_e32 v9, vcc_lo, s7, v9, vcc_lo
	s_delay_alu instid0(VALU_DEP_2) | instskip(NEXT) | instid1(VALU_DEP_2)
	v_add_co_u32 v8, vcc_lo, v3, v10
	v_add_co_ci_u32_e32 v9, vcc_lo, v9, v11, vcc_lo
	s_waitcnt vmcnt(0)
	v_mul_f64 v[6:7], v[6:7], -v[4:5]
	global_store_b64 v[8:9], v[6:7], off
.LBB109_15:
	s_and_not1_b32 vcc_lo, exec_lo, s5
	s_cbranch_vccnz .LBB109_17
; %bb.16:
	v_mad_u64_u32 v[6:7], null, v0, s12, 0
	v_mad_u64_u32 v[8:9], null, v2, s11, 0
	s_ashr_i32 s5, s12, 31
	s_delay_alu instid0(VALU_DEP_2) | instskip(NEXT) | instid1(VALU_DEP_2)
	v_mov_b32_e32 v3, v7
	v_mov_b32_e32 v7, v9
	s_waitcnt vmcnt(0)
	s_delay_alu instid0(VALU_DEP_2) | instskip(SKIP_2) | instid1(VALU_DEP_1)
	v_mad_u64_u32 v[9:10], null, v0, s5, v[3:4]
	v_mov_b32_e32 v3, 0
	s_ashr_i32 s5, s11, 31
	v_mov_b32_e32 v12, v3
	v_mad_u64_u32 v[10:11], null, v2, s5, v[7:8]
	s_delay_alu instid0(VALU_DEP_4) | instskip(SKIP_3) | instid1(VALU_DEP_3)
	v_mov_b32_e32 v7, v9
	s_sub_i32 s5, s16, s17
	v_lshlrev_b64 v[13:14], 3, v[2:3]
	v_add_nc_u32_e32 v11, s5, v0
	v_lshlrev_b64 v[6:7], 3, v[6:7]
	v_mov_b32_e32 v9, v10
	s_delay_alu instid0(VALU_DEP_3) | instskip(NEXT) | instid1(VALU_DEP_2)
	v_lshlrev_b64 v[10:11], 3, v[11:12]
	v_lshlrev_b64 v[8:9], 3, v[8:9]
	s_delay_alu instid0(VALU_DEP_4) | instskip(SKIP_1) | instid1(VALU_DEP_3)
	v_add_co_u32 v3, vcc_lo, s6, v6
	v_add_co_ci_u32_e32 v7, vcc_lo, s7, v7, vcc_lo
	v_add_co_u32 v8, vcc_lo, s3, v8
	s_delay_alu instid0(VALU_DEP_4) | instskip(NEXT) | instid1(VALU_DEP_4)
	v_add_co_ci_u32_e32 v9, vcc_lo, s4, v9, vcc_lo
	v_add_co_u32 v6, vcc_lo, v3, v13
	s_delay_alu instid0(VALU_DEP_4) | instskip(NEXT) | instid1(VALU_DEP_4)
	v_add_co_ci_u32_e32 v7, vcc_lo, v7, v14, vcc_lo
	v_add_co_u32 v8, vcc_lo, v8, v10
	s_delay_alu instid0(VALU_DEP_4) | instskip(SKIP_4) | instid1(VALU_DEP_1)
	v_add_co_ci_u32_e32 v9, vcc_lo, v9, v11, vcc_lo
	global_load_b64 v[10:11], v[6:7], off
	global_load_b64 v[8:9], v[8:9], off
	s_waitcnt vmcnt(0)
	v_add_f64 v[8:9], v[10:11], v[8:9]
	v_mul_f64 v[3:4], v[8:9], -v[4:5]
	global_store_b64 v[6:7], v[3:4], off
.LBB109_17:
	s_or_b32 exec_lo, exec_lo, s0
	s_mov_b32 s0, 0
.LBB109_18:
	s_delay_alu instid0(SALU_CYCLE_1)
	s_and_not1_b32 vcc_lo, exec_lo, s0
	s_cbranch_vccnz .LBB109_34
; %bb.19:
	s_mov_b32 s0, exec_lo
	v_cmpx_ge_u32_e64 v2, v0
	s_xor_b32 s0, exec_lo, s0
	s_cbranch_execz .LBB109_21
; %bb.20:
	s_waitcnt vmcnt(0)
	v_mad_u64_u32 v[4:5], null, v0, s12, 0
	v_mov_b32_e32 v3, 0
	s_ashr_i32 s5, s12, 31
	s_delay_alu instid0(VALU_DEP_2) | instskip(NEXT) | instid1(VALU_DEP_1)
	v_mov_b32_e32 v1, v5
	v_mad_u64_u32 v[5:6], null, v0, s5, v[1:2]
	s_delay_alu instid0(VALU_DEP_1) | instskip(SKIP_2) | instid1(VALU_DEP_3)
	v_lshlrev_b64 v[0:1], 3, v[4:5]
	v_lshlrev_b64 v[4:5], 3, v[2:3]
	v_mov_b32_e32 v2, v3
	v_add_co_u32 v0, vcc_lo, s6, v0
	s_delay_alu instid0(VALU_DEP_4) | instskip(NEXT) | instid1(VALU_DEP_2)
	v_add_co_ci_u32_e32 v1, vcc_lo, s7, v1, vcc_lo
	v_add_co_u32 v0, vcc_lo, v0, v4
	s_delay_alu instid0(VALU_DEP_2)
	v_add_co_ci_u32_e32 v1, vcc_lo, v1, v5, vcc_lo
	global_store_b64 v[0:1], v[2:3], off
                                        ; implicit-def: $vgpr0_vgpr1
                                        ; implicit-def: $vgpr2_vgpr3
.LBB109_21:
	s_and_not1_saveexec_b32 s0, s0
	s_cbranch_execz .LBB109_33
; %bb.22:
	v_lshlrev_b64 v[6:7], 3, v[0:1]
	v_cndmask_b32_e64 v1, 0, 1, s2
	s_cmpk_lg_i32 s1, 0xb5
	s_mov_b32 s1, -1
	s_delay_alu instid0(VALU_DEP_2)
	v_add_co_u32 v3, vcc_lo, s13, v6
	s_waitcnt vmcnt(0)
	v_add_co_ci_u32_e32 v4, vcc_lo, s14, v7, vcc_lo
	v_cmp_ne_u32_e32 vcc_lo, 1, v1
	global_load_b64 v[4:5], v[3:4], off
	v_mov_b32_e32 v3, 0
	s_cbranch_scc0 .LBB109_28
; %bb.23:
	s_and_b32 vcc_lo, exec_lo, vcc_lo
	s_cbranch_vccnz .LBB109_25
; %bb.24:
	v_mad_u64_u32 v[8:9], null, v0, s11, 0
	s_ashr_i32 s1, s11, 31
	v_mad_u64_u32 v[12:13], null, v0, s12, 0
	s_delay_alu instid0(VALU_DEP_2) | instskip(NEXT) | instid1(VALU_DEP_1)
	v_mov_b32_e32 v1, v9
	v_mad_u64_u32 v[9:10], null, v0, s1, v[1:2]
	v_lshlrev_b64 v[10:11], 3, v[2:3]
	s_ashr_i32 s1, s12, 31
	s_delay_alu instid0(VALU_DEP_2) | instskip(NEXT) | instid1(VALU_DEP_1)
	v_lshlrev_b64 v[8:9], 3, v[8:9]
	v_add_co_u32 v1, vcc_lo, s3, v8
	s_delay_alu instid0(VALU_DEP_2) | instskip(NEXT) | instid1(VALU_DEP_2)
	v_add_co_ci_u32_e32 v9, vcc_lo, s4, v9, vcc_lo
	v_add_co_u32 v8, vcc_lo, v1, v10
	s_delay_alu instid0(VALU_DEP_2) | instskip(SKIP_4) | instid1(VALU_DEP_1)
	v_add_co_ci_u32_e32 v9, vcc_lo, v9, v11, vcc_lo
	v_mov_b32_e32 v1, v13
	global_load_b64 v[8:9], v[8:9], off
	v_mad_u64_u32 v[13:14], null, v0, s1, v[1:2]
	s_mov_b32 s1, 0
	v_lshlrev_b64 v[12:13], 3, v[12:13]
	s_delay_alu instid0(VALU_DEP_1) | instskip(NEXT) | instid1(VALU_DEP_2)
	v_add_co_u32 v1, vcc_lo, s6, v12
	v_add_co_ci_u32_e32 v12, vcc_lo, s7, v13, vcc_lo
	s_delay_alu instid0(VALU_DEP_2) | instskip(NEXT) | instid1(VALU_DEP_2)
	v_add_co_u32 v10, vcc_lo, v1, v10
	v_add_co_ci_u32_e32 v11, vcc_lo, v12, v11, vcc_lo
	s_waitcnt vmcnt(0)
	v_mul_f64 v[8:9], v[8:9], -v[4:5]
	global_store_b64 v[10:11], v[8:9], off
.LBB109_25:
	s_and_not1_b32 vcc_lo, exec_lo, s1
	s_cbranch_vccnz .LBB109_27
; %bb.26:
	v_mad_u64_u32 v[8:9], null, v0, s12, 0
	v_mad_u64_u32 v[10:11], null, v0, s11, 0
	s_ashr_i32 s1, s12, 31
	s_delay_alu instid0(VALU_DEP_2) | instskip(NEXT) | instid1(VALU_DEP_2)
	v_mov_b32_e32 v1, v9
	v_mov_b32_e32 v9, v11
	s_delay_alu instid0(VALU_DEP_2)
	v_mad_u64_u32 v[11:12], null, v0, s1, v[1:2]
	s_ashr_i32 s1, s11, 31
	s_delay_alu instid0(VALU_DEP_2) | instid1(SALU_CYCLE_1)
	v_mad_u64_u32 v[12:13], null, v0, s1, v[9:10]
	s_delay_alu instid0(VALU_DEP_2) | instskip(NEXT) | instid1(VALU_DEP_2)
	v_mov_b32_e32 v9, v11
	v_mov_b32_e32 v11, v12
	s_delay_alu instid0(VALU_DEP_2) | instskip(SKIP_1) | instid1(VALU_DEP_3)
	v_lshlrev_b64 v[8:9], 3, v[8:9]
	v_lshlrev_b64 v[12:13], 3, v[2:3]
	;; [unrolled: 1-line block ×3, first 2 shown]
	s_delay_alu instid0(VALU_DEP_3) | instskip(NEXT) | instid1(VALU_DEP_4)
	v_add_co_u32 v1, vcc_lo, s6, v8
	v_add_co_ci_u32_e32 v9, vcc_lo, s7, v9, vcc_lo
	s_delay_alu instid0(VALU_DEP_3) | instskip(NEXT) | instid1(VALU_DEP_4)
	v_add_co_u32 v10, vcc_lo, s3, v10
	v_add_co_ci_u32_e32 v11, vcc_lo, s4, v11, vcc_lo
	s_delay_alu instid0(VALU_DEP_4) | instskip(NEXT) | instid1(VALU_DEP_4)
	v_add_co_u32 v8, vcc_lo, v1, v12
	v_add_co_ci_u32_e32 v9, vcc_lo, v9, v13, vcc_lo
	s_delay_alu instid0(VALU_DEP_4) | instskip(NEXT) | instid1(VALU_DEP_4)
	v_add_co_u32 v10, vcc_lo, v10, v12
	v_add_co_ci_u32_e32 v11, vcc_lo, v11, v13, vcc_lo
	global_load_b64 v[12:13], v[8:9], off
	global_load_b64 v[10:11], v[10:11], off
	s_waitcnt vmcnt(0)
	v_add_f64 v[10:11], v[12:13], v[10:11]
	s_delay_alu instid0(VALU_DEP_1)
	v_mul_f64 v[10:11], v[10:11], -v[4:5]
	global_store_b64 v[8:9], v[10:11], off
.LBB109_27:
	s_mov_b32 s1, 0
.LBB109_28:
	s_delay_alu instid0(SALU_CYCLE_1)
	s_and_not1_b32 vcc_lo, exec_lo, s1
	s_cbranch_vccnz .LBB109_33
; %bb.29:
	s_delay_alu instid0(VALU_DEP_1)
	v_lshlrev_b64 v[8:9], 3, v[2:3]
	s_and_not1_b32 vcc_lo, exec_lo, s2
	s_mov_b32 s1, -1
	s_cbranch_vccnz .LBB109_31
; %bb.30:
	v_mad_u64_u32 v[10:11], null, v2, s11, 0
	s_ashr_i32 s1, s11, 31
	s_delay_alu instid0(VALU_DEP_1) | instskip(NEXT) | instid1(VALU_DEP_1)
	v_mov_b32_e32 v1, v11
	v_mad_u64_u32 v[11:12], null, v2, s1, v[1:2]
	v_mad_u64_u32 v[12:13], null, v0, s12, 0
	s_ashr_i32 s1, s12, 31
	s_delay_alu instid0(VALU_DEP_2) | instskip(NEXT) | instid1(VALU_DEP_1)
	v_lshlrev_b64 v[10:11], 3, v[10:11]
	v_add_co_u32 v1, vcc_lo, s3, v10
	s_delay_alu instid0(VALU_DEP_2) | instskip(NEXT) | instid1(VALU_DEP_2)
	v_add_co_ci_u32_e32 v3, vcc_lo, s4, v11, vcc_lo
	v_add_co_u32 v10, vcc_lo, v1, v6
	s_delay_alu instid0(VALU_DEP_2) | instskip(SKIP_4) | instid1(VALU_DEP_1)
	v_add_co_ci_u32_e32 v11, vcc_lo, v3, v7, vcc_lo
	v_mov_b32_e32 v1, v13
	global_load_b64 v[10:11], v[10:11], off
	v_mad_u64_u32 v[13:14], null, v0, s1, v[1:2]
	s_mov_b32 s1, 0
	v_lshlrev_b64 v[12:13], 3, v[12:13]
	s_delay_alu instid0(VALU_DEP_1) | instskip(NEXT) | instid1(VALU_DEP_2)
	v_add_co_u32 v1, vcc_lo, s6, v12
	v_add_co_ci_u32_e32 v3, vcc_lo, s7, v13, vcc_lo
	s_delay_alu instid0(VALU_DEP_2) | instskip(NEXT) | instid1(VALU_DEP_2)
	v_add_co_u32 v12, vcc_lo, v1, v8
	v_add_co_ci_u32_e32 v13, vcc_lo, v3, v9, vcc_lo
	s_waitcnt vmcnt(0)
	v_mul_f64 v[10:11], v[10:11], -v[4:5]
	global_store_b64 v[12:13], v[10:11], off
.LBB109_31:
	s_and_not1_b32 vcc_lo, exec_lo, s1
	s_cbranch_vccnz .LBB109_33
; %bb.32:
	v_mad_u64_u32 v[10:11], null, v0, s12, 0
	v_mad_u64_u32 v[12:13], null, v2, s11, 0
	s_ashr_i32 s1, s12, 31
	s_delay_alu instid0(VALU_DEP_2) | instskip(NEXT) | instid1(VALU_DEP_2)
	v_mov_b32_e32 v1, v11
	v_mov_b32_e32 v3, v13
	s_delay_alu instid0(VALU_DEP_2) | instskip(SKIP_2) | instid1(VALU_DEP_2)
	v_mad_u64_u32 v[13:14], null, v0, s1, v[1:2]
	s_ashr_i32 s1, s11, 31
	s_waitcnt vmcnt(0)
	v_mad_u64_u32 v[0:1], null, v2, s1, v[3:4]
	s_delay_alu instid0(VALU_DEP_2) | instskip(NEXT) | instid1(VALU_DEP_2)
	v_mov_b32_e32 v11, v13
	v_mov_b32_e32 v13, v0
	s_delay_alu instid0(VALU_DEP_2) | instskip(NEXT) | instid1(VALU_DEP_2)
	v_lshlrev_b64 v[0:1], 3, v[10:11]
	v_lshlrev_b64 v[2:3], 3, v[12:13]
	s_delay_alu instid0(VALU_DEP_2) | instskip(NEXT) | instid1(VALU_DEP_3)
	v_add_co_u32 v0, vcc_lo, s6, v0
	v_add_co_ci_u32_e32 v1, vcc_lo, s7, v1, vcc_lo
	s_delay_alu instid0(VALU_DEP_3) | instskip(NEXT) | instid1(VALU_DEP_4)
	v_add_co_u32 v2, vcc_lo, s3, v2
	v_add_co_ci_u32_e32 v3, vcc_lo, s4, v3, vcc_lo
	s_delay_alu instid0(VALU_DEP_4) | instskip(NEXT) | instid1(VALU_DEP_4)
	v_add_co_u32 v0, vcc_lo, v0, v8
	v_add_co_ci_u32_e32 v1, vcc_lo, v1, v9, vcc_lo
	s_delay_alu instid0(VALU_DEP_4) | instskip(NEXT) | instid1(VALU_DEP_4)
	v_add_co_u32 v2, vcc_lo, v2, v6
	v_add_co_ci_u32_e32 v3, vcc_lo, v3, v7, vcc_lo
	global_load_b64 v[6:7], v[0:1], off
	global_load_b64 v[2:3], v[2:3], off
	s_waitcnt vmcnt(0)
	v_add_f64 v[2:3], v[6:7], v[2:3]
	s_delay_alu instid0(VALU_DEP_1)
	v_mul_f64 v[2:3], v[2:3], -v[4:5]
	global_store_b64 v[0:1], v[2:3], off
.LBB109_33:
	s_or_b32 exec_lo, exec_lo, s0
                                        ; implicit-def: $vgpr0_vgpr1
.LBB109_34:
	s_and_not1_saveexec_b32 s0, s18
	s_cbranch_execz .LBB109_36
; %bb.35:
	s_waitcnt vmcnt(0)
	v_mad_u64_u32 v[5:6], null, v0, s12, 0
	s_ashr_i32 s0, s12, 31
	s_delay_alu instid0(VALU_DEP_1) | instid1(SALU_CYCLE_1)
	v_mad_u64_u32 v[7:8], null, v0, s0, v[6:7]
	s_delay_alu instid0(VALU_DEP_1) | instskip(NEXT) | instid1(VALU_DEP_1)
	v_dual_mov_b32 v1, 0 :: v_dual_mov_b32 v6, v7
	v_lshlrev_b64 v[1:2], 3, v[0:1]
	s_delay_alu instid0(VALU_DEP_2) | instskip(NEXT) | instid1(VALU_DEP_2)
	v_lshlrev_b64 v[5:6], 3, v[5:6]
	v_add_co_u32 v3, vcc_lo, s13, v1
	s_delay_alu instid0(VALU_DEP_3) | instskip(NEXT) | instid1(VALU_DEP_3)
	v_add_co_ci_u32_e32 v4, vcc_lo, s14, v2, vcc_lo
	v_add_co_u32 v0, vcc_lo, s6, v5
	s_delay_alu instid0(VALU_DEP_4)
	v_add_co_ci_u32_e32 v5, vcc_lo, s7, v6, vcc_lo
	global_load_b64 v[3:4], v[3:4], off
	v_add_co_u32 v0, vcc_lo, v0, v1
	v_add_co_ci_u32_e32 v1, vcc_lo, v5, v2, vcc_lo
	s_waitcnt vmcnt(0)
	global_store_b64 v[0:1], v[3:4], off
.LBB109_36:
	s_nop 0
	s_sendmsg sendmsg(MSG_DEALLOC_VGPRS)
	s_endpgm
	.section	.rodata,"a",@progbits
	.p2align	6, 0x0
	.amdhsa_kernel _ZN9rocsolver6v33100L14set_triangularIdPdTnNSt9enable_ifIXnt18rocblas_is_complexIT_EEiE4typeELi0EEEviiT0_iilPS4_lS8_il15rocblas_direct_15rocblas_storev_b
		.amdhsa_group_segment_fixed_size 0
		.amdhsa_private_segment_fixed_size 0
		.amdhsa_kernarg_size 344
		.amdhsa_user_sgpr_count 13
		.amdhsa_user_sgpr_dispatch_ptr 0
		.amdhsa_user_sgpr_queue_ptr 0
		.amdhsa_user_sgpr_kernarg_segment_ptr 1
		.amdhsa_user_sgpr_dispatch_id 0
		.amdhsa_user_sgpr_private_segment_size 0
		.amdhsa_wavefront_size32 1
		.amdhsa_uses_dynamic_stack 0
		.amdhsa_enable_private_segment 0
		.amdhsa_system_sgpr_workgroup_id_x 1
		.amdhsa_system_sgpr_workgroup_id_y 1
		.amdhsa_system_sgpr_workgroup_id_z 1
		.amdhsa_system_sgpr_workgroup_info 0
		.amdhsa_system_vgpr_workitem_id 1
		.amdhsa_next_free_vgpr 15
		.amdhsa_next_free_sgpr 22
		.amdhsa_reserve_vcc 1
		.amdhsa_float_round_mode_32 0
		.amdhsa_float_round_mode_16_64 0
		.amdhsa_float_denorm_mode_32 3
		.amdhsa_float_denorm_mode_16_64 3
		.amdhsa_dx10_clamp 1
		.amdhsa_ieee_mode 1
		.amdhsa_fp16_overflow 0
		.amdhsa_workgroup_processor_mode 1
		.amdhsa_memory_ordered 1
		.amdhsa_forward_progress 0
		.amdhsa_shared_vgpr_count 0
		.amdhsa_exception_fp_ieee_invalid_op 0
		.amdhsa_exception_fp_denorm_src 0
		.amdhsa_exception_fp_ieee_div_zero 0
		.amdhsa_exception_fp_ieee_overflow 0
		.amdhsa_exception_fp_ieee_underflow 0
		.amdhsa_exception_fp_ieee_inexact 0
		.amdhsa_exception_int_div_zero 0
	.end_amdhsa_kernel
	.section	.text._ZN9rocsolver6v33100L14set_triangularIdPdTnNSt9enable_ifIXnt18rocblas_is_complexIT_EEiE4typeELi0EEEviiT0_iilPS4_lS8_il15rocblas_direct_15rocblas_storev_b,"axG",@progbits,_ZN9rocsolver6v33100L14set_triangularIdPdTnNSt9enable_ifIXnt18rocblas_is_complexIT_EEiE4typeELi0EEEviiT0_iilPS4_lS8_il15rocblas_direct_15rocblas_storev_b,comdat
.Lfunc_end109:
	.size	_ZN9rocsolver6v33100L14set_triangularIdPdTnNSt9enable_ifIXnt18rocblas_is_complexIT_EEiE4typeELi0EEEviiT0_iilPS4_lS8_il15rocblas_direct_15rocblas_storev_b, .Lfunc_end109-_ZN9rocsolver6v33100L14set_triangularIdPdTnNSt9enable_ifIXnt18rocblas_is_complexIT_EEiE4typeELi0EEEviiT0_iilPS4_lS8_il15rocblas_direct_15rocblas_storev_b
                                        ; -- End function
	.section	.AMDGPU.csdata,"",@progbits
; Kernel info:
; codeLenInByte = 2584
; NumSgprs: 24
; NumVgprs: 15
; ScratchSize: 0
; MemoryBound: 0
; FloatMode: 240
; IeeeMode: 1
; LDSByteSize: 0 bytes/workgroup (compile time only)
; SGPRBlocks: 2
; VGPRBlocks: 1
; NumSGPRsForWavesPerEU: 24
; NumVGPRsForWavesPerEU: 15
; Occupancy: 16
; WaveLimiterHint : 0
; COMPUTE_PGM_RSRC2:SCRATCH_EN: 0
; COMPUTE_PGM_RSRC2:USER_SGPR: 13
; COMPUTE_PGM_RSRC2:TRAP_HANDLER: 0
; COMPUTE_PGM_RSRC2:TGID_X_EN: 1
; COMPUTE_PGM_RSRC2:TGID_Y_EN: 1
; COMPUTE_PGM_RSRC2:TGID_Z_EN: 1
; COMPUTE_PGM_RSRC2:TIDIG_COMP_CNT: 1
	.section	.text._ZN9rocsolver6v33100L7set_tauIdEEviPT_l,"axG",@progbits,_ZN9rocsolver6v33100L7set_tauIdEEviPT_l,comdat
	.globl	_ZN9rocsolver6v33100L7set_tauIdEEviPT_l ; -- Begin function _ZN9rocsolver6v33100L7set_tauIdEEviPT_l
	.p2align	8
	.type	_ZN9rocsolver6v33100L7set_tauIdEEviPT_l,@function
_ZN9rocsolver6v33100L7set_tauIdEEviPT_l: ; @_ZN9rocsolver6v33100L7set_tauIdEEviPT_l
; %bb.0:
	s_clause 0x1
	s_load_b32 s2, s[0:1], 0x24
	s_load_b32 s3, s[0:1], 0x0
	s_waitcnt lgkmcnt(0)
	s_and_b32 s2, s2, 0xffff
	s_delay_alu instid0(SALU_CYCLE_1) | instskip(SKIP_1) | instid1(VALU_DEP_1)
	v_mad_u64_u32 v[1:2], null, s14, s2, v[0:1]
	s_mov_b32 s2, exec_lo
	v_cmpx_gt_u32_e64 s3, v1
	s_cbranch_execz .LBB110_2
; %bb.1:
	s_load_b128 s[0:3], s[0:1], 0x8
	v_mov_b32_e32 v2, 0
	s_delay_alu instid0(VALU_DEP_1)
	v_lshlrev_b64 v[0:1], 3, v[1:2]
	s_waitcnt lgkmcnt(0)
	s_mul_i32 s3, s15, s3
	s_mul_hi_u32 s4, s15, s2
	s_mul_i32 s2, s15, s2
	s_add_i32 s3, s4, s3
	s_delay_alu instid0(SALU_CYCLE_1) | instskip(NEXT) | instid1(SALU_CYCLE_1)
	s_lshl_b64 s[2:3], s[2:3], 3
	s_add_u32 s0, s0, s2
	s_addc_u32 s1, s1, s3
	v_add_co_u32 v0, vcc_lo, s0, v0
	v_add_co_ci_u32_e32 v1, vcc_lo, s1, v1, vcc_lo
	global_load_b64 v[2:3], v[0:1], off
	s_waitcnt vmcnt(0)
	v_xor_b32_e32 v3, 0x80000000, v3
	global_store_b64 v[0:1], v[2:3], off
.LBB110_2:
	s_nop 0
	s_sendmsg sendmsg(MSG_DEALLOC_VGPRS)
	s_endpgm
	.section	.rodata,"a",@progbits
	.p2align	6, 0x0
	.amdhsa_kernel _ZN9rocsolver6v33100L7set_tauIdEEviPT_l
		.amdhsa_group_segment_fixed_size 0
		.amdhsa_private_segment_fixed_size 0
		.amdhsa_kernarg_size 280
		.amdhsa_user_sgpr_count 14
		.amdhsa_user_sgpr_dispatch_ptr 0
		.amdhsa_user_sgpr_queue_ptr 0
		.amdhsa_user_sgpr_kernarg_segment_ptr 1
		.amdhsa_user_sgpr_dispatch_id 0
		.amdhsa_user_sgpr_private_segment_size 0
		.amdhsa_wavefront_size32 1
		.amdhsa_uses_dynamic_stack 0
		.amdhsa_enable_private_segment 0
		.amdhsa_system_sgpr_workgroup_id_x 1
		.amdhsa_system_sgpr_workgroup_id_y 1
		.amdhsa_system_sgpr_workgroup_id_z 0
		.amdhsa_system_sgpr_workgroup_info 0
		.amdhsa_system_vgpr_workitem_id 0
		.amdhsa_next_free_vgpr 4
		.amdhsa_next_free_sgpr 16
		.amdhsa_reserve_vcc 1
		.amdhsa_float_round_mode_32 0
		.amdhsa_float_round_mode_16_64 0
		.amdhsa_float_denorm_mode_32 3
		.amdhsa_float_denorm_mode_16_64 3
		.amdhsa_dx10_clamp 1
		.amdhsa_ieee_mode 1
		.amdhsa_fp16_overflow 0
		.amdhsa_workgroup_processor_mode 1
		.amdhsa_memory_ordered 1
		.amdhsa_forward_progress 0
		.amdhsa_shared_vgpr_count 0
		.amdhsa_exception_fp_ieee_invalid_op 0
		.amdhsa_exception_fp_denorm_src 0
		.amdhsa_exception_fp_ieee_div_zero 0
		.amdhsa_exception_fp_ieee_overflow 0
		.amdhsa_exception_fp_ieee_underflow 0
		.amdhsa_exception_fp_ieee_inexact 0
		.amdhsa_exception_int_div_zero 0
	.end_amdhsa_kernel
	.section	.text._ZN9rocsolver6v33100L7set_tauIdEEviPT_l,"axG",@progbits,_ZN9rocsolver6v33100L7set_tauIdEEviPT_l,comdat
.Lfunc_end110:
	.size	_ZN9rocsolver6v33100L7set_tauIdEEviPT_l, .Lfunc_end110-_ZN9rocsolver6v33100L7set_tauIdEEviPT_l
                                        ; -- End function
	.section	.AMDGPU.csdata,"",@progbits
; Kernel info:
; codeLenInByte = 172
; NumSgprs: 18
; NumVgprs: 4
; ScratchSize: 0
; MemoryBound: 0
; FloatMode: 240
; IeeeMode: 1
; LDSByteSize: 0 bytes/workgroup (compile time only)
; SGPRBlocks: 2
; VGPRBlocks: 0
; NumSGPRsForWavesPerEU: 18
; NumVGPRsForWavesPerEU: 4
; Occupancy: 16
; WaveLimiterHint : 0
; COMPUTE_PGM_RSRC2:SCRATCH_EN: 0
; COMPUTE_PGM_RSRC2:USER_SGPR: 14
; COMPUTE_PGM_RSRC2:TRAP_HANDLER: 0
; COMPUTE_PGM_RSRC2:TGID_X_EN: 1
; COMPUTE_PGM_RSRC2:TGID_Y_EN: 1
; COMPUTE_PGM_RSRC2:TGID_Z_EN: 0
; COMPUTE_PGM_RSRC2:TIDIG_COMP_CNT: 0
	.section	.text._ZN9rocsolver6v33100L20larft_kernel_forwardIdPdEEv15rocblas_storev_iiT0_iilPT_lS6_il,"axG",@progbits,_ZN9rocsolver6v33100L20larft_kernel_forwardIdPdEEv15rocblas_storev_iiT0_iilPT_lS6_il,comdat
	.globl	_ZN9rocsolver6v33100L20larft_kernel_forwardIdPdEEv15rocblas_storev_iiT0_iilPT_lS6_il ; -- Begin function _ZN9rocsolver6v33100L20larft_kernel_forwardIdPdEEv15rocblas_storev_iiT0_iilPT_lS6_il
	.p2align	8
	.type	_ZN9rocsolver6v33100L20larft_kernel_forwardIdPdEEv15rocblas_storev_iiT0_iilPT_lS6_il,@function
_ZN9rocsolver6v33100L20larft_kernel_forwardIdPdEEv15rocblas_storev_iiT0_iilPT_lS6_il: ; @_ZN9rocsolver6v33100L20larft_kernel_forwardIdPdEEv15rocblas_storev_iiT0_iilPT_lS6_il
; %bb.0:
	s_clause 0x4
	s_load_b64 s[20:21], s[0:1], 0x48
	s_load_b128 s[16:19], s[0:1], 0x0
	s_load_b32 s13, s[0:1], 0x5c
	s_load_b256 s[4:11], s[0:1], 0x20
	s_load_b32 s3, s[0:1], 0x40
	s_ashr_i32 s12, s15, 31
	v_lshlrev_b32_e32 v8, 3, v0
	s_waitcnt lgkmcnt(0)
	s_mul_i32 s2, s15, s21
	s_mul_hi_u32 s14, s15, s20
	s_mul_i32 s19, s12, s20
	s_add_i32 s2, s14, s2
	s_mul_i32 s20, s15, s20
	s_add_i32 s21, s2, s19
	v_cmp_gt_i32_e64 s2, s18, v0
	s_lshl_b64 s[20:21], s[20:21], 3
	s_and_b32 s19, s13, 0xffff
	s_add_u32 s24, s10, s20
	s_addc_u32 s25, s11, s21
	s_and_saveexec_b32 s10, s2
	s_cbranch_execz .LBB111_5
; %bb.1:
	v_add_nc_u32_e32 v1, 8, v8
	s_lshl_b32 s13, s18, 3
	v_mov_b32_e32 v5, v0
	s_add_i32 s14, s13, 8
	s_add_i32 s20, s3, 1
	v_mul_lo_u32 v3, s18, v1
	v_mad_u64_u32 v[1:2], null, v0, s3, v[0:1]
	s_mov_b32 s11, 0
	s_mul_i32 s14, s14, s19
	s_mul_i32 s20, s20, s19
	s_delay_alu instid0(VALU_DEP_2)
	v_add3_u32 v4, v3, v8, 0
	.p2align	6
.LBB111_2:                              ; =>This Loop Header: Depth=1
                                        ;     Child Loop BB111_3 Depth 2
	s_delay_alu instid0(VALU_DEP_2) | instskip(NEXT) | instid1(VALU_DEP_2)
	v_mov_b32_e32 v2, v1
	v_dual_mov_b32 v6, v4 :: v_dual_mov_b32 v7, v5
	s_mov_b32 s21, 0
	.p2align	6
.LBB111_3:                              ;   Parent Loop BB111_2 Depth=1
                                        ; =>  This Inner Loop Header: Depth=2
	s_delay_alu instid0(VALU_DEP_2) | instskip(NEXT) | instid1(VALU_DEP_2)
	v_ashrrev_i32_e32 v3, 31, v2
	v_add_nc_u32_e32 v7, 1, v7
	s_delay_alu instid0(VALU_DEP_2) | instskip(SKIP_1) | instid1(VALU_DEP_2)
	v_lshlrev_b64 v[9:10], 3, v[2:3]
	v_add_nc_u32_e32 v2, s3, v2
	v_add_co_u32 v9, vcc_lo, s24, v9
	s_delay_alu instid0(VALU_DEP_3)
	v_add_co_ci_u32_e32 v10, vcc_lo, s25, v10, vcc_lo
	v_cmp_le_i32_e32 vcc_lo, s18, v7
	global_load_b64 v[9:10], v[9:10], off
	s_or_b32 s21, vcc_lo, s21
	s_waitcnt vmcnt(0)
	ds_store_b64 v6, v[9:10]
	v_add_nc_u32_e32 v6, s13, v6
	s_and_not1_b32 exec_lo, exec_lo, s21
	s_cbranch_execnz .LBB111_3
; %bb.4:                                ;   in Loop: Header=BB111_2 Depth=1
	s_or_b32 exec_lo, exec_lo, s21
	v_add_nc_u32_e32 v5, s19, v5
	v_add_nc_u32_e32 v4, s14, v4
	;; [unrolled: 1-line block ×3, first 2 shown]
	s_delay_alu instid0(VALU_DEP_3) | instskip(SKIP_1) | instid1(SALU_CYCLE_1)
	v_cmp_le_i32_e32 vcc_lo, s18, v5
	s_or_b32 s11, vcc_lo, s11
	s_and_not1_b32 exec_lo, exec_lo, s11
	s_cbranch_execnz .LBB111_2
.LBB111_5:
	s_or_b32 exec_lo, exec_lo, s10
	s_cmp_lt_i32 s18, 2
	s_waitcnt lgkmcnt(0)
	s_barrier
	buffer_gl0_inv
	s_cbranch_scc1 .LBB111_30
; %bb.6:
	s_load_b128 s[20:23], s[0:1], 0x10
	s_mul_i32 s1, s15, s9
	s_mul_hi_u32 s10, s15, s8
	s_mul_i32 s11, s12, s8
	s_add_i32 s1, s10, s1
	s_mul_i32 s0, s15, s8
	s_add_i32 s1, s1, s11
	s_mul_i32 s11, s5, s15
	s_lshl_b64 s[0:1], s[0:1], 3
	s_mul_i32 s12, s4, s12
	s_mul_hi_u32 s10, s4, s15
	v_add_nc_u32_e32 v3, 8, v8
	v_add_nc_u32_e32 v11, 0, v8
	s_mov_b32 s9, 0
	s_mov_b32 s8, 1
	s_delay_alu instid0(VALU_DEP_2)
	v_mul_lo_u32 v3, s18, v3
	s_waitcnt lgkmcnt(0)
	s_ashr_i32 s5, s22, 31
	s_add_u32 s26, s6, s0
	s_addc_u32 s27, s7, s1
	s_lshl_b32 s28, s18, 3
	s_mul_i32 s0, s4, s15
	s_add_i32 s29, s28, 0
	s_cmpk_lg_i32 s16, 0xb5
	s_mov_b32 s4, s22
	s_cselect_b32 s16, -1, 0
	s_add_i32 s1, s10, s12
	s_mov_b32 s6, s23
	s_add_i32 s1, s1, s11
	v_mul_lo_u32 v9, v0, s23
	s_lshl_b64 s[0:1], s[0:1], 3
	v_add3_u32 v10, v3, v8, 0
	s_add_u32 s22, s0, 8
	s_addc_u32 s30, s1, 0
	s_lshl_b64 s[10:11], s[4:5], 3
	v_add_co_u32 v1, s4, s0, v8
	s_add_u32 s31, s20, s10
	s_addc_u32 s33, s21, s11
	s_ashr_i32 s7, s23, 31
	v_add_co_ci_u32_e64 v2, null, s1, 0, s4
	s_lshl_b32 s4, s23, 1
	s_lshl_b32 s34, s19, 3
	s_lshl_b64 s[6:7], s[6:7], 3
	s_add_u32 s0, s0, s10
	s_addc_u32 s1, s1, s11
	s_add_u32 s0, s0, s20
	s_addc_u32 s1, s1, s21
	;; [unrolled: 2-line block ×3, first 2 shown]
	s_add_i32 s36, s28, 8
	s_mul_i32 s35, s23, s19
	s_mul_i32 s36, s36, s19
	s_mov_b32 s10, s23
	s_branch .LBB111_8
.LBB111_7:                              ;   in Loop: Header=BB111_8 Depth=1
	s_or_b32 exec_lo, exec_lo, s0
	s_add_i32 s8, s8, 1
	s_add_u32 s22, s22, 8
	s_addc_u32 s30, s30, 0
	s_add_i32 s4, s4, s23
	s_add_u32 s20, s20, 8
	s_addc_u32 s21, s21, 0
	s_add_i32 s10, s10, s23
	s_cmp_eq_u32 s8, s18
	s_waitcnt lgkmcnt(0)
	s_barrier
	buffer_gl0_inv
	s_cbranch_scc1 .LBB111_30
.LBB111_8:                              ; =>This Loop Header: Depth=1
                                        ;     Child Loop BB111_12 Depth 2
                                        ;       Child Loop BB111_14 Depth 3
                                        ;     Child Loop BB111_21 Depth 2
                                        ;       Child Loop BB111_23 Depth 3
	;; [unrolled: 2-line block ×3, first 2 shown]
	s_mul_i32 s0, s8, s18
	s_not_b32 s38, s8
	s_lshl_b32 s0, s0, 3
	s_add_i32 s38, s38, s17
	s_add_i32 s37, s29, s0
	v_cmp_gt_u32_e64 s0, s8, v0
	s_and_b32 vcc_lo, exec_lo, s16
	s_mov_b32 s1, -1
	s_cbranch_vccz .LBB111_16
; %bb.9:                                ;   in Loop: Header=BB111_8 Depth=1
	s_delay_alu instid0(VALU_DEP_1)
	s_and_saveexec_b32 s11, s0
	s_cbranch_execz .LBB111_15
; %bb.10:                               ;   in Loop: Header=BB111_8 Depth=1
	s_ashr_i32 s5, s4, 31
	v_dual_mov_b32 v4, v2 :: v_dual_mov_b32 v3, v1
	s_lshl_b64 s[0:1], s[4:5], 3
	v_mov_b32_e32 v7, v0
	s_add_u32 s12, s31, s0
	s_addc_u32 s13, s33, s1
	s_cmp_gt_i32 s38, 0
	s_mov_b32 s39, 0
	s_cselect_b32 s5, -1, 0
	s_lshl_b64 s[0:1], s[8:9], 3
	s_delay_alu instid0(SALU_CYCLE_1)
	s_add_u32 s0, s26, s0
	s_addc_u32 s1, s27, s1
	s_load_b64 s[14:15], s[0:1], 0x0
	s_set_inst_prefetch_distance 0x1
	s_branch .LBB111_12
	.p2align	6
.LBB111_11:                             ;   in Loop: Header=BB111_12 Depth=2
	v_lshlrev_b32_e32 v14, 3, v7
	v_add_nc_u32_e32 v7, s19, v7
	v_add_co_u32 v3, s0, v3, s34
	s_delay_alu instid0(VALU_DEP_1) | instskip(NEXT) | instid1(VALU_DEP_4)
	v_add_co_ci_u32_e64 v4, s0, 0, v4, s0
	v_add_nc_u32_e32 v12, s37, v14
	s_delay_alu instid0(VALU_DEP_4)
	v_cmp_le_u32_e32 vcc_lo, s8, v7
	ds_load_b64 v[12:13], v12
	s_or_b32 s39, vcc_lo, s39
	s_waitcnt lgkmcnt(0)
	v_fma_f64 v[5:6], v[5:6], s[14:15], v[12:13]
	v_add_nc_u32_e32 v12, 0, v14
	ds_store_b64 v12, v[5:6]
	s_and_not1_b32 exec_lo, exec_lo, s39
	s_cbranch_execz .LBB111_15
.LBB111_12:                             ;   Parent Loop BB111_8 Depth=1
                                        ; =>  This Loop Header: Depth=2
                                        ;       Child Loop BB111_14 Depth 3
	v_mov_b32_e32 v5, 0
	v_mov_b32_e32 v6, 0
	s_and_not1_b32 vcc_lo, exec_lo, s5
	s_cbranch_vccnz .LBB111_11
; %bb.13:                               ;   in Loop: Header=BB111_12 Depth=2
	s_mov_b32 s40, 0
	s_mov_b64 s[0:1], s[12:13]
	.p2align	6
.LBB111_14:                             ;   Parent Loop BB111_8 Depth=1
                                        ;     Parent Loop BB111_12 Depth=2
                                        ; =>    This Inner Loop Header: Depth=3
	s_delay_alu instid0(SALU_CYCLE_1)
	v_add_co_u32 v12, vcc_lo, s0, v3
	v_add_co_ci_u32_e32 v13, vcc_lo, s1, v4, vcc_lo
	s_add_u32 s42, s0, s22
	s_addc_u32 s43, s1, s30
	s_add_i32 s40, s40, 1
	global_load_b64 v[12:13], v[12:13], off
	s_load_b64 s[42:43], s[42:43], 0x0
	s_add_u32 s0, s0, s6
	s_addc_u32 s1, s1, s7
	s_cmp_ge_i32 s40, s38
	s_waitcnt vmcnt(0) lgkmcnt(0)
	v_fma_f64 v[5:6], v[12:13], s[42:43], v[5:6]
	s_cbranch_scc0 .LBB111_14
	s_branch .LBB111_11
.LBB111_15:                             ;   in Loop: Header=BB111_8 Depth=1
	s_set_inst_prefetch_distance 0x2
	s_or_b32 exec_lo, exec_lo, s11
	s_mov_b32 s1, 0
.LBB111_16:                             ;   in Loop: Header=BB111_8 Depth=1
	s_delay_alu instid0(SALU_CYCLE_1)
	s_and_not1_b32 vcc_lo, exec_lo, s1
	s_cbranch_vccnz .LBB111_25
; %bb.17:                               ;   in Loop: Header=BB111_8 Depth=1
	s_mov_b32 s5, exec_lo
	v_cmpx_gt_u32_e64 s8, v0
	s_cbranch_execz .LBB111_24
; %bb.18:                               ;   in Loop: Header=BB111_8 Depth=1
	s_ashr_i32 s11, s10, 31
	v_dual_mov_b32 v3, v9 :: v_dual_mov_b32 v12, v0
	s_lshl_b64 s[0:1], s[10:11], 3
	s_mov_b32 s39, 0
	s_add_u32 s0, s20, s0
	s_addc_u32 s1, s21, s1
	s_cmp_gt_i32 s38, 0
	s_cselect_b32 s11, -1, 0
	s_lshl_b64 s[12:13], s[8:9], 3
	s_delay_alu instid0(SALU_CYCLE_1)
	s_add_u32 s12, s26, s12
	s_addc_u32 s13, s27, s13
	s_load_b64 s[12:13], s[12:13], 0x0
	s_set_inst_prefetch_distance 0x1
	s_branch .LBB111_21
	.p2align	6
.LBB111_19:                             ;   in Loop: Header=BB111_21 Depth=2
	v_mov_b32_e32 v4, 0
	v_mov_b32_e32 v5, 0
.LBB111_20:                             ;   in Loop: Header=BB111_21 Depth=2
	v_lshlrev_b32_e32 v13, 3, v12
	v_add_nc_u32_e32 v12, s19, v12
	v_add_nc_u32_e32 v3, s35, v3
	s_delay_alu instid0(VALU_DEP_3) | instskip(NEXT) | instid1(VALU_DEP_3)
	v_add_nc_u32_e32 v6, s37, v13
	v_cmp_le_u32_e32 vcc_lo, s8, v12
	ds_load_b64 v[6:7], v6
	s_or_b32 s39, vcc_lo, s39
	s_waitcnt lgkmcnt(0)
	v_fma_f64 v[4:5], v[4:5], s[12:13], v[6:7]
	v_add_nc_u32_e32 v6, 0, v13
	ds_store_b64 v6, v[4:5]
	s_and_not1_b32 exec_lo, exec_lo, s39
	s_cbranch_execz .LBB111_24
.LBB111_21:                             ;   Parent Loop BB111_8 Depth=1
                                        ; =>  This Loop Header: Depth=2
                                        ;       Child Loop BB111_23 Depth 3
	s_and_not1_b32 vcc_lo, exec_lo, s11
	s_cbranch_vccnz .LBB111_19
; %bb.22:                               ;   in Loop: Header=BB111_21 Depth=2
	v_ashrrev_i32_e32 v4, 31, v3
	s_mov_b32 s40, 0
	s_mov_b64 s[14:15], s[0:1]
	s_delay_alu instid0(VALU_DEP_1) | instskip(SKIP_2) | instid1(VALU_DEP_3)
	v_lshlrev_b64 v[6:7], 3, v[3:4]
	v_mov_b32_e32 v4, 0
	v_mov_b32_e32 v5, 0
	v_add_co_u32 v6, vcc_lo, s20, v6
	s_delay_alu instid0(VALU_DEP_4)
	v_add_co_ci_u32_e32 v7, vcc_lo, s21, v7, vcc_lo
.LBB111_23:                             ;   Parent Loop BB111_8 Depth=1
                                        ;     Parent Loop BB111_21 Depth=2
                                        ; =>    This Inner Loop Header: Depth=3
	global_load_b64 v[13:14], v[6:7], off
	s_load_b64 s[42:43], s[14:15], 0x0
	v_add_co_u32 v6, vcc_lo, v6, 8
	s_add_i32 s40, s40, 1
	v_add_co_ci_u32_e32 v7, vcc_lo, 0, v7, vcc_lo
	s_add_u32 s14, s14, 8
	s_addc_u32 s15, s15, 0
	s_cmp_ge_i32 s40, s38
	s_waitcnt vmcnt(0) lgkmcnt(0)
	v_fma_f64 v[4:5], v[13:14], s[42:43], v[4:5]
	s_cbranch_scc0 .LBB111_23
	s_branch .LBB111_20
.LBB111_24:                             ;   in Loop: Header=BB111_8 Depth=1
	s_set_inst_prefetch_distance 0x2
	s_or_b32 exec_lo, exec_lo, s5
.LBB111_25:                             ;   in Loop: Header=BB111_8 Depth=1
	s_delay_alu instid0(SALU_CYCLE_1)
	s_mov_b32 s0, exec_lo
	s_waitcnt lgkmcnt(0)
	s_barrier
	buffer_gl0_inv
	v_cmpx_gt_u32_e64 s8, v0
	s_cbranch_execz .LBB111_7
; %bb.26:                               ;   in Loop: Header=BB111_8 Depth=1
	v_dual_mov_b32 v5, v11 :: v_dual_mov_b32 v6, v10
	v_mov_b32_e32 v7, v0
	s_mov_b32 s1, 0
	.p2align	6
.LBB111_27:                             ;   Parent Loop BB111_8 Depth=1
                                        ; =>  This Loop Header: Depth=2
                                        ;       Child Loop BB111_28 Depth 3
	s_delay_alu instid0(VALU_DEP_2) | instskip(NEXT) | instid1(VALU_DEP_3)
	v_dual_mov_b32 v3, 0 :: v_dual_mov_b32 v12, v5
	v_dual_mov_b32 v4, 0 :: v_dual_mov_b32 v13, v6
	s_delay_alu instid0(VALU_DEP_3)
	v_mov_b32_e32 v14, v7
	s_mov_b32 s5, 0
.LBB111_28:                             ;   Parent Loop BB111_8 Depth=1
                                        ;     Parent Loop BB111_27 Depth=2
                                        ; =>    This Inner Loop Header: Depth=3
	ds_load_b64 v[15:16], v13
	ds_load_b64 v[17:18], v12
	v_add_nc_u32_e32 v14, 1, v14
	v_add_nc_u32_e32 v13, s28, v13
	v_add_nc_u32_e32 v12, 8, v12
	s_delay_alu instid0(VALU_DEP_3)
	v_cmp_le_u32_e32 vcc_lo, s8, v14
	s_or_b32 s5, vcc_lo, s5
	s_waitcnt lgkmcnt(0)
	v_fma_f64 v[3:4], v[15:16], v[17:18], v[3:4]
	s_and_not1_b32 exec_lo, exec_lo, s5
	s_cbranch_execnz .LBB111_28
; %bb.29:                               ;   in Loop: Header=BB111_27 Depth=2
	s_or_b32 exec_lo, exec_lo, s5
	v_lshl_add_u32 v12, v7, 3, s37
	v_add_nc_u32_e32 v7, s19, v7
	v_add_nc_u32_e32 v6, s36, v6
	v_add_nc_u32_e32 v5, s34, v5
	ds_store_b64 v12, v[3:4]
	v_cmp_le_u32_e32 vcc_lo, s8, v7
	s_or_b32 s1, vcc_lo, s1
	s_delay_alu instid0(SALU_CYCLE_1)
	s_and_not1_b32 exec_lo, exec_lo, s1
	s_cbranch_execnz .LBB111_27
	s_branch .LBB111_7
.LBB111_30:
	s_and_saveexec_b32 s0, s2
	s_cbranch_execz .LBB111_35
; %bb.31:
	v_add_nc_u32_e32 v1, 8, v8
	s_lshl_b32 s2, s18, 3
	s_add_i32 s1, s3, 1
	s_add_i32 s5, s2, 8
	s_mul_i32 s1, s1, s19
	v_mul_lo_u32 v3, s18, v1
	v_mad_u64_u32 v[1:2], null, v0, s3, v[0:1]
	s_mov_b32 s4, 0
	s_mul_i32 s5, s5, s19
	s_delay_alu instid0(VALU_DEP_2)
	v_add3_u32 v4, v3, v8, 0
	.p2align	6
.LBB111_32:                             ; =>This Loop Header: Depth=1
                                        ;     Child Loop BB111_33 Depth 2
	s_delay_alu instid0(VALU_DEP_1)
	v_dual_mov_b32 v5, v4 :: v_dual_mov_b32 v2, v1
	v_mov_b32_e32 v6, v0
	s_mov_b32 s6, 0
	.p2align	6
.LBB111_33:                             ;   Parent Loop BB111_32 Depth=1
                                        ; =>  This Inner Loop Header: Depth=2
	ds_load_b64 v[7:8], v5
	v_ashrrev_i32_e32 v3, 31, v2
	v_add_nc_u32_e32 v6, 1, v6
	v_add_nc_u32_e32 v5, s2, v5
	s_delay_alu instid0(VALU_DEP_3) | instskip(NEXT) | instid1(VALU_DEP_3)
	v_lshlrev_b64 v[9:10], 3, v[2:3]
	v_cmp_le_i32_e32 vcc_lo, s18, v6
	v_add_nc_u32_e32 v2, s3, v2
	s_or_b32 s6, vcc_lo, s6
	s_delay_alu instid0(VALU_DEP_3) | instskip(NEXT) | instid1(VALU_DEP_1)
	v_add_co_u32 v9, s0, s24, v9
	v_add_co_ci_u32_e64 v10, s0, s25, v10, s0
	s_waitcnt lgkmcnt(0)
	global_store_b64 v[9:10], v[7:8], off
	s_and_not1_b32 exec_lo, exec_lo, s6
	s_cbranch_execnz .LBB111_33
; %bb.34:                               ;   in Loop: Header=BB111_32 Depth=1
	s_or_b32 exec_lo, exec_lo, s6
	v_add_nc_u32_e32 v0, s19, v0
	v_add_nc_u32_e32 v1, s1, v1
	;; [unrolled: 1-line block ×3, first 2 shown]
	s_delay_alu instid0(VALU_DEP_3) | instskip(SKIP_1) | instid1(SALU_CYCLE_1)
	v_cmp_le_i32_e32 vcc_lo, s18, v0
	s_or_b32 s4, vcc_lo, s4
	s_and_not1_b32 exec_lo, exec_lo, s4
	s_cbranch_execnz .LBB111_32
.LBB111_35:
	s_nop 0
	s_sendmsg sendmsg(MSG_DEALLOC_VGPRS)
	s_endpgm
	.section	.rodata,"a",@progbits
	.p2align	6, 0x0
	.amdhsa_kernel _ZN9rocsolver6v33100L20larft_kernel_forwardIdPdEEv15rocblas_storev_iiT0_iilPT_lS6_il
		.amdhsa_group_segment_fixed_size 0
		.amdhsa_private_segment_fixed_size 0
		.amdhsa_kernarg_size 336
		.amdhsa_user_sgpr_count 14
		.amdhsa_user_sgpr_dispatch_ptr 0
		.amdhsa_user_sgpr_queue_ptr 0
		.amdhsa_user_sgpr_kernarg_segment_ptr 1
		.amdhsa_user_sgpr_dispatch_id 0
		.amdhsa_user_sgpr_private_segment_size 0
		.amdhsa_wavefront_size32 1
		.amdhsa_uses_dynamic_stack 0
		.amdhsa_enable_private_segment 0
		.amdhsa_system_sgpr_workgroup_id_x 1
		.amdhsa_system_sgpr_workgroup_id_y 1
		.amdhsa_system_sgpr_workgroup_id_z 0
		.amdhsa_system_sgpr_workgroup_info 0
		.amdhsa_system_vgpr_workitem_id 0
		.amdhsa_next_free_vgpr 19
		.amdhsa_next_free_sgpr 44
		.amdhsa_reserve_vcc 1
		.amdhsa_float_round_mode_32 0
		.amdhsa_float_round_mode_16_64 0
		.amdhsa_float_denorm_mode_32 3
		.amdhsa_float_denorm_mode_16_64 3
		.amdhsa_dx10_clamp 1
		.amdhsa_ieee_mode 1
		.amdhsa_fp16_overflow 0
		.amdhsa_workgroup_processor_mode 1
		.amdhsa_memory_ordered 1
		.amdhsa_forward_progress 0
		.amdhsa_shared_vgpr_count 0
		.amdhsa_exception_fp_ieee_invalid_op 0
		.amdhsa_exception_fp_denorm_src 0
		.amdhsa_exception_fp_ieee_div_zero 0
		.amdhsa_exception_fp_ieee_overflow 0
		.amdhsa_exception_fp_ieee_underflow 0
		.amdhsa_exception_fp_ieee_inexact 0
		.amdhsa_exception_int_div_zero 0
	.end_amdhsa_kernel
	.section	.text._ZN9rocsolver6v33100L20larft_kernel_forwardIdPdEEv15rocblas_storev_iiT0_iilPT_lS6_il,"axG",@progbits,_ZN9rocsolver6v33100L20larft_kernel_forwardIdPdEEv15rocblas_storev_iiT0_iilPT_lS6_il,comdat
.Lfunc_end111:
	.size	_ZN9rocsolver6v33100L20larft_kernel_forwardIdPdEEv15rocblas_storev_iiT0_iilPT_lS6_il, .Lfunc_end111-_ZN9rocsolver6v33100L20larft_kernel_forwardIdPdEEv15rocblas_storev_iiT0_iilPT_lS6_il
                                        ; -- End function
	.section	.AMDGPU.csdata,"",@progbits
; Kernel info:
; codeLenInByte = 1680
; NumSgprs: 46
; NumVgprs: 19
; ScratchSize: 0
; MemoryBound: 0
; FloatMode: 240
; IeeeMode: 1
; LDSByteSize: 0 bytes/workgroup (compile time only)
; SGPRBlocks: 5
; VGPRBlocks: 2
; NumSGPRsForWavesPerEU: 46
; NumVGPRsForWavesPerEU: 19
; Occupancy: 16
; WaveLimiterHint : 0
; COMPUTE_PGM_RSRC2:SCRATCH_EN: 0
; COMPUTE_PGM_RSRC2:USER_SGPR: 14
; COMPUTE_PGM_RSRC2:TRAP_HANDLER: 0
; COMPUTE_PGM_RSRC2:TGID_X_EN: 1
; COMPUTE_PGM_RSRC2:TGID_Y_EN: 1
; COMPUTE_PGM_RSRC2:TGID_Z_EN: 0
; COMPUTE_PGM_RSRC2:TIDIG_COMP_CNT: 0
	.section	.text._ZN9rocsolver6v33100L21larft_kernel_backwardIdPdEEv15rocblas_storev_iiT0_iilPT_lS6_il,"axG",@progbits,_ZN9rocsolver6v33100L21larft_kernel_backwardIdPdEEv15rocblas_storev_iiT0_iilPT_lS6_il,comdat
	.globl	_ZN9rocsolver6v33100L21larft_kernel_backwardIdPdEEv15rocblas_storev_iiT0_iilPT_lS6_il ; -- Begin function _ZN9rocsolver6v33100L21larft_kernel_backwardIdPdEEv15rocblas_storev_iiT0_iilPT_lS6_il
	.p2align	8
	.type	_ZN9rocsolver6v33100L21larft_kernel_backwardIdPdEEv15rocblas_storev_iiT0_iilPT_lS6_il,@function
_ZN9rocsolver6v33100L21larft_kernel_backwardIdPdEEv15rocblas_storev_iiT0_iilPT_lS6_il: ; @_ZN9rocsolver6v33100L21larft_kernel_backwardIdPdEEv15rocblas_storev_iiT0_iilPT_lS6_il
; %bb.0:
	s_clause 0x4
	s_load_b64 s[20:21], s[0:1], 0x48
	s_load_b128 s[16:19], s[0:1], 0x0
	s_load_b32 s13, s[0:1], 0x5c
	s_load_b256 s[4:11], s[0:1], 0x20
	s_load_b32 s3, s[0:1], 0x40
	s_ashr_i32 s12, s15, 31
	v_add_nc_u32_e32 v8, 1, v0
	v_lshlrev_b32_e32 v9, 3, v0
	s_waitcnt lgkmcnt(0)
	s_mul_i32 s2, s15, s21
	s_mul_hi_u32 s14, s15, s20
	s_mul_i32 s19, s12, s20
	s_add_i32 s2, s14, s2
	s_mul_i32 s20, s15, s20
	s_add_i32 s21, s2, s19
	v_cmp_gt_i32_e64 s2, s18, v0
	s_lshl_b64 s[20:21], s[20:21], 3
	s_and_b32 s19, s13, 0xffff
	s_add_u32 s24, s10, s20
	s_addc_u32 s25, s11, s21
	s_and_saveexec_b32 s10, s2
	s_cbranch_execz .LBB112_5
; %bb.1:
	s_lshl_b32 s11, s18, 3
	v_add_nc_u32_e32 v3, 1, v0
	v_add3_u32 v4, 0, s11, v9
	v_mov_b32_e32 v5, v0
	s_mov_b32 s13, 0
	s_lshl_b32 s14, s19, 3
	.p2align	6
.LBB112_2:                              ; =>This Loop Header: Depth=1
                                        ;     Child Loop BB112_3 Depth 2
	s_delay_alu instid0(VALU_DEP_1)
	v_dual_mov_b32 v1, v5 :: v_dual_mov_b32 v6, v4
	s_mov_b32 s20, 0
	s_mov_b32 s21, 0
	.p2align	6
.LBB112_3:                              ;   Parent Loop BB112_2 Depth=1
                                        ; =>  This Inner Loop Header: Depth=2
	s_delay_alu instid0(VALU_DEP_1) | instskip(SKIP_1) | instid1(VALU_DEP_1)
	v_ashrrev_i32_e32 v2, 31, v1
	s_add_i32 s21, s21, 1
	v_lshlrev_b64 v[10:11], 3, v[1:2]
	v_add_nc_u32_e32 v1, s3, v1
	s_delay_alu instid0(VALU_DEP_2) | instskip(NEXT) | instid1(VALU_DEP_3)
	v_add_co_u32 v10, vcc_lo, s24, v10
	v_add_co_ci_u32_e32 v11, vcc_lo, s25, v11, vcc_lo
	v_cmp_eq_u32_e32 vcc_lo, s21, v3
	global_load_b64 v[10:11], v[10:11], off
	s_or_b32 s20, vcc_lo, s20
	s_waitcnt vmcnt(0)
	ds_store_b64 v6, v[10:11]
	v_add_nc_u32_e32 v6, s11, v6
	s_and_not1_b32 exec_lo, exec_lo, s20
	s_cbranch_execnz .LBB112_3
; %bb.4:                                ;   in Loop: Header=BB112_2 Depth=1
	s_or_b32 exec_lo, exec_lo, s20
	v_add_nc_u32_e32 v5, s19, v5
	v_add_nc_u32_e32 v3, s19, v3
	v_add_nc_u32_e32 v4, s14, v4
	s_delay_alu instid0(VALU_DEP_3) | instskip(SKIP_1) | instid1(SALU_CYCLE_1)
	v_cmp_le_i32_e32 vcc_lo, s18, v5
	s_or_b32 s13, vcc_lo, s13
	s_and_not1_b32 exec_lo, exec_lo, s13
	s_cbranch_execnz .LBB112_2
.LBB112_5:
	s_or_b32 exec_lo, exec_lo, s10
	s_cmp_lt_i32 s18, 2
	s_waitcnt lgkmcnt(0)
	s_barrier
	buffer_gl0_inv
	s_cbranch_scc1 .LBB112_30
; %bb.6:
	s_load_b128 s[20:23], s[0:1], 0x10
	s_mul_i32 s1, s15, s9
	s_mul_hi_u32 s9, s15, s8
	s_mul_i32 s10, s12, s8
	s_add_i32 s1, s9, s1
	s_mul_i32 s0, s15, s8
	s_add_i32 s1, s1, s10
	s_mul_i32 s10, s5, s15
	s_lshl_b64 s[0:1], s[0:1], 3
	s_mul_i32 s8, s4, s12
	s_mul_hi_u32 s9, s4, s15
	s_waitcnt lgkmcnt(0)
	s_ashr_i32 s5, s22, 31
	s_add_u32 s26, s6, s0
	s_addc_u32 s27, s7, s1
	s_lshl_b32 s28, s18, 3
	s_add_i32 s6, s18, -2
	s_sub_i32 s17, s17, s18
	s_add_i32 s29, s28, 0
	s_cmpk_lg_i32 s16, 0xb5
	s_mul_i32 s0, s4, s15
	s_cselect_b32 s16, -1, 0
	s_add_i32 s1, s9, s8
	s_mov_b32 s4, s22
	s_add_i32 s1, s1, s10
	s_lshl_b64 s[4:5], s[4:5], 3
	s_lshl_b64 s[0:1], s[0:1], 3
	s_mov_b32 s7, 0
	s_add_u32 s8, s0, s4
	s_addc_u32 s9, s1, s5
	s_lshl_b64 s[0:1], s[6:7], 3
	s_mov_b32 s4, s23
	s_add_u32 s5, s8, s0
	s_addc_u32 s10, s9, s1
	s_add_u32 s22, s20, s5
	s_addc_u32 s30, s21, s10
	s_ashr_i32 s5, s23, 31
	v_mul_lo_u32 v10, v0, s23
	s_lshl_b64 s[4:5], s[4:5], 3
	s_add_u32 s20, s20, s8
	s_addc_u32 s21, s21, s9
	s_add_u32 s0, s20, s0
	s_addc_u32 s1, s21, s1
	v_add_co_u32 v1, s0, s0, v9
	s_add_i32 s9, s28, 8
	v_add_co_ci_u32_e64 v2, null, s1, 0, s0
	s_mul_i32 s0, s18, s9
	s_delay_alu instid0(VALU_DEP_2) | instskip(SKIP_1) | instid1(VALU_DEP_2)
	v_add_co_u32 v1, vcc_lo, v1, 8
	s_add_i32 s0, s0, 0
	v_add_co_ci_u32_e32 v2, vcc_lo, 0, v2, vcc_lo
	v_add3_u32 v11, s0, v9, -8
	s_add_i32 s8, s18, -1
	s_lshl_b32 s31, s19, 3
	s_mul_i32 s8, s23, s8
	s_mul_i32 s33, s23, s19
	;; [unrolled: 1-line block ×3, first 2 shown]
	s_xor_b32 s34, s28, -8
	s_branch .LBB112_8
.LBB112_7:                              ;   in Loop: Header=BB112_8 Depth=1
	s_or_b32 exec_lo, exec_lo, s0
	v_add_co_u32 v1, vcc_lo, v1, -8
	s_add_i32 s0, s6, -1
	v_add_co_ci_u32_e32 v2, vcc_lo, -1, v2, vcc_lo
	v_add_nc_u32_e32 v11, s34, v11
	s_add_u32 s22, s22, -8
	s_addc_u32 s30, s30, -1
	s_sub_i32 s8, s8, s23
	s_sub_i32 s10, s10, s23
	s_cmp_lt_i32 s6, 1
	s_mov_b32 s6, s0
	s_waitcnt lgkmcnt(0)
	s_barrier
	buffer_gl0_inv
	s_cbranch_scc1 .LBB112_30
.LBB112_8:                              ; =>This Loop Header: Depth=1
                                        ;     Child Loop BB112_12 Depth 2
                                        ;       Child Loop BB112_14 Depth 3
                                        ;     Child Loop BB112_21 Depth 2
                                        ;       Child Loop BB112_23 Depth 3
	;; [unrolled: 2-line block ×3, first 2 shown]
	s_not_b32 s35, s6
	s_lshl_b32 s0, s6, 3
	s_mul_i32 s1, s6, s18
	s_add_i32 s35, s35, s18
	s_add_i32 s36, s29, s0
	s_lshl_b32 s0, s1, 3
	s_add_i32 s37, s6, s17
	s_add_i32 s36, s36, s0
	v_cmp_gt_i32_e64 s0, s35, v0
	s_and_b32 vcc_lo, exec_lo, s16
	s_mov_b32 s1, -1
	s_cbranch_vccz .LBB112_16
; %bb.9:                                ;   in Loop: Header=BB112_8 Depth=1
	s_delay_alu instid0(VALU_DEP_1)
	s_and_saveexec_b32 s9, s0
	s_cbranch_execz .LBB112_15
; %bb.10:                               ;   in Loop: Header=BB112_8 Depth=1
	s_cmp_gt_i32 s37, 0
	v_dual_mov_b32 v4, v2 :: v_dual_mov_b32 v3, v1
	s_cselect_b32 s11, -1, 0
	s_lshl_b64 s[0:1], s[6:7], 3
	v_mov_b32_e32 v7, v0
	s_add_u32 s0, s26, s0
	s_addc_u32 s1, s27, s1
	s_mov_b32 s14, 0
	s_load_b64 s[12:13], s[0:1], 0x0
	s_add_i32 s15, s36, 8
	s_set_inst_prefetch_distance 0x1
	s_branch .LBB112_12
	.p2align	6
.LBB112_11:                             ;   in Loop: Header=BB112_12 Depth=2
	v_lshlrev_b32_e32 v14, 3, v7
	v_add_nc_u32_e32 v7, s19, v7
	v_add_co_u32 v3, s0, v3, s31
	s_delay_alu instid0(VALU_DEP_1) | instskip(NEXT) | instid1(VALU_DEP_4)
	v_add_co_ci_u32_e64 v4, s0, 0, v4, s0
	v_add_nc_u32_e32 v12, s15, v14
	s_delay_alu instid0(VALU_DEP_4)
	v_cmp_le_i32_e32 vcc_lo, s35, v7
	ds_load_b64 v[12:13], v12
	s_or_b32 s14, vcc_lo, s14
	s_waitcnt lgkmcnt(0)
	v_fma_f64 v[5:6], v[5:6], s[12:13], v[12:13]
	v_add_nc_u32_e32 v12, 0, v14
	ds_store_b64 v12, v[5:6]
	s_and_not1_b32 exec_lo, exec_lo, s14
	s_cbranch_execz .LBB112_15
.LBB112_12:                             ;   Parent Loop BB112_8 Depth=1
                                        ; =>  This Loop Header: Depth=2
                                        ;       Child Loop BB112_14 Depth 3
	v_mov_b32_e32 v5, 0
	v_mov_b32_e32 v6, 0
	s_and_not1_b32 vcc_lo, exec_lo, s11
	s_cbranch_vccnz .LBB112_11
; %bb.13:                               ;   in Loop: Header=BB112_12 Depth=2
	s_mov_b32 s38, 0
	s_mov_b64 s[0:1], 0
	.p2align	6
.LBB112_14:                             ;   Parent Loop BB112_8 Depth=1
                                        ;     Parent Loop BB112_12 Depth=2
                                        ; =>    This Inner Loop Header: Depth=3
	s_delay_alu instid0(SALU_CYCLE_1)
	v_add_co_u32 v12, vcc_lo, v3, s0
	v_add_co_ci_u32_e32 v13, vcc_lo, s1, v4, vcc_lo
	s_add_u32 s40, s22, s0
	s_addc_u32 s41, s30, s1
	s_add_i32 s38, s38, 1
	global_load_b64 v[12:13], v[12:13], off
	s_load_b64 s[40:41], s[40:41], 0x0
	s_add_u32 s0, s0, s4
	s_addc_u32 s1, s1, s5
	s_cmp_ge_i32 s38, s37
	s_waitcnt vmcnt(0) lgkmcnt(0)
	v_fma_f64 v[5:6], v[12:13], s[40:41], v[5:6]
	s_cbranch_scc0 .LBB112_14
	s_branch .LBB112_11
.LBB112_15:                             ;   in Loop: Header=BB112_8 Depth=1
	s_set_inst_prefetch_distance 0x2
	s_or_b32 exec_lo, exec_lo, s9
	s_mov_b32 s1, 0
.LBB112_16:                             ;   in Loop: Header=BB112_8 Depth=1
	s_delay_alu instid0(SALU_CYCLE_1)
	s_and_not1_b32 vcc_lo, exec_lo, s1
	s_cbranch_vccnz .LBB112_25
; %bb.17:                               ;   in Loop: Header=BB112_8 Depth=1
	s_mov_b32 s38, exec_lo
	v_cmpx_gt_i32_e64 s35, v0
	s_cbranch_execz .LBB112_24
; %bb.18:                               ;   in Loop: Header=BB112_8 Depth=1
	s_ashr_i32 s11, s10, 31
	s_ashr_i32 s9, s8, 31
	s_lshl_b64 s[0:1], s[10:11], 3
	s_lshl_b64 s[14:15], s[8:9], 3
	s_add_u32 s0, s20, s0
	s_addc_u32 s1, s21, s1
	s_cmp_gt_i32 s37, 0
	v_dual_mov_b32 v3, v10 :: v_dual_mov_b32 v12, v0
	s_cselect_b32 s9, -1, 0
	s_lshl_b64 s[12:13], s[6:7], 3
	s_mov_b32 s11, 0
	s_add_u32 s12, s26, s12
	s_addc_u32 s13, s27, s13
	s_add_i32 s39, s36, 8
	s_load_b64 s[12:13], s[12:13], 0x0
	s_add_u32 s40, s20, s14
	s_addc_u32 s41, s21, s15
	s_set_inst_prefetch_distance 0x1
	s_branch .LBB112_21
	.p2align	6
.LBB112_19:                             ;   in Loop: Header=BB112_21 Depth=2
	v_mov_b32_e32 v4, 0
	v_mov_b32_e32 v5, 0
.LBB112_20:                             ;   in Loop: Header=BB112_21 Depth=2
	v_lshlrev_b32_e32 v13, 3, v12
	v_add_nc_u32_e32 v12, s19, v12
	v_add_nc_u32_e32 v3, s33, v3
	s_delay_alu instid0(VALU_DEP_3) | instskip(NEXT) | instid1(VALU_DEP_3)
	v_add_nc_u32_e32 v6, s39, v13
	v_cmp_le_i32_e32 vcc_lo, s35, v12
	ds_load_b64 v[6:7], v6
	s_or_b32 s11, vcc_lo, s11
	s_waitcnt lgkmcnt(0)
	v_fma_f64 v[4:5], v[4:5], s[12:13], v[6:7]
	v_add_nc_u32_e32 v6, 0, v13
	ds_store_b64 v6, v[4:5]
	s_and_not1_b32 exec_lo, exec_lo, s11
	s_cbranch_execz .LBB112_24
.LBB112_21:                             ;   Parent Loop BB112_8 Depth=1
                                        ; =>  This Loop Header: Depth=2
                                        ;       Child Loop BB112_23 Depth 3
	s_and_not1_b32 vcc_lo, exec_lo, s9
	s_cbranch_vccnz .LBB112_19
; %bb.22:                               ;   in Loop: Header=BB112_21 Depth=2
	v_ashrrev_i32_e32 v4, 31, v3
	s_mov_b32 s42, 0
	s_mov_b64 s[14:15], s[0:1]
	s_delay_alu instid0(VALU_DEP_1) | instskip(SKIP_2) | instid1(VALU_DEP_3)
	v_lshlrev_b64 v[6:7], 3, v[3:4]
	v_mov_b32_e32 v4, 0
	v_mov_b32_e32 v5, 0
	v_add_co_u32 v6, vcc_lo, s40, v6
	s_delay_alu instid0(VALU_DEP_4)
	v_add_co_ci_u32_e32 v7, vcc_lo, s41, v7, vcc_lo
.LBB112_23:                             ;   Parent Loop BB112_8 Depth=1
                                        ;     Parent Loop BB112_21 Depth=2
                                        ; =>    This Inner Loop Header: Depth=3
	global_load_b64 v[13:14], v[6:7], off
	s_load_b64 s[44:45], s[14:15], 0x0
	v_add_co_u32 v6, vcc_lo, v6, 8
	s_add_i32 s42, s42, 1
	v_add_co_ci_u32_e32 v7, vcc_lo, 0, v7, vcc_lo
	s_add_u32 s14, s14, 8
	s_addc_u32 s15, s15, 0
	s_cmp_ge_i32 s42, s37
	s_waitcnt vmcnt(0) lgkmcnt(0)
	v_fma_f64 v[4:5], v[13:14], s[44:45], v[4:5]
	s_cbranch_scc0 .LBB112_23
	s_branch .LBB112_20
.LBB112_24:                             ;   in Loop: Header=BB112_8 Depth=1
	s_set_inst_prefetch_distance 0x2
	s_or_b32 exec_lo, exec_lo, s38
.LBB112_25:                             ;   in Loop: Header=BB112_8 Depth=1
	s_delay_alu instid0(SALU_CYCLE_1)
	s_mov_b32 s0, exec_lo
	s_waitcnt lgkmcnt(0)
	s_barrier
	buffer_gl0_inv
	v_cmpx_gt_i32_e64 s35, v0
	s_cbranch_execz .LBB112_7
; %bb.26:                               ;   in Loop: Header=BB112_8 Depth=1
	v_dual_mov_b32 v5, v11 :: v_dual_mov_b32 v6, v0
	s_add_i32 s36, s36, 8
	s_mov_b32 s1, 0
	.p2align	6
.LBB112_27:                             ;   Parent Loop BB112_8 Depth=1
                                        ; =>  This Loop Header: Depth=2
                                        ;       Child Loop BB112_28 Depth 3
	v_mov_b32_e32 v3, 0
	s_delay_alu instid0(VALU_DEP_2)
	v_dual_mov_b32 v4, 0 :: v_dual_mov_b32 v7, v5
	s_mov_b32 s11, -1
	s_mov_b32 s9, 0
	s_mov_b32 s12, 0
.LBB112_28:                             ;   Parent Loop BB112_8 Depth=1
                                        ;     Parent Loop BB112_27 Depth=2
                                        ; =>    This Inner Loop Header: Depth=3
	s_delay_alu instid0(SALU_CYCLE_1)
	v_mov_b32_e32 v14, s12
	s_add_i32 s11, s11, 1
	s_add_i32 s12, s12, 8
	v_cmp_eq_u32_e32 vcc_lo, s11, v6
	ds_load_b64 v[12:13], v7
	ds_load_b64 v[14:15], v14
	v_add_nc_u32_e32 v7, s28, v7
	s_or_b32 s9, vcc_lo, s9
	s_waitcnt lgkmcnt(0)
	v_fma_f64 v[3:4], v[12:13], v[14:15], v[3:4]
	s_and_not1_b32 exec_lo, exec_lo, s9
	s_cbranch_execnz .LBB112_28
; %bb.29:                               ;   in Loop: Header=BB112_27 Depth=2
	s_or_b32 exec_lo, exec_lo, s9
	v_lshl_add_u32 v7, v6, 3, s36
	v_add_nc_u32_e32 v6, s19, v6
	v_add_nc_u32_e32 v5, s31, v5
	ds_store_b64 v7, v[3:4]
	v_cmp_le_i32_e32 vcc_lo, s35, v6
	s_or_b32 s1, vcc_lo, s1
	s_delay_alu instid0(SALU_CYCLE_1)
	s_and_not1_b32 exec_lo, exec_lo, s1
	s_cbranch_execnz .LBB112_27
	s_branch .LBB112_7
.LBB112_30:
	s_and_saveexec_b32 s0, s2
	s_cbranch_execz .LBB112_35
; %bb.31:
	s_lshl_b32 s1, s18, 3
	s_mov_b32 s2, 0
	v_add3_u32 v3, 0, s1, v9
	s_lshl_b32 s4, s19, 3
	.p2align	6
.LBB112_32:                             ; =>This Loop Header: Depth=1
                                        ;     Child Loop BB112_33 Depth 2
	s_delay_alu instid0(VALU_DEP_1)
	v_dual_mov_b32 v4, v3 :: v_dual_mov_b32 v1, v0
	s_mov_b32 s5, 0
	s_mov_b32 s6, 0
	.p2align	6
.LBB112_33:                             ;   Parent Loop BB112_32 Depth=1
                                        ; =>  This Inner Loop Header: Depth=2
	ds_load_b64 v[5:6], v4
	v_ashrrev_i32_e32 v2, 31, v1
	s_add_i32 s6, s6, 1
	v_add_nc_u32_e32 v4, s1, v4
	v_cmp_eq_u32_e32 vcc_lo, s6, v8
	s_delay_alu instid0(VALU_DEP_3) | instskip(SKIP_2) | instid1(VALU_DEP_2)
	v_lshlrev_b64 v[9:10], 3, v[1:2]
	v_add_nc_u32_e32 v1, s3, v1
	s_or_b32 s5, vcc_lo, s5
	v_add_co_u32 v9, s0, s24, v9
	s_delay_alu instid0(VALU_DEP_1)
	v_add_co_ci_u32_e64 v10, s0, s25, v10, s0
	s_waitcnt lgkmcnt(0)
	global_store_b64 v[9:10], v[5:6], off
	s_and_not1_b32 exec_lo, exec_lo, s5
	s_cbranch_execnz .LBB112_33
; %bb.34:                               ;   in Loop: Header=BB112_32 Depth=1
	s_or_b32 exec_lo, exec_lo, s5
	v_add_nc_u32_e32 v0, s19, v0
	v_add_nc_u32_e32 v8, s19, v8
	;; [unrolled: 1-line block ×3, first 2 shown]
	s_delay_alu instid0(VALU_DEP_3) | instskip(SKIP_1) | instid1(SALU_CYCLE_1)
	v_cmp_le_i32_e32 vcc_lo, s18, v0
	s_or_b32 s2, vcc_lo, s2
	s_and_not1_b32 exec_lo, exec_lo, s2
	s_cbranch_execnz .LBB112_32
.LBB112_35:
	s_nop 0
	s_sendmsg sendmsg(MSG_DEALLOC_VGPRS)
	s_endpgm
	.section	.rodata,"a",@progbits
	.p2align	6, 0x0
	.amdhsa_kernel _ZN9rocsolver6v33100L21larft_kernel_backwardIdPdEEv15rocblas_storev_iiT0_iilPT_lS6_il
		.amdhsa_group_segment_fixed_size 0
		.amdhsa_private_segment_fixed_size 0
		.amdhsa_kernarg_size 336
		.amdhsa_user_sgpr_count 14
		.amdhsa_user_sgpr_dispatch_ptr 0
		.amdhsa_user_sgpr_queue_ptr 0
		.amdhsa_user_sgpr_kernarg_segment_ptr 1
		.amdhsa_user_sgpr_dispatch_id 0
		.amdhsa_user_sgpr_private_segment_size 0
		.amdhsa_wavefront_size32 1
		.amdhsa_uses_dynamic_stack 0
		.amdhsa_enable_private_segment 0
		.amdhsa_system_sgpr_workgroup_id_x 1
		.amdhsa_system_sgpr_workgroup_id_y 1
		.amdhsa_system_sgpr_workgroup_id_z 0
		.amdhsa_system_sgpr_workgroup_info 0
		.amdhsa_system_vgpr_workitem_id 0
		.amdhsa_next_free_vgpr 16
		.amdhsa_next_free_sgpr 46
		.amdhsa_reserve_vcc 1
		.amdhsa_float_round_mode_32 0
		.amdhsa_float_round_mode_16_64 0
		.amdhsa_float_denorm_mode_32 3
		.amdhsa_float_denorm_mode_16_64 3
		.amdhsa_dx10_clamp 1
		.amdhsa_ieee_mode 1
		.amdhsa_fp16_overflow 0
		.amdhsa_workgroup_processor_mode 1
		.amdhsa_memory_ordered 1
		.amdhsa_forward_progress 0
		.amdhsa_shared_vgpr_count 0
		.amdhsa_exception_fp_ieee_invalid_op 0
		.amdhsa_exception_fp_denorm_src 0
		.amdhsa_exception_fp_ieee_div_zero 0
		.amdhsa_exception_fp_ieee_overflow 0
		.amdhsa_exception_fp_ieee_underflow 0
		.amdhsa_exception_fp_ieee_inexact 0
		.amdhsa_exception_int_div_zero 0
	.end_amdhsa_kernel
	.section	.text._ZN9rocsolver6v33100L21larft_kernel_backwardIdPdEEv15rocblas_storev_iiT0_iilPT_lS6_il,"axG",@progbits,_ZN9rocsolver6v33100L21larft_kernel_backwardIdPdEEv15rocblas_storev_iiT0_iilPT_lS6_il,comdat
.Lfunc_end112:
	.size	_ZN9rocsolver6v33100L21larft_kernel_backwardIdPdEEv15rocblas_storev_iiT0_iilPT_lS6_il, .Lfunc_end112-_ZN9rocsolver6v33100L21larft_kernel_backwardIdPdEEv15rocblas_storev_iiT0_iilPT_lS6_il
                                        ; -- End function
	.section	.AMDGPU.csdata,"",@progbits
; Kernel info:
; codeLenInByte = 1648
; NumSgprs: 48
; NumVgprs: 16
; ScratchSize: 0
; MemoryBound: 0
; FloatMode: 240
; IeeeMode: 1
; LDSByteSize: 0 bytes/workgroup (compile time only)
; SGPRBlocks: 5
; VGPRBlocks: 1
; NumSGPRsForWavesPerEU: 48
; NumVGPRsForWavesPerEU: 16
; Occupancy: 16
; WaveLimiterHint : 0
; COMPUTE_PGM_RSRC2:SCRATCH_EN: 0
; COMPUTE_PGM_RSRC2:USER_SGPR: 14
; COMPUTE_PGM_RSRC2:TRAP_HANDLER: 0
; COMPUTE_PGM_RSRC2:TGID_X_EN: 1
; COMPUTE_PGM_RSRC2:TGID_Y_EN: 1
; COMPUTE_PGM_RSRC2:TGID_Z_EN: 0
; COMPUTE_PGM_RSRC2:TIDIG_COMP_CNT: 0
	.section	.text._ZN9rocsolver6v33100L9copymatA1IdPdEEviiT0_iilPT_,"axG",@progbits,_ZN9rocsolver6v33100L9copymatA1IdPdEEviiT0_iilPT_,comdat
	.globl	_ZN9rocsolver6v33100L9copymatA1IdPdEEviiT0_iilPT_ ; -- Begin function _ZN9rocsolver6v33100L9copymatA1IdPdEEviiT0_iilPT_
	.p2align	8
	.type	_ZN9rocsolver6v33100L9copymatA1IdPdEEviiT0_iilPT_,@function
_ZN9rocsolver6v33100L9copymatA1IdPdEEviiT0_iilPT_: ; @_ZN9rocsolver6v33100L9copymatA1IdPdEEviiT0_iilPT_
; %bb.0:
	s_clause 0x1
	s_load_b32 s2, s[0:1], 0x34
	s_load_b64 s[8:9], s[0:1], 0x0
	v_bfe_u32 v2, v0, 10, 10
	v_and_b32_e32 v3, 0x3ff, v0
	s_waitcnt lgkmcnt(0)
	s_lshr_b32 s3, s2, 16
	s_and_b32 s2, s2, 0xffff
	s_delay_alu instid0(VALU_DEP_1) | instskip(SKIP_1) | instid1(VALU_DEP_2)
	v_mad_u64_u32 v[0:1], null, s14, s3, v[2:3]
	v_mad_u64_u32 v[1:2], null, s13, s2, v[3:4]
	v_cmp_gt_u32_e32 vcc_lo, s8, v0
	s_delay_alu instid0(VALU_DEP_2) | instskip(NEXT) | instid1(VALU_DEP_1)
	v_cmp_gt_u32_e64 s2, s9, v1
	s_and_b32 s2, s2, vcc_lo
	s_delay_alu instid0(SALU_CYCLE_1)
	s_and_saveexec_b32 s3, s2
	s_cbranch_execz .LBB113_2
; %bb.1:
	s_load_b256 s[0:7], s[0:1], 0x8
	s_ashr_i32 s10, s8, 31
	s_ashr_i32 s11, s9, 31
	s_mul_hi_u32 s12, s8, s15
	s_mul_i32 s13, s8, s15
	s_mul_i32 s10, s10, s15
	;; [unrolled: 1-line block ×3, first 2 shown]
	s_mul_hi_u32 s14, s13, s9
	s_add_i32 s10, s12, s10
	s_add_i32 s11, s14, s11
	s_mul_i32 s12, s10, s9
	s_mul_i32 s10, s13, s9
	s_add_i32 s11, s11, s12
	v_mad_u64_u32 v[6:7], null, v1, s8, v[0:1]
	s_lshl_b64 s[10:11], s[10:11], 3
	s_waitcnt lgkmcnt(0)
	v_mad_u64_u32 v[2:3], null, v1, s3, v[0:1]
	s_add_u32 s9, s6, s10
	s_mul_i32 s5, s15, s5
	s_mul_hi_u32 s10, s15, s4
	v_mov_b32_e32 v3, 0
	s_mul_i32 s4, s15, s4
	s_addc_u32 s3, s7, s11
	s_add_i32 s5, s10, s5
	s_mov_b32 s6, s2
	s_lshl_b64 s[4:5], s[4:5], 3
	s_ashr_i32 s7, s2, 31
	v_lshlrev_b64 v[4:5], 3, v[2:3]
	s_add_u32 s2, s0, s4
	s_addc_u32 s4, s1, s5
	s_lshl_b64 s[0:1], s[6:7], 3
	v_mov_b32_e32 v7, v3
	s_add_u32 s0, s2, s0
	s_addc_u32 s1, s4, s1
	v_add_co_u32 v4, vcc_lo, s0, v4
	v_add_co_ci_u32_e32 v5, vcc_lo, s1, v5, vcc_lo
	v_lshlrev_b64 v[0:1], 3, v[6:7]
	global_load_b64 v[4:5], v[4:5], off
	v_add_co_u32 v0, vcc_lo, s9, v0
	v_add_co_ci_u32_e32 v1, vcc_lo, s3, v1, vcc_lo
	s_waitcnt vmcnt(0)
	global_store_b64 v[0:1], v[4:5], off
.LBB113_2:
	s_nop 0
	s_sendmsg sendmsg(MSG_DEALLOC_VGPRS)
	s_endpgm
	.section	.rodata,"a",@progbits
	.p2align	6, 0x0
	.amdhsa_kernel _ZN9rocsolver6v33100L9copymatA1IdPdEEviiT0_iilPT_
		.amdhsa_group_segment_fixed_size 0
		.amdhsa_private_segment_fixed_size 0
		.amdhsa_kernarg_size 296
		.amdhsa_user_sgpr_count 13
		.amdhsa_user_sgpr_dispatch_ptr 0
		.amdhsa_user_sgpr_queue_ptr 0
		.amdhsa_user_sgpr_kernarg_segment_ptr 1
		.amdhsa_user_sgpr_dispatch_id 0
		.amdhsa_user_sgpr_private_segment_size 0
		.amdhsa_wavefront_size32 1
		.amdhsa_uses_dynamic_stack 0
		.amdhsa_enable_private_segment 0
		.amdhsa_system_sgpr_workgroup_id_x 1
		.amdhsa_system_sgpr_workgroup_id_y 1
		.amdhsa_system_sgpr_workgroup_id_z 1
		.amdhsa_system_sgpr_workgroup_info 0
		.amdhsa_system_vgpr_workitem_id 1
		.amdhsa_next_free_vgpr 8
		.amdhsa_next_free_sgpr 16
		.amdhsa_reserve_vcc 1
		.amdhsa_float_round_mode_32 0
		.amdhsa_float_round_mode_16_64 0
		.amdhsa_float_denorm_mode_32 3
		.amdhsa_float_denorm_mode_16_64 3
		.amdhsa_dx10_clamp 1
		.amdhsa_ieee_mode 1
		.amdhsa_fp16_overflow 0
		.amdhsa_workgroup_processor_mode 1
		.amdhsa_memory_ordered 1
		.amdhsa_forward_progress 0
		.amdhsa_shared_vgpr_count 0
		.amdhsa_exception_fp_ieee_invalid_op 0
		.amdhsa_exception_fp_denorm_src 0
		.amdhsa_exception_fp_ieee_div_zero 0
		.amdhsa_exception_fp_ieee_overflow 0
		.amdhsa_exception_fp_ieee_underflow 0
		.amdhsa_exception_fp_ieee_inexact 0
		.amdhsa_exception_int_div_zero 0
	.end_amdhsa_kernel
	.section	.text._ZN9rocsolver6v33100L9copymatA1IdPdEEviiT0_iilPT_,"axG",@progbits,_ZN9rocsolver6v33100L9copymatA1IdPdEEviiT0_iilPT_,comdat
.Lfunc_end113:
	.size	_ZN9rocsolver6v33100L9copymatA1IdPdEEviiT0_iilPT_, .Lfunc_end113-_ZN9rocsolver6v33100L9copymatA1IdPdEEviiT0_iilPT_
                                        ; -- End function
	.section	.AMDGPU.csdata,"",@progbits
; Kernel info:
; codeLenInByte = 320
; NumSgprs: 18
; NumVgprs: 8
; ScratchSize: 0
; MemoryBound: 0
; FloatMode: 240
; IeeeMode: 1
; LDSByteSize: 0 bytes/workgroup (compile time only)
; SGPRBlocks: 2
; VGPRBlocks: 0
; NumSGPRsForWavesPerEU: 18
; NumVGPRsForWavesPerEU: 8
; Occupancy: 16
; WaveLimiterHint : 0
; COMPUTE_PGM_RSRC2:SCRATCH_EN: 0
; COMPUTE_PGM_RSRC2:USER_SGPR: 13
; COMPUTE_PGM_RSRC2:TRAP_HANDLER: 0
; COMPUTE_PGM_RSRC2:TGID_X_EN: 1
; COMPUTE_PGM_RSRC2:TGID_Y_EN: 1
; COMPUTE_PGM_RSRC2:TGID_Z_EN: 1
; COMPUTE_PGM_RSRC2:TIDIG_COMP_CNT: 1
	.section	.text._ZN9rocsolver6v33100L8addmatA1IdPdEEviiT0_iilPT_,"axG",@progbits,_ZN9rocsolver6v33100L8addmatA1IdPdEEviiT0_iilPT_,comdat
	.globl	_ZN9rocsolver6v33100L8addmatA1IdPdEEviiT0_iilPT_ ; -- Begin function _ZN9rocsolver6v33100L8addmatA1IdPdEEviiT0_iilPT_
	.p2align	8
	.type	_ZN9rocsolver6v33100L8addmatA1IdPdEEviiT0_iilPT_,@function
_ZN9rocsolver6v33100L8addmatA1IdPdEEviiT0_iilPT_: ; @_ZN9rocsolver6v33100L8addmatA1IdPdEEviiT0_iilPT_
; %bb.0:
	s_clause 0x1
	s_load_b32 s2, s[0:1], 0x34
	s_load_b64 s[8:9], s[0:1], 0x0
	v_bfe_u32 v2, v0, 10, 10
	v_and_b32_e32 v3, 0x3ff, v0
	s_waitcnt lgkmcnt(0)
	s_lshr_b32 s3, s2, 16
	s_and_b32 s2, s2, 0xffff
	s_delay_alu instid0(VALU_DEP_1) | instskip(SKIP_1) | instid1(VALU_DEP_2)
	v_mad_u64_u32 v[0:1], null, s14, s3, v[2:3]
	v_mad_u64_u32 v[1:2], null, s13, s2, v[3:4]
	v_cmp_gt_u32_e32 vcc_lo, s8, v0
	s_delay_alu instid0(VALU_DEP_2) | instskip(NEXT) | instid1(VALU_DEP_1)
	v_cmp_gt_u32_e64 s2, s9, v1
	s_and_b32 s2, s2, vcc_lo
	s_delay_alu instid0(SALU_CYCLE_1)
	s_and_saveexec_b32 s3, s2
	s_cbranch_execz .LBB114_2
; %bb.1:
	s_load_b256 s[0:7], s[0:1], 0x8
	s_ashr_i32 s10, s8, 31
	s_ashr_i32 s11, s9, 31
	s_mul_hi_u32 s12, s8, s15
	s_mul_i32 s13, s8, s15
	s_mul_i32 s10, s10, s15
	;; [unrolled: 1-line block ×3, first 2 shown]
	s_mul_hi_u32 s14, s13, s9
	s_add_i32 s10, s12, s10
	s_add_i32 s11, s14, s11
	s_mul_i32 s12, s10, s9
	v_mad_u64_u32 v[2:3], null, v1, s8, v[0:1]
	v_mov_b32_e32 v3, 0
	s_mul_i32 s10, s13, s9
	s_add_i32 s11, s11, s12
	s_delay_alu instid0(SALU_CYCLE_1)
	s_lshl_b64 s[8:9], s[10:11], 3
	s_waitcnt lgkmcnt(0)
	v_mad_u64_u32 v[4:5], null, v1, s3, v[0:1]
	s_add_u32 s8, s6, s8
	s_mul_i32 s5, s15, s5
	s_mul_hi_u32 s6, s15, s4
	v_mov_b32_e32 v5, v3
	s_mul_i32 s4, s15, s4
	s_addc_u32 s9, s7, s9
	s_add_i32 s5, s6, s5
	v_lshlrev_b64 v[0:1], 3, v[2:3]
	s_lshl_b64 s[4:5], s[4:5], 3
	s_mov_b32 s6, s2
	s_ashr_i32 s7, s2, 31
	v_lshlrev_b64 v[2:3], 3, v[4:5]
	s_add_u32 s2, s0, s4
	s_addc_u32 s3, s1, s5
	s_lshl_b64 s[0:1], s[6:7], 3
	v_add_co_u32 v0, vcc_lo, s8, v0
	s_add_u32 s0, s2, s0
	v_add_co_ci_u32_e32 v1, vcc_lo, s9, v1, vcc_lo
	s_addc_u32 s1, s3, s1
	v_add_co_u32 v2, vcc_lo, s0, v2
	v_add_co_ci_u32_e32 v3, vcc_lo, s1, v3, vcc_lo
	global_load_b64 v[0:1], v[0:1], off
	global_load_b64 v[4:5], v[2:3], off
	s_waitcnt vmcnt(0)
	v_add_f64 v[0:1], v[4:5], -v[0:1]
	global_store_b64 v[2:3], v[0:1], off
.LBB114_2:
	s_nop 0
	s_sendmsg sendmsg(MSG_DEALLOC_VGPRS)
	s_endpgm
	.section	.rodata,"a",@progbits
	.p2align	6, 0x0
	.amdhsa_kernel _ZN9rocsolver6v33100L8addmatA1IdPdEEviiT0_iilPT_
		.amdhsa_group_segment_fixed_size 0
		.amdhsa_private_segment_fixed_size 0
		.amdhsa_kernarg_size 296
		.amdhsa_user_sgpr_count 13
		.amdhsa_user_sgpr_dispatch_ptr 0
		.amdhsa_user_sgpr_queue_ptr 0
		.amdhsa_user_sgpr_kernarg_segment_ptr 1
		.amdhsa_user_sgpr_dispatch_id 0
		.amdhsa_user_sgpr_private_segment_size 0
		.amdhsa_wavefront_size32 1
		.amdhsa_uses_dynamic_stack 0
		.amdhsa_enable_private_segment 0
		.amdhsa_system_sgpr_workgroup_id_x 1
		.amdhsa_system_sgpr_workgroup_id_y 1
		.amdhsa_system_sgpr_workgroup_id_z 1
		.amdhsa_system_sgpr_workgroup_info 0
		.amdhsa_system_vgpr_workitem_id 1
		.amdhsa_next_free_vgpr 6
		.amdhsa_next_free_sgpr 16
		.amdhsa_reserve_vcc 1
		.amdhsa_float_round_mode_32 0
		.amdhsa_float_round_mode_16_64 0
		.amdhsa_float_denorm_mode_32 3
		.amdhsa_float_denorm_mode_16_64 3
		.amdhsa_dx10_clamp 1
		.amdhsa_ieee_mode 1
		.amdhsa_fp16_overflow 0
		.amdhsa_workgroup_processor_mode 1
		.amdhsa_memory_ordered 1
		.amdhsa_forward_progress 0
		.amdhsa_shared_vgpr_count 0
		.amdhsa_exception_fp_ieee_invalid_op 0
		.amdhsa_exception_fp_denorm_src 0
		.amdhsa_exception_fp_ieee_div_zero 0
		.amdhsa_exception_fp_ieee_overflow 0
		.amdhsa_exception_fp_ieee_underflow 0
		.amdhsa_exception_fp_ieee_inexact 0
		.amdhsa_exception_int_div_zero 0
	.end_amdhsa_kernel
	.section	.text._ZN9rocsolver6v33100L8addmatA1IdPdEEviiT0_iilPT_,"axG",@progbits,_ZN9rocsolver6v33100L8addmatA1IdPdEEviiT0_iilPT_,comdat
.Lfunc_end114:
	.size	_ZN9rocsolver6v33100L8addmatA1IdPdEEviiT0_iilPT_, .Lfunc_end114-_ZN9rocsolver6v33100L8addmatA1IdPdEEviiT0_iilPT_
                                        ; -- End function
	.section	.AMDGPU.csdata,"",@progbits
; Kernel info:
; codeLenInByte = 340
; NumSgprs: 18
; NumVgprs: 6
; ScratchSize: 0
; MemoryBound: 0
; FloatMode: 240
; IeeeMode: 1
; LDSByteSize: 0 bytes/workgroup (compile time only)
; SGPRBlocks: 2
; VGPRBlocks: 0
; NumSGPRsForWavesPerEU: 18
; NumVGPRsForWavesPerEU: 6
; Occupancy: 16
; WaveLimiterHint : 0
; COMPUTE_PGM_RSRC2:SCRATCH_EN: 0
; COMPUTE_PGM_RSRC2:USER_SGPR: 13
; COMPUTE_PGM_RSRC2:TRAP_HANDLER: 0
; COMPUTE_PGM_RSRC2:TGID_X_EN: 1
; COMPUTE_PGM_RSRC2:TGID_Y_EN: 1
; COMPUTE_PGM_RSRC2:TGID_Z_EN: 1
; COMPUTE_PGM_RSRC2:TIDIG_COMP_CNT: 1
	.section	.text._ZN9rocsolver6v33100L8copy_matIdPdS2_NS0_7no_maskEEEviiT0_iilT1_iilT2_13rocblas_fill_17rocblas_diagonal_,"axG",@progbits,_ZN9rocsolver6v33100L8copy_matIdPdS2_NS0_7no_maskEEEviiT0_iilT1_iilT2_13rocblas_fill_17rocblas_diagonal_,comdat
	.globl	_ZN9rocsolver6v33100L8copy_matIdPdS2_NS0_7no_maskEEEviiT0_iilT1_iilT2_13rocblas_fill_17rocblas_diagonal_ ; -- Begin function _ZN9rocsolver6v33100L8copy_matIdPdS2_NS0_7no_maskEEEviiT0_iilT1_iilT2_13rocblas_fill_17rocblas_diagonal_
	.p2align	8
	.type	_ZN9rocsolver6v33100L8copy_matIdPdS2_NS0_7no_maskEEEviiT0_iilT1_iilT2_13rocblas_fill_17rocblas_diagonal_,@function
_ZN9rocsolver6v33100L8copy_matIdPdS2_NS0_7no_maskEEEviiT0_iilT1_iilT2_13rocblas_fill_17rocblas_diagonal_: ; @_ZN9rocsolver6v33100L8copy_matIdPdS2_NS0_7no_maskEEEviiT0_iilT1_iilT2_13rocblas_fill_17rocblas_diagonal_
; %bb.0:
	s_clause 0x1
	s_load_b32 s4, s[0:1], 0x54
	s_load_b64 s[2:3], s[0:1], 0x0
	v_and_b32_e32 v2, 0x3ff, v0
	v_bfe_u32 v3, v0, 10, 10
	s_waitcnt lgkmcnt(0)
	s_lshr_b32 s5, s4, 16
	s_and_b32 s4, s4, 0xffff
	s_delay_alu instid0(VALU_DEP_1) | instid1(SALU_CYCLE_1)
	v_mad_u64_u32 v[0:1], null, s13, s4, v[2:3]
	v_mad_u64_u32 v[1:2], null, s14, s5, v[3:4]
	s_delay_alu instid0(VALU_DEP_2) | instskip(NEXT) | instid1(VALU_DEP_2)
	v_cmp_gt_u32_e32 vcc_lo, s2, v0
	v_cmp_gt_u32_e64 s2, s3, v1
	s_delay_alu instid0(VALU_DEP_1) | instskip(NEXT) | instid1(SALU_CYCLE_1)
	s_and_b32 s2, s2, vcc_lo
	s_and_saveexec_b32 s3, s2
	s_cbranch_execz .LBB115_14
; %bb.1:
	s_load_b64 s[4:5], s[0:1], 0x3c
	s_waitcnt lgkmcnt(0)
	s_cmpk_lt_i32 s4, 0x7a
	s_cbranch_scc1 .LBB115_4
; %bb.2:
	s_cmpk_gt_i32 s4, 0x7a
	s_cbranch_scc0 .LBB115_5
; %bb.3:
	s_cmpk_lg_i32 s4, 0x7b
	s_mov_b32 s3, -1
	s_cselect_b32 s6, -1, 0
	s_cbranch_execz .LBB115_6
	s_branch .LBB115_7
.LBB115_4:
	s_mov_b32 s6, 0
	s_mov_b32 s3, 0
	s_cbranch_execnz .LBB115_8
	s_branch .LBB115_10
.LBB115_5:
	s_mov_b32 s3, 0
	s_mov_b32 s6, 0
.LBB115_6:
	v_cmp_gt_u32_e32 vcc_lo, v0, v1
	v_cmp_le_u32_e64 s2, v0, v1
	s_and_not1_b32 s3, s3, exec_lo
	s_and_not1_b32 s6, s6, exec_lo
	s_and_b32 s7, vcc_lo, exec_lo
	s_delay_alu instid0(VALU_DEP_1)
	s_and_b32 s2, s2, exec_lo
	s_or_b32 s3, s3, s7
	s_or_b32 s6, s6, s2
.LBB115_7:
	s_branch .LBB115_10
.LBB115_8:
	s_cmpk_eq_i32 s4, 0x79
	s_mov_b32 s6, -1
	s_cbranch_scc0 .LBB115_10
; %bb.9:
	v_cmp_gt_u32_e32 vcc_lo, v1, v0
	v_cmp_le_u32_e64 s2, v1, v0
	s_and_not1_b32 s3, s3, exec_lo
	s_and_b32 s4, vcc_lo, exec_lo
	s_delay_alu instid0(VALU_DEP_1)
	s_or_not1_b32 s6, s2, exec_lo
	s_or_b32 s3, s3, s4
.LBB115_10:
	s_and_saveexec_b32 s2, s6
; %bb.11:
	v_cmp_eq_u32_e32 vcc_lo, v0, v1
	s_cmpk_eq_i32 s5, 0x83
	s_cselect_b32 s4, -1, 0
	s_and_not1_b32 s3, s3, exec_lo
	s_and_b32 s4, s4, vcc_lo
	s_delay_alu instid0(SALU_CYCLE_1) | instskip(NEXT) | instid1(SALU_CYCLE_1)
	s_and_b32 s4, s4, exec_lo
	s_or_b32 s3, s3, s4
; %bb.12:
	s_or_b32 exec_lo, exec_lo, s2
	s_delay_alu instid0(SALU_CYCLE_1)
	s_and_b32 exec_lo, exec_lo, s3
	s_cbranch_execz .LBB115_14
; %bb.13:
	s_load_b256 s[4:11], s[0:1], 0x8
	s_waitcnt lgkmcnt(0)
	v_mad_u64_u32 v[2:3], null, v1, s7, v[0:1]
	s_mul_i32 s2, s15, s9
	s_mul_hi_u32 s9, s15, s8
	v_mov_b32_e32 v3, 0
	s_mul_i32 s8, s15, s8
	s_add_i32 s9, s9, s2
	s_ashr_i32 s3, s6, 31
	s_lshl_b64 s[8:9], s[8:9], 3
	s_mov_b32 s2, s6
	v_lshlrev_b64 v[4:5], 3, v[2:3]
	s_add_u32 s4, s4, s8
	s_addc_u32 s5, s5, s9
	s_lshl_b64 s[2:3], s[2:3], 3
	s_delay_alu instid0(SALU_CYCLE_1)
	s_add_u32 s2, s4, s2
	s_addc_u32 s3, s5, s3
	v_add_co_u32 v4, vcc_lo, s2, v4
	v_add_co_ci_u32_e32 v5, vcc_lo, s3, v5, vcc_lo
	s_load_b128 s[0:3], s[0:1], 0x28
	global_load_b64 v[4:5], v[4:5], off
	s_waitcnt lgkmcnt(0)
	v_mad_u64_u32 v[6:7], null, v1, s1, v[0:1]
	s_mul_i32 s3, s15, s3
	s_mul_hi_u32 s4, s15, s2
	v_mov_b32_e32 v7, v3
	s_add_i32 s3, s4, s3
	s_mul_i32 s2, s15, s2
	s_ashr_i32 s5, s0, 31
	s_lshl_b64 s[2:3], s[2:3], 3
	s_mov_b32 s4, s0
	v_lshlrev_b64 v[0:1], 3, v[6:7]
	s_add_u32 s2, s10, s2
	s_addc_u32 s3, s11, s3
	s_lshl_b64 s[0:1], s[4:5], 3
	s_delay_alu instid0(SALU_CYCLE_1)
	s_add_u32 s0, s2, s0
	s_addc_u32 s1, s3, s1
	v_add_co_u32 v0, vcc_lo, s0, v0
	v_add_co_ci_u32_e32 v1, vcc_lo, s1, v1, vcc_lo
	s_waitcnt vmcnt(0)
	global_store_b64 v[0:1], v[4:5], off
.LBB115_14:
	s_nop 0
	s_sendmsg sendmsg(MSG_DEALLOC_VGPRS)
	s_endpgm
	.section	.rodata,"a",@progbits
	.p2align	6, 0x0
	.amdhsa_kernel _ZN9rocsolver6v33100L8copy_matIdPdS2_NS0_7no_maskEEEviiT0_iilT1_iilT2_13rocblas_fill_17rocblas_diagonal_
		.amdhsa_group_segment_fixed_size 0
		.amdhsa_private_segment_fixed_size 0
		.amdhsa_kernarg_size 328
		.amdhsa_user_sgpr_count 13
		.amdhsa_user_sgpr_dispatch_ptr 0
		.amdhsa_user_sgpr_queue_ptr 0
		.amdhsa_user_sgpr_kernarg_segment_ptr 1
		.amdhsa_user_sgpr_dispatch_id 0
		.amdhsa_user_sgpr_private_segment_size 0
		.amdhsa_wavefront_size32 1
		.amdhsa_uses_dynamic_stack 0
		.amdhsa_enable_private_segment 0
		.amdhsa_system_sgpr_workgroup_id_x 1
		.amdhsa_system_sgpr_workgroup_id_y 1
		.amdhsa_system_sgpr_workgroup_id_z 1
		.amdhsa_system_sgpr_workgroup_info 0
		.amdhsa_system_vgpr_workitem_id 1
		.amdhsa_next_free_vgpr 8
		.amdhsa_next_free_sgpr 16
		.amdhsa_reserve_vcc 1
		.amdhsa_float_round_mode_32 0
		.amdhsa_float_round_mode_16_64 0
		.amdhsa_float_denorm_mode_32 3
		.amdhsa_float_denorm_mode_16_64 3
		.amdhsa_dx10_clamp 1
		.amdhsa_ieee_mode 1
		.amdhsa_fp16_overflow 0
		.amdhsa_workgroup_processor_mode 1
		.amdhsa_memory_ordered 1
		.amdhsa_forward_progress 0
		.amdhsa_shared_vgpr_count 0
		.amdhsa_exception_fp_ieee_invalid_op 0
		.amdhsa_exception_fp_denorm_src 0
		.amdhsa_exception_fp_ieee_div_zero 0
		.amdhsa_exception_fp_ieee_overflow 0
		.amdhsa_exception_fp_ieee_underflow 0
		.amdhsa_exception_fp_ieee_inexact 0
		.amdhsa_exception_int_div_zero 0
	.end_amdhsa_kernel
	.section	.text._ZN9rocsolver6v33100L8copy_matIdPdS2_NS0_7no_maskEEEviiT0_iilT1_iilT2_13rocblas_fill_17rocblas_diagonal_,"axG",@progbits,_ZN9rocsolver6v33100L8copy_matIdPdS2_NS0_7no_maskEEEviiT0_iilT1_iilT2_13rocblas_fill_17rocblas_diagonal_,comdat
.Lfunc_end115:
	.size	_ZN9rocsolver6v33100L8copy_matIdPdS2_NS0_7no_maskEEEviiT0_iilT1_iilT2_13rocblas_fill_17rocblas_diagonal_, .Lfunc_end115-_ZN9rocsolver6v33100L8copy_matIdPdS2_NS0_7no_maskEEEviiT0_iilT1_iilT2_13rocblas_fill_17rocblas_diagonal_
                                        ; -- End function
	.section	.AMDGPU.csdata,"",@progbits
; Kernel info:
; codeLenInByte = 540
; NumSgprs: 18
; NumVgprs: 8
; ScratchSize: 0
; MemoryBound: 0
; FloatMode: 240
; IeeeMode: 1
; LDSByteSize: 0 bytes/workgroup (compile time only)
; SGPRBlocks: 2
; VGPRBlocks: 0
; NumSGPRsForWavesPerEU: 18
; NumVGPRsForWavesPerEU: 8
; Occupancy: 16
; WaveLimiterHint : 0
; COMPUTE_PGM_RSRC2:SCRATCH_EN: 0
; COMPUTE_PGM_RSRC2:USER_SGPR: 13
; COMPUTE_PGM_RSRC2:TRAP_HANDLER: 0
; COMPUTE_PGM_RSRC2:TGID_X_EN: 1
; COMPUTE_PGM_RSRC2:TGID_Y_EN: 1
; COMPUTE_PGM_RSRC2:TGID_Z_EN: 1
; COMPUTE_PGM_RSRC2:TIDIG_COMP_CNT: 1
	.section	.text._ZN9rocsolver6v33100L18geqr2_kernel_smallILi256EdidPdEEvT1_S3_T3_lS3_lPT2_lPT0_l,"axG",@progbits,_ZN9rocsolver6v33100L18geqr2_kernel_smallILi256EdidPdEEvT1_S3_T3_lS3_lPT2_lPT0_l,comdat
	.globl	_ZN9rocsolver6v33100L18geqr2_kernel_smallILi256EdidPdEEvT1_S3_T3_lS3_lPT2_lPT0_l ; -- Begin function _ZN9rocsolver6v33100L18geqr2_kernel_smallILi256EdidPdEEvT1_S3_T3_lS3_lPT2_lPT0_l
	.p2align	8
	.type	_ZN9rocsolver6v33100L18geqr2_kernel_smallILi256EdidPdEEvT1_S3_T3_lS3_lPT2_lPT0_l,@function
_ZN9rocsolver6v33100L18geqr2_kernel_smallILi256EdidPdEEvT1_S3_T3_lS3_lPT2_lPT0_l: ; @_ZN9rocsolver6v33100L18geqr2_kernel_smallILi256EdidPdEEvT1_S3_T3_lS3_lPT2_lPT0_l
; %bb.0:
	s_clause 0x4
	s_load_b256 s[4:11], s[0:1], 0x20
	s_load_b64 s[12:13], s[0:1], 0x0
	s_load_b128 s[24:27], s[0:1], 0x8
	s_load_b32 s17, s[0:1], 0x18
	s_load_b64 s[2:3], s[0:1], 0x40
	s_ashr_i32 s21, s15, 31
	v_and_b32_e32 v1, 0x7f, v0
	v_lshrrev_b32_e32 v11, 7, v0
	s_delay_alu instid0(VALU_DEP_2)
	v_lshlrev_b32_e32 v12, 3, v1
	s_waitcnt lgkmcnt(0)
	s_mul_i32 s0, s15, s5
	s_mul_hi_u32 s1, s15, s4
	s_mul_i32 s5, s21, s4
	s_add_i32 s1, s1, s0
	s_mul_i32 s0, s15, s4
	s_add_i32 s1, s1, s5
	s_delay_alu instid0(SALU_CYCLE_1) | instskip(SKIP_4) | instid1(SALU_CYCLE_1)
	s_lshl_b64 s[4:5], s[0:1], 3
	v_cmp_gt_i32_e64 s0, s12, v1
	s_add_u32 s1, s24, s4
	s_addc_u32 s16, s25, s5
	s_lshl_b64 s[4:5], s[26:27], 3
	s_add_u32 s14, s1, s4
	s_addc_u32 s16, s16, s5
	s_and_saveexec_b32 s4, s0
	s_cbranch_execz .LBB116_6
; %bb.1:
	v_lshrrev_b32_e32 v5, 7, v0
	s_mov_b32 s5, 0
	s_lshl_b32 s18, s12, 4
	s_lshl_b32 s19, s17, 1
	v_mov_b32_e32 v7, v1
	v_mul_lo_u32 v2, s12, v5
	v_cmp_gt_i32_e32 vcc_lo, s13, v5
	s_delay_alu instid0(VALU_DEP_2) | instskip(SKIP_1) | instid1(VALU_DEP_2)
	v_lshlrev_b32_e32 v4, 3, v2
	v_mad_u64_u32 v[2:3], null, s17, v5, v[1:2]
	v_add3_u32 v6, v4, v12, 0
	s_set_inst_prefetch_distance 0x1
	s_branch .LBB116_3
	.p2align	6
.LBB116_2:                              ;   in Loop: Header=BB116_3 Depth=1
	s_or_b32 exec_lo, exec_lo, s20
	v_add_nc_u32_e32 v7, 0x80, v7
	v_add_nc_u32_e32 v6, 0x400, v6
	;; [unrolled: 1-line block ×3, first 2 shown]
	s_delay_alu instid0(VALU_DEP_3) | instskip(NEXT) | instid1(VALU_DEP_1)
	v_cmp_le_i32_e64 s1, s12, v7
	s_or_b32 s5, s1, s5
	s_delay_alu instid0(SALU_CYCLE_1)
	s_and_not1_b32 exec_lo, exec_lo, s5
	s_cbranch_execz .LBB116_6
.LBB116_3:                              ; =>This Loop Header: Depth=1
                                        ;     Child Loop BB116_5 Depth 2
	s_and_saveexec_b32 s20, vcc_lo
	s_cbranch_execz .LBB116_2
; %bb.4:                                ;   in Loop: Header=BB116_3 Depth=1
	s_delay_alu instid0(VALU_DEP_2)
	v_mov_b32_e32 v3, v2
	v_dual_mov_b32 v8, v6 :: v_dual_mov_b32 v9, v5
	s_mov_b32 s22, 0
	.p2align	6
.LBB116_5:                              ;   Parent Loop BB116_3 Depth=1
                                        ; =>  This Inner Loop Header: Depth=2
	s_delay_alu instid0(VALU_DEP_2) | instskip(NEXT) | instid1(VALU_DEP_2)
	v_ashrrev_i32_e32 v4, 31, v3
	v_add_nc_u32_e32 v9, 2, v9
	s_delay_alu instid0(VALU_DEP_2) | instskip(SKIP_1) | instid1(VALU_DEP_2)
	v_lshlrev_b64 v[13:14], 3, v[3:4]
	v_add_nc_u32_e32 v3, s19, v3
	v_add_co_u32 v13, s1, s14, v13
	s_delay_alu instid0(VALU_DEP_1)
	v_add_co_ci_u32_e64 v14, s1, s16, v14, s1
	v_cmp_le_i32_e64 s1, s13, v9
	global_load_b64 v[13:14], v[13:14], off
	s_or_b32 s22, s1, s22
	s_waitcnt vmcnt(0)
	ds_store_b64 v8, v[13:14]
	v_add_nc_u32_e32 v8, s18, v8
	s_and_not1_b32 exec_lo, exec_lo, s22
	s_cbranch_execnz .LBB116_5
	s_branch .LBB116_2
.LBB116_6:
	s_set_inst_prefetch_distance 0x2
	s_or_b32 exec_lo, exec_lo, s4
	s_min_i32 s18, s13, s12
	s_waitcnt lgkmcnt(0)
	s_cmp_lt_i32 s18, 1
	s_barrier
	buffer_gl0_inv
	s_cbranch_scc1 .LBB116_43
; %bb.7:
	v_mbcnt_lo_u32_b32 v2, -1, 0
	s_mul_i32 s1, s15, s9
	s_mul_hi_u32 s4, s15, s8
	s_mul_i32 s5, s21, s8
	s_add_i32 s1, s4, s1
	v_cmp_ne_u32_e32 vcc_lo, 31, v2
	s_mul_i32 s4, s15, s8
	s_add_i32 s5, s1, s5
	s_mul_i32 s1, s15, s3
	s_lshl_b64 s[4:5], s[4:5], 3
	v_add_co_ci_u32_e32 v3, vcc_lo, 0, v2, vcc_lo
	v_cmp_gt_u32_e32 vcc_lo, 30, v2
	s_mul_hi_u32 s3, s15, s2
	s_add_u32 s19, s6, s4
	s_addc_u32 s20, s7, s5
	s_add_i32 s1, s3, s1
	v_cndmask_b32_e64 v4, 0, 1, vcc_lo
	v_cmp_gt_u32_e32 vcc_lo, 28, v2
	s_mul_i32 s3, s21, s2
	s_mul_i32 s2, s15, s2
	s_add_i32 s3, s1, s3
	s_mul_i32 s1, s13, s12
	v_cndmask_b32_e64 v5, 0, 1, vcc_lo
	v_cmp_gt_u32_e32 vcc_lo, 24, v2
	s_lshl_b64 s[2:3], s[2:3], 3
	v_lshlrev_b32_e32 v13, 2, v3
	v_lshlrev_b32_e32 v3, 1, v4
	;; [unrolled: 1-line block ×3, first 2 shown]
	v_cndmask_b32_e64 v6, 0, 1, vcc_lo
	v_cmp_gt_u32_e32 vcc_lo, 16, v2
	s_add_u32 s15, s10, s2
	s_addc_u32 s21, s11, s3
	s_lshl_b32 s1, s1, 3
	v_lshlrev_b32_e32 v5, 3, v6
	v_cndmask_b32_e64 v7, 0, 1, vcc_lo
	s_add_i32 s22, s1, 0
	s_lshl_b32 s1, s13, 3
	v_add_lshl_u32 v14, v3, v2, 2
	v_add_lshl_u32 v15, v4, v2, 2
	v_lshlrev_b32_e32 v6, 4, v7
	v_add_lshl_u32 v16, v5, v2, 2
	s_add_i32 s23, s22, s1
	s_cmp_eq_u64 s[6:7], 0
	v_and_b32_e32 v7, 31, v0
	v_add_lshl_u32 v17, v6, v2, 2
	v_mad_u64_u32 v[2:3], null, s12, v0, s[12:13]
	v_lshrrev_b32_e32 v4, 2, v0
	v_lshlrev_b32_e32 v3, 3, v0
	s_cselect_b32 s24, -1, 0
	s_cmp_lg_u64 s[6:7], 0
	v_cmp_eq_u32_e64 s1, 0, v7
	s_cselect_b32 s25, -1, 0
	s_lshl_b32 s26, s12, 3
	v_cmp_eq_u32_e64 s2, 0, v0
	v_add3_u32 v18, v3, 0, 8
	v_lshl_add_u32 v19, v2, 3, 0
	v_mov_b32_e32 v2, 0
	v_add3_u32 v20, 0, s26, v3
	v_add_nc_u32_e32 v21, s23, v4
	s_mov_b32 s9, 0
	s_add_i32 s27, s26, 8
	s_lshl_b32 s28, s12, 11
	s_mov_b32 s29, 0
	s_mov_b32 s8, s9
	s_branch .LBB116_9
.LBB116_8:                              ;   in Loop: Header=BB116_9 Depth=1
	s_set_inst_prefetch_distance 0x2
	s_or_b32 exec_lo, exec_lo, s4
	v_add_nc_u32_e32 v18, s27, v18
	v_add_nc_u32_e32 v19, s27, v19
	;; [unrolled: 1-line block ×3, first 2 shown]
	s_add_i32 s8, s8, 1
	s_add_i32 s29, s29, s27
	s_cmp_eq_u32 s8, s18
	s_waitcnt lgkmcnt(0)
	s_barrier
	buffer_gl0_inv
	s_cbranch_scc1 .LBB116_43
.LBB116_9:                              ; =>This Loop Header: Depth=1
                                        ;     Child Loop BB116_11 Depth 2
                                        ;     Child Loop BB116_30 Depth 2
	;; [unrolled: 1-line block ×3, first 2 shown]
                                        ;       Child Loop BB116_36 Depth 3
                                        ;     Child Loop BB116_40 Depth 2
                                        ;       Child Loop BB116_42 Depth 3
	s_sub_i32 s30, s12, s8
	v_mov_b32_e32 v3, 0
	s_add_i32 s33, s30, -1
	v_mov_b32_e32 v4, 0
	v_cmp_gt_i32_e64 s3, s33, v0
	s_delay_alu instid0(VALU_DEP_1)
	s_and_saveexec_b32 s4, s3
	s_cbranch_execz .LBB116_13
; %bb.10:                               ;   in Loop: Header=BB116_9 Depth=1
	v_dual_mov_b32 v3, 0 :: v_dual_mov_b32 v6, v0
	v_dual_mov_b32 v4, 0 :: v_dual_mov_b32 v5, v18
	s_mov_b32 s5, 0
.LBB116_11:                             ;   Parent Loop BB116_9 Depth=1
                                        ; =>  This Inner Loop Header: Depth=2
	ds_load_b64 v[7:8], v5
	v_add_nc_u32_e32 v6, 0x100, v6
	v_add_nc_u32_e32 v5, 0x800, v5
	s_delay_alu instid0(VALU_DEP_2) | instskip(SKIP_3) | instid1(VALU_DEP_1)
	v_cmp_le_i32_e32 vcc_lo, s33, v6
	s_or_b32 s5, vcc_lo, s5
	s_waitcnt lgkmcnt(0)
	v_mul_f64 v[7:8], v[7:8], v[7:8]
	v_add_f64 v[3:4], v[3:4], v[7:8]
	s_and_not1_b32 exec_lo, exec_lo, s5
	s_cbranch_execnz .LBB116_11
; %bb.12:                               ;   in Loop: Header=BB116_9 Depth=1
	s_or_b32 exec_lo, exec_lo, s5
.LBB116_13:                             ;   in Loop: Header=BB116_9 Depth=1
	s_delay_alu instid0(SALU_CYCLE_1)
	s_or_b32 exec_lo, exec_lo, s4
	ds_bpermute_b32 v5, v13, v3
	ds_bpermute_b32 v6, v13, v4
	s_waitcnt lgkmcnt(0)
	v_add_f64 v[3:4], v[3:4], v[5:6]
	ds_bpermute_b32 v5, v14, v3
	ds_bpermute_b32 v6, v14, v4
	s_waitcnt lgkmcnt(0)
	v_add_f64 v[3:4], v[3:4], v[5:6]
	;; [unrolled: 4-line block ×5, first 2 shown]
	s_and_saveexec_b32 s4, s1
	s_cbranch_execz .LBB116_15
; %bb.14:                               ;   in Loop: Header=BB116_9 Depth=1
	ds_store_b64 v21, v[3:4] offset:8
.LBB116_15:                             ;   in Loop: Header=BB116_9 Depth=1
	s_or_b32 exec_lo, exec_lo, s4
	s_lshl_b32 s4, s8, 3
	s_mul_i32 s5, s8, s12
	s_add_i32 s31, s4, 0
	s_lshl_b32 s4, s5, 3
	s_waitcnt lgkmcnt(0)
	s_add_i32 s31, s31, s4
	s_barrier
	buffer_gl0_inv
	s_and_saveexec_b32 s34, s2
	s_cbranch_execz .LBB116_28
; %bb.16:                               ;   in Loop: Header=BB116_9 Depth=1
	v_mov_b32_e32 v9, s23
	s_mov_b32 s36, 0
	s_mov_b32 s35, 0
	s_mov_b32 s37, exec_lo
                                        ; implicit-def: $sgpr6_sgpr7
                                        ; implicit-def: $sgpr10_sgpr11
                                        ; implicit-def: $sgpr4_sgpr5
	ds_load_2addr_b64 v[5:8], v9 offset0:2 offset1:3
	ds_load_2addr_b64 v[22:25], v9 offset0:4 offset1:5
	s_waitcnt lgkmcnt(1)
	v_add_f64 v[3:4], v[3:4], v[5:6]
	s_delay_alu instid0(VALU_DEP_1) | instskip(SKIP_1) | instid1(VALU_DEP_1)
	v_add_f64 v[3:4], v[3:4], v[7:8]
	s_waitcnt lgkmcnt(0)
	v_add_f64 v[3:4], v[3:4], v[22:23]
	s_delay_alu instid0(VALU_DEP_1) | instskip(SKIP_4) | instid1(VALU_DEP_1)
	v_add_f64 v[7:8], v[3:4], v[24:25]
	ds_load_2addr_b64 v[3:6], v9 offset0:6 offset1:7
	ds_load_b64 v[9:10], v9 offset:64
	s_waitcnt lgkmcnt(1)
	v_add_f64 v[3:4], v[7:8], v[3:4]
	v_add_f64 v[3:4], v[3:4], v[5:6]
	s_waitcnt lgkmcnt(0)
	s_delay_alu instid0(VALU_DEP_1) | instskip(NEXT) | instid1(VALU_DEP_1)
	v_add_f64 v[7:8], v[3:4], v[9:10]
                                        ; implicit-def: $vgpr3_vgpr4
	v_cmpx_nlt_f64_e32 0, v[7:8]
	s_xor_b32 s37, exec_lo, s37
	s_cbranch_execz .LBB116_21
; %bb.17:                               ;   in Loop: Header=BB116_9 Depth=1
	v_dual_mov_b32 v3, v2 :: v_dual_mov_b32 v4, s23
	s_and_b32 vcc_lo, exec_lo, s25
	ds_store_b64 v4, v[2:3]
	s_cbranch_vccz .LBB116_19
; %bb.18:                               ;   in Loop: Header=BB116_9 Depth=1
	v_mov_b32_e32 v3, s31
	s_mov_b32 s35, -1
	s_mov_b64 s[4:5], 1.0
	ds_load_b64 v[3:4], v3
	s_branch .LBB116_20
.LBB116_19:                             ;   in Loop: Header=BB116_9 Depth=1
                                        ; implicit-def: $vgpr3_vgpr4
                                        ; implicit-def: $sgpr4_sgpr5
.LBB116_20:                             ;   in Loop: Header=BB116_9 Depth=1
	s_mov_b64 s[10:11], 0
	s_mov_b64 s[6:7], 1.0
	s_and_b32 s35, s35, exec_lo
                                        ; implicit-def: $vgpr7_vgpr8
.LBB116_21:                             ;   in Loop: Header=BB116_9 Depth=1
	s_or_saveexec_b32 s37, s37
	v_dual_mov_b32 v6, s5 :: v_dual_mov_b32 v5, s4
	s_xor_b32 exec_lo, exec_lo, s37
	s_cbranch_execz .LBB116_23
; %bb.22:                               ;   in Loop: Header=BB116_9 Depth=1
	s_waitcnt lgkmcnt(0)
	v_mov_b32_e32 v3, s31
	s_and_b32 s5, s25, exec_lo
	s_and_b32 s36, s24, exec_lo
	ds_load_b64 v[5:6], v3
	s_waitcnt lgkmcnt(0)
	v_fma_f64 v[3:4], v[5:6], v[5:6], v[7:8]
	s_delay_alu instid0(VALU_DEP_1) | instskip(SKIP_1) | instid1(VALU_DEP_1)
	v_cmp_gt_f64_e32 vcc_lo, 0x10000000, v[3:4]
	v_cndmask_b32_e64 v7, 0, 1, vcc_lo
	v_lshlrev_b32_e32 v7, 8, v7
	s_delay_alu instid0(VALU_DEP_1) | instskip(NEXT) | instid1(VALU_DEP_1)
	v_ldexp_f64 v[3:4], v[3:4], v7
	v_rsq_f64_e32 v[7:8], v[3:4]
	s_waitcnt_depctr 0xfff
	v_mul_f64 v[9:10], v[3:4], v[7:8]
	v_mul_f64 v[7:8], v[7:8], 0.5
	s_delay_alu instid0(VALU_DEP_1) | instskip(NEXT) | instid1(VALU_DEP_1)
	v_fma_f64 v[22:23], -v[7:8], v[9:10], 0.5
	v_fma_f64 v[9:10], v[9:10], v[22:23], v[9:10]
	v_fma_f64 v[7:8], v[7:8], v[22:23], v[7:8]
	s_delay_alu instid0(VALU_DEP_2) | instskip(NEXT) | instid1(VALU_DEP_1)
	v_fma_f64 v[22:23], -v[9:10], v[9:10], v[3:4]
	v_fma_f64 v[9:10], v[22:23], v[7:8], v[9:10]
	s_delay_alu instid0(VALU_DEP_1) | instskip(NEXT) | instid1(VALU_DEP_1)
	v_fma_f64 v[22:23], -v[9:10], v[9:10], v[3:4]
	v_fma_f64 v[7:8], v[22:23], v[7:8], v[9:10]
	v_cndmask_b32_e64 v9, 0, 0xffffff80, vcc_lo
	v_cmp_class_f64_e64 vcc_lo, v[3:4], 0x260
	s_delay_alu instid0(VALU_DEP_2) | instskip(NEXT) | instid1(VALU_DEP_1)
	v_ldexp_f64 v[7:8], v[7:8], v9
	v_dual_cndmask_b32 v4, v8, v4 :: v_dual_cndmask_b32 v3, v7, v3
	v_cmp_le_f64_e32 vcc_lo, 0, v[5:6]
	s_delay_alu instid0(VALU_DEP_2) | instskip(NEXT) | instid1(VALU_DEP_1)
	v_xor_b32_e32 v7, 0x80000000, v4
	v_cndmask_b32_e32 v4, v4, v7, vcc_lo
	s_delay_alu instid0(VALU_DEP_1) | instskip(SKIP_1) | instid1(VALU_DEP_2)
	v_add_f64 v[7:8], v[5:6], -v[3:4]
	v_add_f64 v[5:6], v[3:4], -v[5:6]
	v_div_scale_f64 v[9:10], null, v[7:8], v[7:8], 1.0
	s_delay_alu instid0(VALU_DEP_2) | instskip(SKIP_1) | instid1(VALU_DEP_3)
	v_div_scale_f64 v[22:23], null, v[3:4], v[3:4], v[5:6]
	v_div_scale_f64 v[32:33], vcc_lo, 1.0, v[7:8], 1.0
	v_rcp_f64_e32 v[24:25], v[9:10]
	s_delay_alu instid0(VALU_DEP_2) | instskip(SKIP_3) | instid1(VALU_DEP_2)
	v_rcp_f64_e32 v[26:27], v[22:23]
	s_waitcnt_depctr 0xfff
	v_fma_f64 v[28:29], -v[9:10], v[24:25], 1.0
	v_fma_f64 v[30:31], -v[22:23], v[26:27], 1.0
	v_fma_f64 v[24:25], v[24:25], v[28:29], v[24:25]
	s_delay_alu instid0(VALU_DEP_2) | instskip(NEXT) | instid1(VALU_DEP_2)
	v_fma_f64 v[26:27], v[26:27], v[30:31], v[26:27]
	v_fma_f64 v[28:29], -v[9:10], v[24:25], 1.0
	s_delay_alu instid0(VALU_DEP_2) | instskip(NEXT) | instid1(VALU_DEP_2)
	v_fma_f64 v[30:31], -v[22:23], v[26:27], 1.0
	v_fma_f64 v[24:25], v[24:25], v[28:29], v[24:25]
	v_div_scale_f64 v[28:29], s4, v[5:6], v[3:4], v[5:6]
	s_delay_alu instid0(VALU_DEP_3) | instskip(NEXT) | instid1(VALU_DEP_3)
	v_fma_f64 v[26:27], v[26:27], v[30:31], v[26:27]
	v_mul_f64 v[30:31], v[32:33], v[24:25]
	s_delay_alu instid0(VALU_DEP_2) | instskip(NEXT) | instid1(VALU_DEP_2)
	v_mul_f64 v[34:35], v[28:29], v[26:27]
	v_fma_f64 v[9:10], -v[9:10], v[30:31], v[32:33]
	s_delay_alu instid0(VALU_DEP_2) | instskip(NEXT) | instid1(VALU_DEP_2)
	v_fma_f64 v[22:23], -v[22:23], v[34:35], v[28:29]
	v_div_fmas_f64 v[9:10], v[9:10], v[24:25], v[30:31]
	s_mov_b32 vcc_lo, s4
	s_and_not1_b32 s4, s35, exec_lo
	s_delay_alu instid0(VALU_DEP_2) | instskip(SKIP_1) | instid1(VALU_DEP_1)
	v_div_fmas_f64 v[22:23], v[22:23], v[26:27], v[34:35]
	s_or_b32 s35, s4, s5
	v_div_fixup_f64 v[22:23], v[22:23], v[3:4], v[5:6]
	s_delay_alu instid0(VALU_DEP_3)
	v_div_fixup_f64 v[5:6], v[9:10], v[7:8], 1.0
	v_mov_b32_e32 v7, s23
	ds_store_b64 v7, v[22:23]
.LBB116_23:                             ;   in Loop: Header=BB116_9 Depth=1
	s_or_b32 exec_lo, exec_lo, s37
	s_and_saveexec_b32 s4, s35
	s_cbranch_execz .LBB116_25
; %bb.24:                               ;   in Loop: Header=BB116_9 Depth=1
	s_lshl_b64 s[38:39], s[8:9], 3
	s_delay_alu instid0(SALU_CYCLE_1)
	s_add_u32 s38, s19, s38
	s_addc_u32 s39, s20, s39
	s_or_b32 s36, s36, exec_lo
	s_waitcnt lgkmcnt(0)
	global_store_b64 v2, v[3:4], s[38:39]
	v_mov_b32_e32 v3, 0
	v_mov_b32_e32 v4, 0x3ff00000
.LBB116_25:                             ;   in Loop: Header=BB116_9 Depth=1
	s_or_b32 exec_lo, exec_lo, s4
	v_dual_mov_b32 v7, s10 :: v_dual_mov_b32 v8, s11
	v_dual_mov_b32 v10, s7 :: v_dual_mov_b32 v9, s6
	s_and_saveexec_b32 s4, s36
	s_cbranch_execz .LBB116_27
; %bb.26:                               ;   in Loop: Header=BB116_9 Depth=1
	v_dual_mov_b32 v7, s31 :: v_dual_mov_b32 v8, s23
	v_dual_mov_b32 v10, v6 :: v_dual_mov_b32 v9, v5
	s_waitcnt lgkmcnt(0)
	ds_store_b64 v7, v[3:4]
	ds_load_b64 v[7:8], v8
.LBB116_27:                             ;   in Loop: Header=BB116_9 Depth=1
	s_or_b32 exec_lo, exec_lo, s4
	s_lshl_b64 s[4:5], s[8:9], 3
	s_waitcnt lgkmcnt(0)
	v_mov_b32_e32 v3, s23
	s_add_u32 s4, s15, s4
	s_addc_u32 s5, s21, s5
	global_store_b64 v2, v[7:8], s[4:5]
	ds_store_b64 v3, v[9:10] offset:8
.LBB116_28:                             ;   in Loop: Header=BB116_9 Depth=1
	s_or_b32 exec_lo, exec_lo, s34
	s_waitcnt lgkmcnt(0)
	s_waitcnt_vscnt null, 0x0
	s_barrier
	buffer_gl0_inv
	s_and_saveexec_b32 s4, s3
	s_cbranch_execz .LBB116_31
; %bb.29:                               ;   in Loop: Header=BB116_9 Depth=1
	v_mov_b32_e32 v3, v0
	s_mov_b32 s3, 0
	s_mov_b32 s5, 0
	.p2align	6
.LBB116_30:                             ;   Parent Loop BB116_9 Depth=1
                                        ; =>  This Inner Loop Header: Depth=2
	s_delay_alu instid0(VALU_DEP_1)
	v_dual_mov_b32 v4, s23 :: v_dual_add_nc_u32 v3, 0x100, v3
	v_add_nc_u32_e32 v8, s5, v18
	s_addk_i32 s5, 0x800
	ds_load_b64 v[4:5], v4 offset:8
	ds_load_b64 v[6:7], v8
	v_cmp_le_i32_e32 vcc_lo, s33, v3
	s_or_b32 s3, vcc_lo, s3
	s_waitcnt lgkmcnt(0)
	v_mul_f64 v[4:5], v[4:5], v[6:7]
	ds_store_b64 v8, v[4:5]
	s_and_not1_b32 exec_lo, exec_lo, s3
	s_cbranch_execnz .LBB116_30
.LBB116_31:                             ;   in Loop: Header=BB116_9 Depth=1
	s_or_b32 exec_lo, exec_lo, s4
	s_not_b32 s3, s8
	s_mov_b32 s4, exec_lo
	s_add_i32 s3, s3, s13
	s_waitcnt lgkmcnt(0)
	s_barrier
	buffer_gl0_inv
	v_cmpx_gt_i32_e64 s3, v0
	s_cbranch_execz .LBB116_37
; %bb.32:                               ;   in Loop: Header=BB116_9 Depth=1
	v_dual_mov_b32 v5, v19 :: v_dual_mov_b32 v6, v0
	s_cmp_gt_i32 s30, 0
	s_mov_b32 s5, 0
	s_cselect_b32 s6, -1, 0
	s_set_inst_prefetch_distance 0x1
	s_branch .LBB116_34
	.p2align	6
.LBB116_33:                             ;   in Loop: Header=BB116_34 Depth=2
	v_mov_b32_e32 v7, s23
	v_add_nc_u32_e32 v5, s28, v5
	ds_load_b64 v[7:8], v7
	s_waitcnt lgkmcnt(0)
	v_mul_f64 v[3:4], v[3:4], v[7:8]
	v_lshl_add_u32 v7, v6, 3, s22
	v_add_nc_u32_e32 v6, 0x100, v6
	s_delay_alu instid0(VALU_DEP_1)
	v_cmp_le_i32_e32 vcc_lo, s3, v6
	s_or_b32 s5, vcc_lo, s5
	ds_store_b64 v7, v[3:4]
	s_and_not1_b32 exec_lo, exec_lo, s5
	s_cbranch_execz .LBB116_37
.LBB116_34:                             ;   Parent Loop BB116_9 Depth=1
                                        ; =>  This Loop Header: Depth=2
                                        ;       Child Loop BB116_36 Depth 3
	v_mov_b32_e32 v3, 0
	v_mov_b32_e32 v4, 0
	s_and_not1_b32 vcc_lo, exec_lo, s6
	s_cbranch_vccnz .LBB116_33
; %bb.35:                               ;   in Loop: Header=BB116_34 Depth=2
	v_mov_b32_e32 v7, v5
	s_mov_b32 s7, 0
	s_mov_b32 s10, s29
.LBB116_36:                             ;   Parent Loop BB116_9 Depth=1
                                        ;     Parent Loop BB116_34 Depth=2
                                        ; =>    This Inner Loop Header: Depth=3
	s_delay_alu instid0(SALU_CYCLE_1)
	v_mov_b32_e32 v10, s10
	s_add_i32 s7, s7, 1
	s_add_i32 s10, s10, 8
	s_cmp_ge_i32 s7, s30
	ds_load_b64 v[8:9], v7
	ds_load_b64 v[22:23], v10
	v_add_nc_u32_e32 v7, 8, v7
	s_waitcnt lgkmcnt(0)
	v_fma_f64 v[3:4], v[8:9], v[22:23], v[3:4]
	s_cbranch_scc0 .LBB116_36
	s_branch .LBB116_33
.LBB116_37:                             ;   in Loop: Header=BB116_9 Depth=1
	s_set_inst_prefetch_distance 0x2
	s_or_b32 exec_lo, exec_lo, s4
	s_delay_alu instid0(SALU_CYCLE_1)
	s_mov_b32 s4, exec_lo
	s_waitcnt lgkmcnt(0)
	s_barrier
	buffer_gl0_inv
	v_cmpx_gt_i32_e64 s30, v0
	s_cbranch_execz .LBB116_8
; %bb.38:                               ;   in Loop: Header=BB116_9 Depth=1
	v_mov_b32_e32 v3, v20
	v_mov_b32_e32 v4, v0
	s_cmp_gt_i32 s3, 0
	s_mov_b32 s5, 0
	s_cselect_b32 s6, -1, 0
	s_set_inst_prefetch_distance 0x1
	s_branch .LBB116_40
	.p2align	6
.LBB116_39:                             ;   in Loop: Header=BB116_40 Depth=2
	v_add_nc_u32_e32 v4, 0x100, v4
	v_add_nc_u32_e32 v3, 0x800, v3
	s_delay_alu instid0(VALU_DEP_2) | instskip(SKIP_1) | instid1(SALU_CYCLE_1)
	v_cmp_le_i32_e32 vcc_lo, s30, v4
	s_or_b32 s5, vcc_lo, s5
	s_and_not1_b32 exec_lo, exec_lo, s5
	s_cbranch_execz .LBB116_8
.LBB116_40:                             ;   Parent Loop BB116_9 Depth=1
                                        ; =>  This Loop Header: Depth=2
                                        ;       Child Loop BB116_42 Depth 3
	s_and_not1_b32 vcc_lo, exec_lo, s6
	s_cbranch_vccnz .LBB116_39
; %bb.41:                               ;   in Loop: Header=BB116_40 Depth=2
	v_lshl_add_u32 v5, v4, 3, s31
	v_mov_b32_e32 v6, v3
	s_mov_b32 s7, 0
	s_mov_b32 s10, s22
	.p2align	6
.LBB116_42:                             ;   Parent Loop BB116_9 Depth=1
                                        ;     Parent Loop BB116_40 Depth=2
                                        ; =>    This Inner Loop Header: Depth=3
	s_delay_alu instid0(SALU_CYCLE_1)
	v_mov_b32_e32 v22, s10
	s_add_i32 s7, s7, 1
	s_add_i32 s10, s10, 8
	ds_load_b64 v[7:8], v6
	ds_load_b64 v[9:10], v5
	;; [unrolled: 1-line block ×3, first 2 shown]
	s_cmp_ge_i32 s7, s3
	s_waitcnt lgkmcnt(0)
	v_fma_f64 v[7:8], -v[9:10], v[22:23], v[7:8]
	ds_store_b64 v6, v[7:8]
	v_add_nc_u32_e32 v6, s26, v6
	s_cbranch_scc0 .LBB116_42
	s_branch .LBB116_39
.LBB116_43:
	s_and_saveexec_b32 s1, s0
	s_cbranch_execz .LBB116_49
; %bb.44:
	v_mul_lo_u32 v0, s12, v11
	v_mad_u64_u32 v[2:3], null, s17, v11, v[1:2]
	v_cmp_gt_i32_e32 vcc_lo, s13, v11
	s_lshl_b32 s2, s17, 1
	s_mov_b32 s3, 0
	s_lshl_b32 s4, s12, 4
	s_delay_alu instid0(VALU_DEP_3) | instskip(NEXT) | instid1(VALU_DEP_1)
	v_lshlrev_b32_e32 v0, 3, v0
	v_add3_u32 v0, v0, v12, 0
	s_set_inst_prefetch_distance 0x1
	s_branch .LBB116_46
	.p2align	6
.LBB116_45:                             ;   in Loop: Header=BB116_46 Depth=1
	s_or_b32 exec_lo, exec_lo, s5
	v_add_nc_u32_e32 v1, 0x80, v1
	v_add_nc_u32_e32 v2, 0x80, v2
	;; [unrolled: 1-line block ×3, first 2 shown]
	s_delay_alu instid0(VALU_DEP_3) | instskip(NEXT) | instid1(VALU_DEP_1)
	v_cmp_le_i32_e64 s0, s12, v1
	s_or_b32 s3, s0, s3
	s_delay_alu instid0(SALU_CYCLE_1)
	s_and_not1_b32 exec_lo, exec_lo, s3
	s_cbranch_execz .LBB116_49
.LBB116_46:                             ; =>This Loop Header: Depth=1
                                        ;     Child Loop BB116_48 Depth 2
	s_and_saveexec_b32 s5, vcc_lo
	s_cbranch_execz .LBB116_45
; %bb.47:                               ;   in Loop: Header=BB116_46 Depth=1
	v_dual_mov_b32 v5, v0 :: v_dual_mov_b32 v6, v11
	v_mov_b32_e32 v3, v2
	s_mov_b32 s6, 0
	.p2align	6
.LBB116_48:                             ;   Parent Loop BB116_46 Depth=1
                                        ; =>  This Inner Loop Header: Depth=2
	ds_load_b64 v[7:8], v5
	v_ashrrev_i32_e32 v4, 31, v3
	v_add_nc_u32_e32 v6, 2, v6
	v_add_nc_u32_e32 v5, s4, v5
	s_delay_alu instid0(VALU_DEP_3) | instskip(NEXT) | instid1(VALU_DEP_3)
	v_lshlrev_b64 v[9:10], 3, v[3:4]
	v_cmp_le_i32_e64 s0, s13, v6
	v_add_nc_u32_e32 v3, s2, v3
	s_delay_alu instid0(VALU_DEP_2) | instskip(NEXT) | instid1(VALU_DEP_3)
	s_or_b32 s6, s0, s6
	v_add_co_u32 v9, s1, s14, v9
	s_delay_alu instid0(VALU_DEP_1)
	v_add_co_ci_u32_e64 v10, s1, s16, v10, s1
	s_waitcnt lgkmcnt(0)
	global_store_b64 v[9:10], v[7:8], off
	s_and_not1_b32 exec_lo, exec_lo, s6
	s_cbranch_execnz .LBB116_48
	s_branch .LBB116_45
.LBB116_49:
	s_set_inst_prefetch_distance 0x2
	s_nop 0
	s_sendmsg sendmsg(MSG_DEALLOC_VGPRS)
	s_endpgm
	.section	.rodata,"a",@progbits
	.p2align	6, 0x0
	.amdhsa_kernel _ZN9rocsolver6v33100L18geqr2_kernel_smallILi256EdidPdEEvT1_S3_T3_lS3_lPT2_lPT0_l
		.amdhsa_group_segment_fixed_size 0
		.amdhsa_private_segment_fixed_size 0
		.amdhsa_kernarg_size 72
		.amdhsa_user_sgpr_count 14
		.amdhsa_user_sgpr_dispatch_ptr 0
		.amdhsa_user_sgpr_queue_ptr 0
		.amdhsa_user_sgpr_kernarg_segment_ptr 1
		.amdhsa_user_sgpr_dispatch_id 0
		.amdhsa_user_sgpr_private_segment_size 0
		.amdhsa_wavefront_size32 1
		.amdhsa_uses_dynamic_stack 0
		.amdhsa_enable_private_segment 0
		.amdhsa_system_sgpr_workgroup_id_x 1
		.amdhsa_system_sgpr_workgroup_id_y 0
		.amdhsa_system_sgpr_workgroup_id_z 1
		.amdhsa_system_sgpr_workgroup_info 0
		.amdhsa_system_vgpr_workitem_id 0
		.amdhsa_next_free_vgpr 36
		.amdhsa_next_free_sgpr 40
		.amdhsa_reserve_vcc 1
		.amdhsa_float_round_mode_32 0
		.amdhsa_float_round_mode_16_64 0
		.amdhsa_float_denorm_mode_32 3
		.amdhsa_float_denorm_mode_16_64 3
		.amdhsa_dx10_clamp 1
		.amdhsa_ieee_mode 1
		.amdhsa_fp16_overflow 0
		.amdhsa_workgroup_processor_mode 1
		.amdhsa_memory_ordered 1
		.amdhsa_forward_progress 0
		.amdhsa_shared_vgpr_count 0
		.amdhsa_exception_fp_ieee_invalid_op 0
		.amdhsa_exception_fp_denorm_src 0
		.amdhsa_exception_fp_ieee_div_zero 0
		.amdhsa_exception_fp_ieee_overflow 0
		.amdhsa_exception_fp_ieee_underflow 0
		.amdhsa_exception_fp_ieee_inexact 0
		.amdhsa_exception_int_div_zero 0
	.end_amdhsa_kernel
	.section	.text._ZN9rocsolver6v33100L18geqr2_kernel_smallILi256EdidPdEEvT1_S3_T3_lS3_lPT2_lPT0_l,"axG",@progbits,_ZN9rocsolver6v33100L18geqr2_kernel_smallILi256EdidPdEEvT1_S3_T3_lS3_lPT2_lPT0_l,comdat
.Lfunc_end116:
	.size	_ZN9rocsolver6v33100L18geqr2_kernel_smallILi256EdidPdEEvT1_S3_T3_lS3_lPT2_lPT0_l, .Lfunc_end116-_ZN9rocsolver6v33100L18geqr2_kernel_smallILi256EdidPdEEvT1_S3_T3_lS3_lPT2_lPT0_l
                                        ; -- End function
	.section	.AMDGPU.csdata,"",@progbits
; Kernel info:
; codeLenInByte = 2812
; NumSgprs: 42
; NumVgprs: 36
; ScratchSize: 0
; MemoryBound: 0
; FloatMode: 240
; IeeeMode: 1
; LDSByteSize: 0 bytes/workgroup (compile time only)
; SGPRBlocks: 5
; VGPRBlocks: 4
; NumSGPRsForWavesPerEU: 42
; NumVGPRsForWavesPerEU: 36
; Occupancy: 16
; WaveLimiterHint : 0
; COMPUTE_PGM_RSRC2:SCRATCH_EN: 0
; COMPUTE_PGM_RSRC2:USER_SGPR: 14
; COMPUTE_PGM_RSRC2:TRAP_HANDLER: 0
; COMPUTE_PGM_RSRC2:TGID_X_EN: 1
; COMPUTE_PGM_RSRC2:TGID_Y_EN: 0
; COMPUTE_PGM_RSRC2:TGID_Z_EN: 1
; COMPUTE_PGM_RSRC2:TIDIG_COMP_CNT: 0
	.section	.text._ZN9rocsolver6v33100L16gesdd_flip_signsIddEEviPT0_lPT_ilS5_ili,"axG",@progbits,_ZN9rocsolver6v33100L16gesdd_flip_signsIddEEviPT0_lPT_ilS5_ili,comdat
	.globl	_ZN9rocsolver6v33100L16gesdd_flip_signsIddEEviPT0_lPT_ilS5_ili ; -- Begin function _ZN9rocsolver6v33100L16gesdd_flip_signsIddEEviPT0_lPT_ilS5_ili
	.p2align	8
	.type	_ZN9rocsolver6v33100L16gesdd_flip_signsIddEEviPT0_lPT_ilS5_ili,@function
_ZN9rocsolver6v33100L16gesdd_flip_signsIddEEviPT0_lPT_ilS5_ili: ; @_ZN9rocsolver6v33100L16gesdd_flip_signsIddEEviPT0_lPT_ilS5_ili
; %bb.0:
	s_load_b32 s24, s[0:1], 0x48
	s_waitcnt lgkmcnt(0)
	s_cmp_ge_i32 s15, s24
	s_cbranch_scc1 .LBB117_13
; %bb.1:
	s_clause 0x8
	s_load_b32 s18, s[0:1], 0x5c
	s_load_b32 s25, s[0:1], 0x0
	s_load_b64 s[2:3], s[0:1], 0x40
	s_load_b64 s[12:13], s[0:1], 0x50
	s_load_b32 s27, s[0:1], 0x20
	s_load_b64 s[16:17], s[0:1], 0x18
	s_load_b128 s[4:7], s[0:1], 0x8
	s_load_b128 s[8:11], s[0:1], 0x28
	s_load_b32 s26, s[0:1], 0x38
	s_waitcnt lgkmcnt(0)
	s_and_b32 s1, s18, 0xffff
	s_cmp_gt_i32 s25, 0
	v_mad_u64_u32 v[1:2], null, s14, s1, v[0:1]
	v_mov_b32_e32 v0, 0
	s_cselect_b32 s14, -1, 0
	s_add_i32 s27, s27, 1
	s_mul_i32 s12, s12, s1
	s_lshl_b64 s[6:7], s[6:7], 3
	s_delay_alu instid0(VALU_DEP_2)
	v_cmp_gt_i32_e64 s0, s25, v1
	s_branch .LBB117_3
.LBB117_2:                              ;   in Loop: Header=BB117_3 Depth=1
	s_or_b32 exec_lo, exec_lo, s28
	s_add_i32 s15, s15, s13
	s_delay_alu instid0(SALU_CYCLE_1)
	s_cmp_lt_i32 s15, s24
	s_cbranch_scc0 .LBB117_13
.LBB117_3:                              ; =>This Loop Header: Depth=1
                                        ;     Child Loop BB117_6 Depth 2
                                        ;       Child Loop BB117_9 Depth 3
	s_delay_alu instid0(VALU_DEP_1)
	s_and_saveexec_b32 s28, s0
	s_cbranch_execz .LBB117_2
; %bb.4:                                ;   in Loop: Header=BB117_3 Depth=1
	s_ashr_i32 s1, s15, 31
	s_mul_hi_u32 s18, s6, s15
	s_mul_i32 s19, s6, s1
	s_mul_i32 s20, s7, s15
	s_add_i32 s18, s18, s19
	s_mul_i32 s19, s6, s15
	s_add_i32 s20, s18, s20
	s_mul_i32 s21, s15, s9
	s_mul_hi_u32 s22, s15, s8
	s_add_u32 s18, s4, s19
	s_addc_u32 s19, s5, s20
	s_add_i32 s20, s22, s21
	s_mul_i32 s21, s1, s8
	s_mul_hi_u32 s22, s15, s2
	s_add_i32 s21, s20, s21
	s_mul_i32 s20, s15, s8
	s_mul_i32 s1, s1, s2
	s_lshl_b64 s[20:21], s[20:21], 3
	v_mov_b32_e32 v6, v1
	s_add_u32 s29, s16, s20
	s_mul_i32 s20, s15, s3
	s_addc_u32 s30, s17, s21
	s_add_i32 s20, s22, s20
	s_mov_b32 s34, 0
	s_add_i32 s21, s20, s1
	s_mul_i32 s20, s15, s2
	s_delay_alu instid0(SALU_CYCLE_1) | instskip(NEXT) | instid1(SALU_CYCLE_1)
	s_lshl_b64 s[20:21], s[20:21], 3
	s_add_u32 s31, s10, s20
	s_addc_u32 s33, s11, s21
	s_branch .LBB117_6
.LBB117_5:                              ;   in Loop: Header=BB117_6 Depth=2
	s_set_inst_prefetch_distance 0x2
	v_add_nc_u32_e32 v6, s12, v6
	s_delay_alu instid0(VALU_DEP_1) | instskip(SKIP_1) | instid1(SALU_CYCLE_1)
	v_cmp_le_i32_e32 vcc_lo, s25, v6
	s_or_b32 s34, vcc_lo, s34
	s_and_not1_b32 exec_lo, exec_lo, s34
	s_cbranch_execz .LBB117_2
.LBB117_6:                              ;   Parent Loop BB117_3 Depth=1
                                        ; =>  This Loop Header: Depth=2
                                        ;       Child Loop BB117_9 Depth 3
	s_and_not1_b32 vcc_lo, exec_lo, s14
	s_cbranch_vccnz .LBB117_5
; %bb.7:                                ;   in Loop: Header=BB117_6 Depth=2
	v_cmp_eq_u32_e64 s1, 0, v6
	v_mov_b32_e32 v2, v6
	s_mov_b32 s20, 0
	s_mov_b64 s[22:23], s[18:19]
	s_mov_b32 s35, s25
	s_set_inst_prefetch_distance 0x1
	s_branch .LBB117_9
	.p2align	6
.LBB117_8:                              ;   in Loop: Header=BB117_9 Depth=3
	s_or_b32 exec_lo, exec_lo, s21
	s_add_i32 s35, s35, -1
	v_add_nc_u32_e32 v2, s26, v2
	s_add_i32 s20, s20, s27
	s_add_u32 s22, s22, 8
	s_addc_u32 s23, s23, 0
	s_cmp_lg_u32 s35, 0
	s_cbranch_scc0 .LBB117_5
.LBB117_9:                              ;   Parent Loop BB117_3 Depth=1
                                        ;     Parent Loop BB117_6 Depth=2
                                        ; =>    This Inner Loop Header: Depth=3
	s_ashr_i32 s21, s20, 31
	s_delay_alu instid0(SALU_CYCLE_1) | instskip(NEXT) | instid1(SALU_CYCLE_1)
	s_lshl_b64 s[36:37], s[20:21], 3
	s_add_u32 s36, s29, s36
	s_addc_u32 s37, s30, s37
	global_load_b64 v[4:5], v0, s[36:37]
	s_waitcnt vmcnt(0)
	v_cmp_ngt_f64_e32 vcc_lo, 0, v[4:5]
	s_cbranch_vccnz .LBB117_11
; %bb.10:                               ;   in Loop: Header=BB117_9 Depth=3
	v_ashrrev_i32_e32 v3, 31, v2
	s_delay_alu instid0(VALU_DEP_1) | instskip(NEXT) | instid1(VALU_DEP_1)
	v_lshlrev_b64 v[7:8], 3, v[2:3]
	v_add_co_u32 v7, vcc_lo, s31, v7
	s_delay_alu instid0(VALU_DEP_2)
	v_add_co_ci_u32_e32 v8, vcc_lo, s33, v8, vcc_lo
	global_load_b64 v[9:10], v[7:8], off
	s_waitcnt vmcnt(0)
	v_xor_b32_e32 v10, 0x80000000, v10
	global_store_b64 v[7:8], v[9:10], off
.LBB117_11:                             ;   in Loop: Header=BB117_9 Depth=3
	s_and_saveexec_b32 s21, s1
	s_cbranch_execz .LBB117_8
; %bb.12:                               ;   in Loop: Header=BB117_9 Depth=3
	v_and_b32_e32 v5, 0x7fffffff, v5
	global_store_b64 v0, v[4:5], s[22:23]
	s_branch .LBB117_8
.LBB117_13:
	s_nop 0
	s_sendmsg sendmsg(MSG_DEALLOC_VGPRS)
	s_endpgm
	.section	.rodata,"a",@progbits
	.p2align	6, 0x0
	.amdhsa_kernel _ZN9rocsolver6v33100L16gesdd_flip_signsIddEEviPT0_lPT_ilS5_ili
		.amdhsa_group_segment_fixed_size 0
		.amdhsa_private_segment_fixed_size 0
		.amdhsa_kernarg_size 336
		.amdhsa_user_sgpr_count 14
		.amdhsa_user_sgpr_dispatch_ptr 0
		.amdhsa_user_sgpr_queue_ptr 0
		.amdhsa_user_sgpr_kernarg_segment_ptr 1
		.amdhsa_user_sgpr_dispatch_id 0
		.amdhsa_user_sgpr_private_segment_size 0
		.amdhsa_wavefront_size32 1
		.amdhsa_uses_dynamic_stack 0
		.amdhsa_enable_private_segment 0
		.amdhsa_system_sgpr_workgroup_id_x 1
		.amdhsa_system_sgpr_workgroup_id_y 1
		.amdhsa_system_sgpr_workgroup_id_z 0
		.amdhsa_system_sgpr_workgroup_info 0
		.amdhsa_system_vgpr_workitem_id 0
		.amdhsa_next_free_vgpr 11
		.amdhsa_next_free_sgpr 38
		.amdhsa_reserve_vcc 1
		.amdhsa_float_round_mode_32 0
		.amdhsa_float_round_mode_16_64 0
		.amdhsa_float_denorm_mode_32 3
		.amdhsa_float_denorm_mode_16_64 3
		.amdhsa_dx10_clamp 1
		.amdhsa_ieee_mode 1
		.amdhsa_fp16_overflow 0
		.amdhsa_workgroup_processor_mode 1
		.amdhsa_memory_ordered 1
		.amdhsa_forward_progress 0
		.amdhsa_shared_vgpr_count 0
		.amdhsa_exception_fp_ieee_invalid_op 0
		.amdhsa_exception_fp_denorm_src 0
		.amdhsa_exception_fp_ieee_div_zero 0
		.amdhsa_exception_fp_ieee_overflow 0
		.amdhsa_exception_fp_ieee_underflow 0
		.amdhsa_exception_fp_ieee_inexact 0
		.amdhsa_exception_int_div_zero 0
	.end_amdhsa_kernel
	.section	.text._ZN9rocsolver6v33100L16gesdd_flip_signsIddEEviPT0_lPT_ilS5_ili,"axG",@progbits,_ZN9rocsolver6v33100L16gesdd_flip_signsIddEEviPT0_lPT_ilS5_ili,comdat
.Lfunc_end117:
	.size	_ZN9rocsolver6v33100L16gesdd_flip_signsIddEEviPT0_lPT_ilS5_ili, .Lfunc_end117-_ZN9rocsolver6v33100L16gesdd_flip_signsIddEEviPT0_lPT_ilS5_ili
                                        ; -- End function
	.section	.AMDGPU.csdata,"",@progbits
; Kernel info:
; codeLenInByte = 552
; NumSgprs: 40
; NumVgprs: 11
; ScratchSize: 0
; MemoryBound: 0
; FloatMode: 240
; IeeeMode: 1
; LDSByteSize: 0 bytes/workgroup (compile time only)
; SGPRBlocks: 4
; VGPRBlocks: 1
; NumSGPRsForWavesPerEU: 40
; NumVGPRsForWavesPerEU: 11
; Occupancy: 16
; WaveLimiterHint : 0
; COMPUTE_PGM_RSRC2:SCRATCH_EN: 0
; COMPUTE_PGM_RSRC2:USER_SGPR: 14
; COMPUTE_PGM_RSRC2:TRAP_HANDLER: 0
; COMPUTE_PGM_RSRC2:TGID_X_EN: 1
; COMPUTE_PGM_RSRC2:TGID_Y_EN: 1
; COMPUTE_PGM_RSRC2:TGID_Z_EN: 0
; COMPUTE_PGM_RSRC2:TIDIG_COMP_CNT: 0
	.section	.text._ZN9rocsolver6v33100L16org2r_init_identIdPdEEviiiT0_iil,"axG",@progbits,_ZN9rocsolver6v33100L16org2r_init_identIdPdEEviiiT0_iil,comdat
	.globl	_ZN9rocsolver6v33100L16org2r_init_identIdPdEEviiiT0_iil ; -- Begin function _ZN9rocsolver6v33100L16org2r_init_identIdPdEEviiiT0_iil
	.p2align	8
	.type	_ZN9rocsolver6v33100L16org2r_init_identIdPdEEviiiT0_iil,@function
_ZN9rocsolver6v33100L16org2r_init_identIdPdEEviiiT0_iil: ; @_ZN9rocsolver6v33100L16org2r_init_identIdPdEEviiiT0_iil
; %bb.0:
	s_clause 0x1
	s_load_b32 s2, s[0:1], 0x34
	s_load_b128 s[4:7], s[0:1], 0x0
	v_and_b32_e32 v1, 0x3ff, v0
	v_bfe_u32 v0, v0, 10, 10
	s_waitcnt lgkmcnt(0)
	s_lshr_b32 s3, s2, 16
	s_and_b32 s2, s2, 0xffff
	s_delay_alu instid0(VALU_DEP_1) | instskip(SKIP_1) | instid1(VALU_DEP_2)
	v_mad_u64_u32 v[4:5], null, s14, s3, v[0:1]
	v_mad_u64_u32 v[6:7], null, s13, s2, v[1:2]
	v_cmp_gt_u32_e64 s2, s5, v4
	s_delay_alu instid0(VALU_DEP_2) | instskip(NEXT) | instid1(VALU_DEP_2)
	v_cmp_gt_u32_e32 vcc_lo, s4, v6
	s_and_b32 s2, vcc_lo, s2
	s_delay_alu instid0(SALU_CYCLE_1)
	s_and_saveexec_b32 s3, s2
	s_cbranch_execz .LBB118_5
; %bb.1:
	s_load_b64 s[2:3], s[0:1], 0x18
	s_mov_b32 s4, 0
                                        ; implicit-def: $vgpr2_vgpr3
                                        ; implicit-def: $vgpr0
	s_mov_b32 s5, exec_lo
	v_cmpx_ne_u32_e64 v6, v4
	s_xor_b32 s7, exec_lo, s5
	s_cbranch_execnz .LBB118_6
; %bb.2:
	s_and_not1_saveexec_b32 s5, s7
	s_cbranch_execnz .LBB118_13
.LBB118_3:
	s_or_b32 exec_lo, exec_lo, s5
	s_delay_alu instid0(SALU_CYCLE_1)
	s_and_b32 exec_lo, exec_lo, s4
	s_cbranch_execz .LBB118_5
.LBB118_4:
	s_clause 0x1
	s_load_b64 s[4:5], s[0:1], 0x20
	s_load_b64 s[0:1], s[0:1], 0x10
	v_mov_b32_e32 v1, 0
	s_delay_alu instid0(VALU_DEP_1)
	v_lshlrev_b64 v[0:1], 3, v[0:1]
	s_waitcnt lgkmcnt(0)
	s_mul_i32 s3, s15, s5
	s_mul_hi_u32 s5, s15, s4
	s_mul_i32 s4, s15, s4
	s_add_i32 s5, s5, s3
	s_ashr_i32 s3, s2, 31
	s_lshl_b64 s[4:5], s[4:5], 3
	s_delay_alu instid0(SALU_CYCLE_1) | instskip(SKIP_2) | instid1(SALU_CYCLE_1)
	s_add_u32 s4, s0, s4
	s_addc_u32 s5, s1, s5
	s_lshl_b64 s[0:1], s[2:3], 3
	s_add_u32 s0, s4, s0
	s_addc_u32 s1, s5, s1
	v_add_co_u32 v0, vcc_lo, s0, v0
	v_add_co_ci_u32_e32 v1, vcc_lo, s1, v1, vcc_lo
	global_store_b64 v[0:1], v[2:3], off
.LBB118_5:
	s_nop 0
	s_sendmsg sendmsg(MSG_DEALLOC_VGPRS)
	s_endpgm
.LBB118_6:
	s_mov_b32 s8, 0
	s_mov_b32 s9, exec_lo
                                        ; implicit-def: $sgpr4_sgpr5
                                        ; implicit-def: $vgpr0
	v_cmpx_le_u32_e64 v4, v6
	s_xor_b32 s9, exec_lo, s9
	s_cbranch_execz .LBB118_10
; %bb.7:
	v_cmp_le_u32_e32 vcc_lo, s6, v4
	s_mov_b32 s6, 0
                                        ; implicit-def: $sgpr4_sgpr5
                                        ; implicit-def: $vgpr0
	s_and_saveexec_b32 s8, vcc_lo
	s_delay_alu instid0(SALU_CYCLE_1)
	s_xor_b32 s8, exec_lo, s8
	s_cbranch_execz .LBB118_9
; %bb.8:
	s_waitcnt lgkmcnt(0)
	v_mad_u64_u32 v[0:1], null, v4, s3, v[6:7]
	s_mov_b32 s6, exec_lo
	s_mov_b64 s[4:5], 0
.LBB118_9:
	s_or_b32 exec_lo, exec_lo, s8
	s_delay_alu instid0(SALU_CYCLE_1)
	s_and_b32 s8, s6, exec_lo
                                        ; implicit-def: $vgpr6_vgpr7
                                        ; implicit-def: $vgpr4_vgpr5
.LBB118_10:
	s_or_saveexec_b32 s6, s9
	v_dual_mov_b32 v2, s4 :: v_dual_mov_b32 v3, s5
	s_xor_b32 exec_lo, exec_lo, s6
	s_cbranch_execz .LBB118_12
; %bb.11:
	v_mov_b32_e32 v2, 0
	s_waitcnt lgkmcnt(0)
	v_mad_u64_u32 v[0:1], null, v4, s3, v[6:7]
	v_mov_b32_e32 v3, 0
	s_or_b32 s8, s8, exec_lo
.LBB118_12:
	s_or_b32 exec_lo, exec_lo, s6
	s_delay_alu instid0(SALU_CYCLE_1)
	s_and_b32 s4, s8, exec_lo
                                        ; implicit-def: $vgpr4_vgpr5
	s_and_not1_saveexec_b32 s5, s7
	s_cbranch_execz .LBB118_3
.LBB118_13:
	s_waitcnt lgkmcnt(0)
	v_mad_u64_u32 v[0:1], null, v4, s3, v[4:5]
	v_mov_b32_e32 v2, 0
	v_mov_b32_e32 v3, 0x3ff00000
	s_or_b32 s4, s4, exec_lo
	s_or_b32 exec_lo, exec_lo, s5
	s_delay_alu instid0(SALU_CYCLE_1)
	s_and_b32 exec_lo, exec_lo, s4
	s_cbranch_execnz .LBB118_4
	s_branch .LBB118_5
	.section	.rodata,"a",@progbits
	.p2align	6, 0x0
	.amdhsa_kernel _ZN9rocsolver6v33100L16org2r_init_identIdPdEEviiiT0_iil
		.amdhsa_group_segment_fixed_size 0
		.amdhsa_private_segment_fixed_size 0
		.amdhsa_kernarg_size 296
		.amdhsa_user_sgpr_count 13
		.amdhsa_user_sgpr_dispatch_ptr 0
		.amdhsa_user_sgpr_queue_ptr 0
		.amdhsa_user_sgpr_kernarg_segment_ptr 1
		.amdhsa_user_sgpr_dispatch_id 0
		.amdhsa_user_sgpr_private_segment_size 0
		.amdhsa_wavefront_size32 1
		.amdhsa_uses_dynamic_stack 0
		.amdhsa_enable_private_segment 0
		.amdhsa_system_sgpr_workgroup_id_x 1
		.amdhsa_system_sgpr_workgroup_id_y 1
		.amdhsa_system_sgpr_workgroup_id_z 1
		.amdhsa_system_sgpr_workgroup_info 0
		.amdhsa_system_vgpr_workitem_id 1
		.amdhsa_next_free_vgpr 8
		.amdhsa_next_free_sgpr 16
		.amdhsa_reserve_vcc 1
		.amdhsa_float_round_mode_32 0
		.amdhsa_float_round_mode_16_64 0
		.amdhsa_float_denorm_mode_32 3
		.amdhsa_float_denorm_mode_16_64 3
		.amdhsa_dx10_clamp 1
		.amdhsa_ieee_mode 1
		.amdhsa_fp16_overflow 0
		.amdhsa_workgroup_processor_mode 1
		.amdhsa_memory_ordered 1
		.amdhsa_forward_progress 0
		.amdhsa_shared_vgpr_count 0
		.amdhsa_exception_fp_ieee_invalid_op 0
		.amdhsa_exception_fp_denorm_src 0
		.amdhsa_exception_fp_ieee_div_zero 0
		.amdhsa_exception_fp_ieee_overflow 0
		.amdhsa_exception_fp_ieee_underflow 0
		.amdhsa_exception_fp_ieee_inexact 0
		.amdhsa_exception_int_div_zero 0
	.end_amdhsa_kernel
	.section	.text._ZN9rocsolver6v33100L16org2r_init_identIdPdEEviiiT0_iil,"axG",@progbits,_ZN9rocsolver6v33100L16org2r_init_identIdPdEEviiiT0_iil,comdat
.Lfunc_end118:
	.size	_ZN9rocsolver6v33100L16org2r_init_identIdPdEEviiiT0_iil, .Lfunc_end118-_ZN9rocsolver6v33100L16org2r_init_identIdPdEEviiiT0_iil
                                        ; -- End function
	.section	.AMDGPU.csdata,"",@progbits
; Kernel info:
; codeLenInByte = 472
; NumSgprs: 18
; NumVgprs: 8
; ScratchSize: 0
; MemoryBound: 0
; FloatMode: 240
; IeeeMode: 1
; LDSByteSize: 0 bytes/workgroup (compile time only)
; SGPRBlocks: 2
; VGPRBlocks: 0
; NumSGPRsForWavesPerEU: 18
; NumVGPRsForWavesPerEU: 8
; Occupancy: 16
; WaveLimiterHint : 0
; COMPUTE_PGM_RSRC2:SCRATCH_EN: 0
; COMPUTE_PGM_RSRC2:USER_SGPR: 13
; COMPUTE_PGM_RSRC2:TRAP_HANDLER: 0
; COMPUTE_PGM_RSRC2:TGID_X_EN: 1
; COMPUTE_PGM_RSRC2:TGID_Y_EN: 1
; COMPUTE_PGM_RSRC2:TGID_Z_EN: 1
; COMPUTE_PGM_RSRC2:TIDIG_COMP_CNT: 1
	.section	.text._ZN9rocsolver6v33100L12subtract_tauIdPdEEviiT0_iilPT_l,"axG",@progbits,_ZN9rocsolver6v33100L12subtract_tauIdPdEEviiT0_iilPT_l,comdat
	.globl	_ZN9rocsolver6v33100L12subtract_tauIdPdEEviiT0_iilPT_l ; -- Begin function _ZN9rocsolver6v33100L12subtract_tauIdPdEEviiT0_iilPT_l
	.p2align	8
	.type	_ZN9rocsolver6v33100L12subtract_tauIdPdEEviiT0_iilPT_l,@function
_ZN9rocsolver6v33100L12subtract_tauIdPdEEviiT0_iilPT_l: ; @_ZN9rocsolver6v33100L12subtract_tauIdPdEEviiT0_iilPT_l
; %bb.0:
	s_clause 0x3
	s_load_b64 s[8:9], s[0:1], 0x10
	s_load_b128 s[4:7], s[0:1], 0x18
	s_load_b64 s[10:11], s[0:1], 0x28
	s_load_b128 s[0:3], s[0:1], 0x0
	s_waitcnt lgkmcnt(0)
	s_ashr_i32 s13, s8, 31
	s_mul_i32 s5, s15, s5
	s_mul_hi_u32 s12, s15, s4
	s_mul_i32 s4, s15, s4
	s_add_i32 s5, s12, s5
	s_mov_b32 s12, s8
	s_lshl_b64 s[4:5], s[4:5], 3
	s_mul_i32 s8, s15, s11
	s_add_u32 s4, s2, s4
	s_addc_u32 s5, s3, s5
	s_lshl_b64 s[2:3], s[12:13], 3
	s_mul_hi_u32 s11, s15, s10
	s_add_u32 s12, s4, s2
	s_addc_u32 s13, s5, s3
	s_add_i32 s3, s11, s8
	s_mul_i32 s2, s15, s10
	s_mul_i32 s1, s9, s1
	s_lshl_b64 s[2:3], s[2:3], 3
	s_delay_alu instid0(SALU_CYCLE_1) | instskip(SKIP_4) | instid1(SALU_CYCLE_1)
	s_add_u32 s2, s6, s2
	s_addc_u32 s3, s7, s3
	s_add_i32 s0, s1, s0
	s_load_b64 s[4:5], s[2:3], 0x0
	s_ashr_i32 s1, s0, 31
	s_lshl_b64 s[0:1], s[0:1], 3
	s_waitcnt lgkmcnt(0)
	v_add_f64 v[0:1], -s[4:5], 1.0
	s_xor_b32 s5, s5, 0x80000000
	s_delay_alu instid0(SALU_CYCLE_1)
	v_dual_mov_b32 v4, 0 :: v_dual_mov_b32 v3, s5
	v_mov_b32_e32 v2, s4
	s_add_u32 s0, s12, s0
	s_addc_u32 s1, s13, s1
	s_clause 0x1
	global_store_b64 v4, v[2:3], s[2:3]
	global_store_b64 v4, v[0:1], s[0:1]
	s_nop 0
	s_sendmsg sendmsg(MSG_DEALLOC_VGPRS)
	s_endpgm
	.section	.rodata,"a",@progbits
	.p2align	6, 0x0
	.amdhsa_kernel _ZN9rocsolver6v33100L12subtract_tauIdPdEEviiT0_iilPT_l
		.amdhsa_group_segment_fixed_size 0
		.amdhsa_private_segment_fixed_size 0
		.amdhsa_kernarg_size 48
		.amdhsa_user_sgpr_count 15
		.amdhsa_user_sgpr_dispatch_ptr 0
		.amdhsa_user_sgpr_queue_ptr 0
		.amdhsa_user_sgpr_kernarg_segment_ptr 1
		.amdhsa_user_sgpr_dispatch_id 0
		.amdhsa_user_sgpr_private_segment_size 0
		.amdhsa_wavefront_size32 1
		.amdhsa_uses_dynamic_stack 0
		.amdhsa_enable_private_segment 0
		.amdhsa_system_sgpr_workgroup_id_x 1
		.amdhsa_system_sgpr_workgroup_id_y 0
		.amdhsa_system_sgpr_workgroup_id_z 0
		.amdhsa_system_sgpr_workgroup_info 0
		.amdhsa_system_vgpr_workitem_id 0
		.amdhsa_next_free_vgpr 5
		.amdhsa_next_free_sgpr 16
		.amdhsa_reserve_vcc 0
		.amdhsa_float_round_mode_32 0
		.amdhsa_float_round_mode_16_64 0
		.amdhsa_float_denorm_mode_32 3
		.amdhsa_float_denorm_mode_16_64 3
		.amdhsa_dx10_clamp 1
		.amdhsa_ieee_mode 1
		.amdhsa_fp16_overflow 0
		.amdhsa_workgroup_processor_mode 1
		.amdhsa_memory_ordered 1
		.amdhsa_forward_progress 0
		.amdhsa_shared_vgpr_count 0
		.amdhsa_exception_fp_ieee_invalid_op 0
		.amdhsa_exception_fp_denorm_src 0
		.amdhsa_exception_fp_ieee_div_zero 0
		.amdhsa_exception_fp_ieee_overflow 0
		.amdhsa_exception_fp_ieee_underflow 0
		.amdhsa_exception_fp_ieee_inexact 0
		.amdhsa_exception_int_div_zero 0
	.end_amdhsa_kernel
	.section	.text._ZN9rocsolver6v33100L12subtract_tauIdPdEEviiT0_iilPT_l,"axG",@progbits,_ZN9rocsolver6v33100L12subtract_tauIdPdEEviiT0_iilPT_l,comdat
.Lfunc_end119:
	.size	_ZN9rocsolver6v33100L12subtract_tauIdPdEEviiT0_iilPT_l, .Lfunc_end119-_ZN9rocsolver6v33100L12subtract_tauIdPdEEviiT0_iilPT_l
                                        ; -- End function
	.section	.AMDGPU.csdata,"",@progbits
; Kernel info:
; codeLenInByte = 220
; NumSgprs: 16
; NumVgprs: 5
; ScratchSize: 0
; MemoryBound: 0
; FloatMode: 240
; IeeeMode: 1
; LDSByteSize: 0 bytes/workgroup (compile time only)
; SGPRBlocks: 1
; VGPRBlocks: 0
; NumSGPRsForWavesPerEU: 16
; NumVGPRsForWavesPerEU: 5
; Occupancy: 16
; WaveLimiterHint : 0
; COMPUTE_PGM_RSRC2:SCRATCH_EN: 0
; COMPUTE_PGM_RSRC2:USER_SGPR: 15
; COMPUTE_PGM_RSRC2:TRAP_HANDLER: 0
; COMPUTE_PGM_RSRC2:TGID_X_EN: 1
; COMPUTE_PGM_RSRC2:TGID_Y_EN: 0
; COMPUTE_PGM_RSRC2:TGID_Z_EN: 0
; COMPUTE_PGM_RSRC2:TIDIG_COMP_CNT: 0
	.section	.text._ZN9rocsolver6v33100L6restauIdEEviPT_l,"axG",@progbits,_ZN9rocsolver6v33100L6restauIdEEviPT_l,comdat
	.globl	_ZN9rocsolver6v33100L6restauIdEEviPT_l ; -- Begin function _ZN9rocsolver6v33100L6restauIdEEviPT_l
	.p2align	8
	.type	_ZN9rocsolver6v33100L6restauIdEEviPT_l,@function
_ZN9rocsolver6v33100L6restauIdEEviPT_l: ; @_ZN9rocsolver6v33100L6restauIdEEviPT_l
; %bb.0:
	s_clause 0x1
	s_load_b32 s2, s[0:1], 0x24
	s_load_b32 s3, s[0:1], 0x0
	s_waitcnt lgkmcnt(0)
	s_and_b32 s2, s2, 0xffff
	s_delay_alu instid0(SALU_CYCLE_1) | instskip(SKIP_1) | instid1(VALU_DEP_1)
	v_mad_u64_u32 v[1:2], null, s14, s2, v[0:1]
	s_mov_b32 s2, exec_lo
	v_cmpx_gt_u32_e64 s3, v1
	s_cbranch_execz .LBB120_2
; %bb.1:
	s_load_b128 s[0:3], s[0:1], 0x8
	v_mov_b32_e32 v2, 0
	s_delay_alu instid0(VALU_DEP_1)
	v_lshlrev_b64 v[0:1], 3, v[1:2]
	s_waitcnt lgkmcnt(0)
	s_mul_i32 s3, s15, s3
	s_mul_hi_u32 s4, s15, s2
	s_mul_i32 s2, s15, s2
	s_add_i32 s3, s4, s3
	s_delay_alu instid0(SALU_CYCLE_1) | instskip(NEXT) | instid1(SALU_CYCLE_1)
	s_lshl_b64 s[2:3], s[2:3], 3
	s_add_u32 s0, s0, s2
	s_addc_u32 s1, s1, s3
	v_add_co_u32 v0, vcc_lo, s0, v0
	v_add_co_ci_u32_e32 v1, vcc_lo, s1, v1, vcc_lo
	global_load_b64 v[2:3], v[0:1], off
	s_waitcnt vmcnt(0)
	v_xor_b32_e32 v3, 0x80000000, v3
	global_store_b64 v[0:1], v[2:3], off
.LBB120_2:
	s_nop 0
	s_sendmsg sendmsg(MSG_DEALLOC_VGPRS)
	s_endpgm
	.section	.rodata,"a",@progbits
	.p2align	6, 0x0
	.amdhsa_kernel _ZN9rocsolver6v33100L6restauIdEEviPT_l
		.amdhsa_group_segment_fixed_size 0
		.amdhsa_private_segment_fixed_size 0
		.amdhsa_kernarg_size 280
		.amdhsa_user_sgpr_count 14
		.amdhsa_user_sgpr_dispatch_ptr 0
		.amdhsa_user_sgpr_queue_ptr 0
		.amdhsa_user_sgpr_kernarg_segment_ptr 1
		.amdhsa_user_sgpr_dispatch_id 0
		.amdhsa_user_sgpr_private_segment_size 0
		.amdhsa_wavefront_size32 1
		.amdhsa_uses_dynamic_stack 0
		.amdhsa_enable_private_segment 0
		.amdhsa_system_sgpr_workgroup_id_x 1
		.amdhsa_system_sgpr_workgroup_id_y 1
		.amdhsa_system_sgpr_workgroup_id_z 0
		.amdhsa_system_sgpr_workgroup_info 0
		.amdhsa_system_vgpr_workitem_id 0
		.amdhsa_next_free_vgpr 4
		.amdhsa_next_free_sgpr 16
		.amdhsa_reserve_vcc 1
		.amdhsa_float_round_mode_32 0
		.amdhsa_float_round_mode_16_64 0
		.amdhsa_float_denorm_mode_32 3
		.amdhsa_float_denorm_mode_16_64 3
		.amdhsa_dx10_clamp 1
		.amdhsa_ieee_mode 1
		.amdhsa_fp16_overflow 0
		.amdhsa_workgroup_processor_mode 1
		.amdhsa_memory_ordered 1
		.amdhsa_forward_progress 0
		.amdhsa_shared_vgpr_count 0
		.amdhsa_exception_fp_ieee_invalid_op 0
		.amdhsa_exception_fp_denorm_src 0
		.amdhsa_exception_fp_ieee_div_zero 0
		.amdhsa_exception_fp_ieee_overflow 0
		.amdhsa_exception_fp_ieee_underflow 0
		.amdhsa_exception_fp_ieee_inexact 0
		.amdhsa_exception_int_div_zero 0
	.end_amdhsa_kernel
	.section	.text._ZN9rocsolver6v33100L6restauIdEEviPT_l,"axG",@progbits,_ZN9rocsolver6v33100L6restauIdEEviPT_l,comdat
.Lfunc_end120:
	.size	_ZN9rocsolver6v33100L6restauIdEEviPT_l, .Lfunc_end120-_ZN9rocsolver6v33100L6restauIdEEviPT_l
                                        ; -- End function
	.section	.AMDGPU.csdata,"",@progbits
; Kernel info:
; codeLenInByte = 172
; NumSgprs: 18
; NumVgprs: 4
; ScratchSize: 0
; MemoryBound: 0
; FloatMode: 240
; IeeeMode: 1
; LDSByteSize: 0 bytes/workgroup (compile time only)
; SGPRBlocks: 2
; VGPRBlocks: 0
; NumSGPRsForWavesPerEU: 18
; NumVGPRsForWavesPerEU: 4
; Occupancy: 16
; WaveLimiterHint : 0
; COMPUTE_PGM_RSRC2:SCRATCH_EN: 0
; COMPUTE_PGM_RSRC2:USER_SGPR: 14
; COMPUTE_PGM_RSRC2:TRAP_HANDLER: 0
; COMPUTE_PGM_RSRC2:TGID_X_EN: 1
; COMPUTE_PGM_RSRC2:TGID_Y_EN: 1
; COMPUTE_PGM_RSRC2:TGID_Z_EN: 0
; COMPUTE_PGM_RSRC2:TIDIG_COMP_CNT: 0
	.section	.text._ZN9rocsolver6v33100L8set_zeroIdPdEEviiT0_iil13rocblas_fill_,"axG",@progbits,_ZN9rocsolver6v33100L8set_zeroIdPdEEviiT0_iil13rocblas_fill_,comdat
	.globl	_ZN9rocsolver6v33100L8set_zeroIdPdEEviiT0_iil13rocblas_fill_ ; -- Begin function _ZN9rocsolver6v33100L8set_zeroIdPdEEviiT0_iil13rocblas_fill_
	.p2align	8
	.type	_ZN9rocsolver6v33100L8set_zeroIdPdEEviiT0_iil13rocblas_fill_,@function
_ZN9rocsolver6v33100L8set_zeroIdPdEEviiT0_iil13rocblas_fill_: ; @_ZN9rocsolver6v33100L8set_zeroIdPdEEviiT0_iil13rocblas_fill_
; %bb.0:
	s_clause 0x1
	s_load_b32 s4, s[0:1], 0x34
	s_load_b64 s[2:3], s[0:1], 0x0
	v_and_b32_e32 v2, 0x3ff, v0
	v_bfe_u32 v3, v0, 10, 10
	s_waitcnt lgkmcnt(0)
	s_lshr_b32 s5, s4, 16
	s_and_b32 s4, s4, 0xffff
	s_delay_alu instid0(VALU_DEP_1) | instid1(SALU_CYCLE_1)
	v_mad_u64_u32 v[0:1], null, s13, s4, v[2:3]
	v_mad_u64_u32 v[1:2], null, s14, s5, v[3:4]
	s_delay_alu instid0(VALU_DEP_2) | instskip(NEXT) | instid1(VALU_DEP_2)
	v_cmp_gt_u32_e32 vcc_lo, s2, v0
	v_cmp_gt_u32_e64 s2, s3, v1
	s_delay_alu instid0(VALU_DEP_1) | instskip(NEXT) | instid1(SALU_CYCLE_1)
	s_and_b32 s2, vcc_lo, s2
	s_and_saveexec_b32 s3, s2
	s_cbranch_execz .LBB121_12
; %bb.1:
	s_load_b32 s3, s[0:1], 0x20
	s_waitcnt lgkmcnt(0)
	s_cmpk_lt_i32 s3, 0x7a
	s_cbranch_scc1 .LBB121_4
; %bb.2:
	s_cmpk_gt_i32 s3, 0x7a
	s_cbranch_scc0 .LBB121_5
; %bb.3:
	s_cmpk_eq_i32 s3, 0x7b
	s_cselect_b32 s2, -1, 0
	s_cbranch_execz .LBB121_6
	s_branch .LBB121_7
.LBB121_4:
	s_mov_b32 s2, 0
	s_cbranch_execnz .LBB121_8
	s_branch .LBB121_10
.LBB121_5:
	s_mov_b32 s2, 0
.LBB121_6:
	v_cmp_gt_u32_e32 vcc_lo, v1, v0
	s_and_not1_b32 s2, s2, exec_lo
	s_and_b32 s4, vcc_lo, exec_lo
	s_delay_alu instid0(SALU_CYCLE_1)
	s_or_b32 s2, s2, s4
.LBB121_7:
	s_branch .LBB121_10
.LBB121_8:
	s_cmpk_eq_i32 s3, 0x79
	s_cbranch_scc0 .LBB121_10
; %bb.9:
	v_cmp_gt_u32_e32 vcc_lo, v0, v1
	s_and_not1_b32 s2, s2, exec_lo
	s_and_b32 s3, vcc_lo, exec_lo
	s_delay_alu instid0(SALU_CYCLE_1)
	s_or_b32 s2, s2, s3
.LBB121_10:
	s_delay_alu instid0(SALU_CYCLE_1)
	s_and_b32 exec_lo, exec_lo, s2
	s_cbranch_execz .LBB121_12
; %bb.11:
	s_clause 0x1
	s_load_b128 s[4:7], s[0:1], 0x8
	s_load_b64 s[0:1], s[0:1], 0x18
	s_waitcnt lgkmcnt(0)
	v_mad_u64_u32 v[2:3], null, v1, s7, v[0:1]
	s_mul_i32 s1, s15, s1
	s_mul_hi_u32 s2, s15, s0
	v_mov_b32_e32 v3, 0
	s_mul_i32 s0, s15, s0
	s_add_i32 s1, s2, s1
	s_ashr_i32 s3, s6, 31
	s_lshl_b64 s[0:1], s[0:1], 3
	s_mov_b32 s2, s6
	v_lshlrev_b64 v[0:1], 3, v[2:3]
	s_add_u32 s4, s4, s0
	s_addc_u32 s5, s5, s1
	s_lshl_b64 s[0:1], s[2:3], 3
	v_mov_b32_e32 v2, v3
	s_add_u32 s0, s4, s0
	s_addc_u32 s1, s5, s1
	v_add_co_u32 v0, vcc_lo, s0, v0
	v_add_co_ci_u32_e32 v1, vcc_lo, s1, v1, vcc_lo
	global_store_b64 v[0:1], v[2:3], off
.LBB121_12:
	s_nop 0
	s_sendmsg sendmsg(MSG_DEALLOC_VGPRS)
	s_endpgm
	.section	.rodata,"a",@progbits
	.p2align	6, 0x0
	.amdhsa_kernel _ZN9rocsolver6v33100L8set_zeroIdPdEEviiT0_iil13rocblas_fill_
		.amdhsa_group_segment_fixed_size 0
		.amdhsa_private_segment_fixed_size 0
		.amdhsa_kernarg_size 296
		.amdhsa_user_sgpr_count 13
		.amdhsa_user_sgpr_dispatch_ptr 0
		.amdhsa_user_sgpr_queue_ptr 0
		.amdhsa_user_sgpr_kernarg_segment_ptr 1
		.amdhsa_user_sgpr_dispatch_id 0
		.amdhsa_user_sgpr_private_segment_size 0
		.amdhsa_wavefront_size32 1
		.amdhsa_uses_dynamic_stack 0
		.amdhsa_enable_private_segment 0
		.amdhsa_system_sgpr_workgroup_id_x 1
		.amdhsa_system_sgpr_workgroup_id_y 1
		.amdhsa_system_sgpr_workgroup_id_z 1
		.amdhsa_system_sgpr_workgroup_info 0
		.amdhsa_system_vgpr_workitem_id 1
		.amdhsa_next_free_vgpr 5
		.amdhsa_next_free_sgpr 16
		.amdhsa_reserve_vcc 1
		.amdhsa_float_round_mode_32 0
		.amdhsa_float_round_mode_16_64 0
		.amdhsa_float_denorm_mode_32 3
		.amdhsa_float_denorm_mode_16_64 3
		.amdhsa_dx10_clamp 1
		.amdhsa_ieee_mode 1
		.amdhsa_fp16_overflow 0
		.amdhsa_workgroup_processor_mode 1
		.amdhsa_memory_ordered 1
		.amdhsa_forward_progress 0
		.amdhsa_shared_vgpr_count 0
		.amdhsa_exception_fp_ieee_invalid_op 0
		.amdhsa_exception_fp_denorm_src 0
		.amdhsa_exception_fp_ieee_div_zero 0
		.amdhsa_exception_fp_ieee_overflow 0
		.amdhsa_exception_fp_ieee_underflow 0
		.amdhsa_exception_fp_ieee_inexact 0
		.amdhsa_exception_int_div_zero 0
	.end_amdhsa_kernel
	.section	.text._ZN9rocsolver6v33100L8set_zeroIdPdEEviiT0_iil13rocblas_fill_,"axG",@progbits,_ZN9rocsolver6v33100L8set_zeroIdPdEEviiT0_iil13rocblas_fill_,comdat
.Lfunc_end121:
	.size	_ZN9rocsolver6v33100L8set_zeroIdPdEEviiT0_iil13rocblas_fill_, .Lfunc_end121-_ZN9rocsolver6v33100L8set_zeroIdPdEEviiT0_iil13rocblas_fill_
                                        ; -- End function
	.section	.AMDGPU.csdata,"",@progbits
; Kernel info:
; codeLenInByte = 356
; NumSgprs: 18
; NumVgprs: 5
; ScratchSize: 0
; MemoryBound: 0
; FloatMode: 240
; IeeeMode: 1
; LDSByteSize: 0 bytes/workgroup (compile time only)
; SGPRBlocks: 2
; VGPRBlocks: 0
; NumSGPRsForWavesPerEU: 18
; NumVGPRsForWavesPerEU: 5
; Occupancy: 16
; WaveLimiterHint : 0
; COMPUTE_PGM_RSRC2:SCRATCH_EN: 0
; COMPUTE_PGM_RSRC2:USER_SGPR: 13
; COMPUTE_PGM_RSRC2:TRAP_HANDLER: 0
; COMPUTE_PGM_RSRC2:TGID_X_EN: 1
; COMPUTE_PGM_RSRC2:TGID_Y_EN: 1
; COMPUTE_PGM_RSRC2:TGID_Z_EN: 1
; COMPUTE_PGM_RSRC2:TIDIG_COMP_CNT: 1
	.section	.text._ZN9rocsolver6v33100L14copy_trans_matIddPdS2_NS0_7no_maskEEEv18rocblas_operation_iiT1_iilT2_iilT3_13rocblas_fill_17rocblas_diagonal_,"axG",@progbits,_ZN9rocsolver6v33100L14copy_trans_matIddPdS2_NS0_7no_maskEEEv18rocblas_operation_iiT1_iilT2_iilT3_13rocblas_fill_17rocblas_diagonal_,comdat
	.globl	_ZN9rocsolver6v33100L14copy_trans_matIddPdS2_NS0_7no_maskEEEv18rocblas_operation_iiT1_iilT2_iilT3_13rocblas_fill_17rocblas_diagonal_ ; -- Begin function _ZN9rocsolver6v33100L14copy_trans_matIddPdS2_NS0_7no_maskEEEv18rocblas_operation_iiT1_iilT2_iilT3_13rocblas_fill_17rocblas_diagonal_
	.p2align	8
	.type	_ZN9rocsolver6v33100L14copy_trans_matIddPdS2_NS0_7no_maskEEEv18rocblas_operation_iiT1_iilT2_iilT3_13rocblas_fill_17rocblas_diagonal_,@function
_ZN9rocsolver6v33100L14copy_trans_matIddPdS2_NS0_7no_maskEEEv18rocblas_operation_iiT1_iilT2_iilT3_13rocblas_fill_17rocblas_diagonal_: ; @_ZN9rocsolver6v33100L14copy_trans_matIddPdS2_NS0_7no_maskEEEv18rocblas_operation_iiT1_iilT2_iilT3_13rocblas_fill_17rocblas_diagonal_
; %bb.0:
	s_clause 0x1
	s_load_b32 s2, s[0:1], 0x5c
	s_load_b128 s[16:19], s[0:1], 0x0
	v_and_b32_e32 v2, 0x3ff, v0
	v_bfe_u32 v3, v0, 10, 10
	s_waitcnt lgkmcnt(0)
	s_lshr_b32 s3, s2, 16
	s_and_b32 s2, s2, 0xffff
	s_delay_alu instid0(VALU_DEP_1) | instid1(SALU_CYCLE_1)
	v_mad_u64_u32 v[0:1], null, s13, s2, v[2:3]
	v_mad_u64_u32 v[1:2], null, s14, s3, v[3:4]
	s_delay_alu instid0(VALU_DEP_2) | instskip(NEXT) | instid1(VALU_DEP_2)
	v_cmp_gt_u32_e32 vcc_lo, s17, v0
	v_cmp_gt_u32_e64 s2, s18, v1
	s_delay_alu instid0(VALU_DEP_1) | instskip(NEXT) | instid1(SALU_CYCLE_1)
	s_and_b32 s2, s2, vcc_lo
	s_and_saveexec_b32 s3, s2
	s_cbranch_execz .LBB122_24
; %bb.1:
	s_load_b64 s[4:5], s[0:1], 0x44
	s_waitcnt lgkmcnt(0)
	s_cmpk_lt_i32 s4, 0x7a
	s_cbranch_scc1 .LBB122_4
; %bb.2:
	s_cmpk_gt_i32 s4, 0x7a
	s_cbranch_scc0 .LBB122_5
; %bb.3:
	s_cmpk_lg_i32 s4, 0x7b
	s_mov_b32 s3, -1
	s_cselect_b32 s6, -1, 0
	s_cbranch_execz .LBB122_6
	s_branch .LBB122_7
.LBB122_4:
	s_mov_b32 s6, 0
	s_mov_b32 s3, 0
	s_cbranch_execnz .LBB122_8
	s_branch .LBB122_10
.LBB122_5:
	s_mov_b32 s3, 0
	s_mov_b32 s6, 0
.LBB122_6:
	v_cmp_gt_u32_e32 vcc_lo, v0, v1
	v_cmp_le_u32_e64 s2, v0, v1
	s_and_not1_b32 s3, s3, exec_lo
	s_and_not1_b32 s6, s6, exec_lo
	s_and_b32 s7, vcc_lo, exec_lo
	s_delay_alu instid0(VALU_DEP_1)
	s_and_b32 s2, s2, exec_lo
	s_or_b32 s3, s3, s7
	s_or_b32 s6, s6, s2
.LBB122_7:
	s_branch .LBB122_10
.LBB122_8:
	s_cmpk_eq_i32 s4, 0x79
	s_mov_b32 s6, -1
	s_cbranch_scc0 .LBB122_10
; %bb.9:
	v_cmp_gt_u32_e32 vcc_lo, v1, v0
	v_cmp_le_u32_e64 s2, v1, v0
	s_and_not1_b32 s3, s3, exec_lo
	s_and_b32 s4, vcc_lo, exec_lo
	s_delay_alu instid0(VALU_DEP_1)
	s_or_not1_b32 s6, s2, exec_lo
	s_or_b32 s3, s3, s4
.LBB122_10:
	s_and_saveexec_b32 s2, s6
; %bb.11:
	v_cmp_eq_u32_e32 vcc_lo, v0, v1
	s_cmpk_eq_i32 s5, 0x83
	s_cselect_b32 s4, -1, 0
	s_and_not1_b32 s3, s3, exec_lo
	s_and_b32 s4, s4, vcc_lo
	s_delay_alu instid0(SALU_CYCLE_1) | instskip(NEXT) | instid1(SALU_CYCLE_1)
	s_and_b32 s4, s4, exec_lo
	s_or_b32 s3, s3, s4
; %bb.12:
	s_or_b32 exec_lo, exec_lo, s2
	s_delay_alu instid0(SALU_CYCLE_1)
	s_and_b32 exec_lo, exec_lo, s3
	s_cbranch_execz .LBB122_24
; %bb.13:
	s_load_b256 s[4:11], s[0:1], 0x10
	s_waitcnt lgkmcnt(0)
	v_mad_u64_u32 v[2:3], null, v1, s7, v[0:1]
	s_mul_i32 s2, s15, s9
	s_mul_hi_u32 s9, s15, s8
	v_mov_b32_e32 v3, 0
	s_mul_i32 s8, s15, s8
	s_add_i32 s9, s9, s2
	s_ashr_i32 s3, s6, 31
	s_lshl_b64 s[8:9], s[8:9], 3
	s_mov_b32 s2, s6
	v_lshlrev_b64 v[2:3], 3, v[2:3]
	s_add_u32 s4, s4, s8
	s_addc_u32 s5, s5, s9
	s_lshl_b64 s[2:3], s[2:3], 3
	s_delay_alu instid0(SALU_CYCLE_1)
	s_add_u32 s2, s4, s2
	s_addc_u32 s3, s5, s3
	v_add_co_u32 v2, vcc_lo, s2, v2
	v_add_co_ci_u32_e32 v3, vcc_lo, s3, v3, vcc_lo
	s_load_b64 s[2:3], s[0:1], 0x30
	s_cmpk_lt_i32 s16, 0x71
	s_mov_b32 s4, 0
	global_load_b64 v[2:3], v[2:3], off
	s_cbranch_scc1 .LBB122_16
; %bb.14:
	s_cmpk_eq_i32 s16, 0x71
	s_cbranch_scc0 .LBB122_17
; %bb.15:
	s_waitcnt vmcnt(0) lgkmcnt(0)
	v_mad_u64_u32 v[4:5], null, v0, s3, v[1:2]
	s_mov_b32 s5, 0
	s_branch .LBB122_18
.LBB122_16:
	s_mov_b32 s5, 0
                                        ; implicit-def: $vgpr4
	s_cbranch_execnz .LBB122_19
	s_branch .LBB122_20
.LBB122_17:
	s_mov_b32 s5, -1
                                        ; implicit-def: $vgpr4
.LBB122_18:
	s_branch .LBB122_20
.LBB122_19:
	s_cmpk_lg_i32 s16, 0x70
	s_mov_b32 s4, -1
	s_cselect_b32 s5, -1, 0
                                        ; implicit-def: $vgpr4
.LBB122_20:
	s_delay_alu instid0(SALU_CYCLE_1)
	s_and_not1_b32 vcc_lo, exec_lo, s5
	s_cbranch_vccz .LBB122_25
; %bb.21:
	s_and_not1_b32 vcc_lo, exec_lo, s4
	s_cbranch_vccnz .LBB122_23
.LBB122_22:
	s_waitcnt vmcnt(0) lgkmcnt(0)
	v_mad_u64_u32 v[4:5], null, v0, s3, v[1:2]
.LBB122_23:
	s_load_b64 s[0:1], s[0:1], 0x38
	v_mov_b32_e32 v5, 0
	s_delay_alu instid0(VALU_DEP_1)
	v_lshlrev_b64 v[0:1], 3, v[4:5]
	s_waitcnt lgkmcnt(0)
	s_mul_i32 s1, s15, s1
	s_mul_hi_u32 s3, s15, s0
	s_mul_i32 s0, s15, s0
	s_add_i32 s1, s3, s1
	s_ashr_i32 s3, s2, 31
	s_lshl_b64 s[0:1], s[0:1], 3
	s_delay_alu instid0(SALU_CYCLE_1) | instskip(SKIP_2) | instid1(SALU_CYCLE_1)
	s_add_u32 s4, s10, s0
	s_addc_u32 s5, s11, s1
	s_lshl_b64 s[0:1], s[2:3], 3
	s_add_u32 s0, s4, s0
	s_addc_u32 s1, s5, s1
	v_add_co_u32 v0, vcc_lo, s0, v0
	v_add_co_ci_u32_e32 v1, vcc_lo, s1, v1, vcc_lo
	s_waitcnt vmcnt(0)
	global_store_b64 v[0:1], v[2:3], off
.LBB122_24:
	s_nop 0
	s_sendmsg sendmsg(MSG_DEALLOC_VGPRS)
	s_endpgm
.LBB122_25:
	s_waitcnt lgkmcnt(0)
	v_mad_u64_u32 v[4:5], null, v1, s3, v[0:1]
	s_cbranch_execz .LBB122_22
	s_branch .LBB122_23
	.section	.rodata,"a",@progbits
	.p2align	6, 0x0
	.amdhsa_kernel _ZN9rocsolver6v33100L14copy_trans_matIddPdS2_NS0_7no_maskEEEv18rocblas_operation_iiT1_iilT2_iilT3_13rocblas_fill_17rocblas_diagonal_
		.amdhsa_group_segment_fixed_size 0
		.amdhsa_private_segment_fixed_size 0
		.amdhsa_kernarg_size 336
		.amdhsa_user_sgpr_count 13
		.amdhsa_user_sgpr_dispatch_ptr 0
		.amdhsa_user_sgpr_queue_ptr 0
		.amdhsa_user_sgpr_kernarg_segment_ptr 1
		.amdhsa_user_sgpr_dispatch_id 0
		.amdhsa_user_sgpr_private_segment_size 0
		.amdhsa_wavefront_size32 1
		.amdhsa_uses_dynamic_stack 0
		.amdhsa_enable_private_segment 0
		.amdhsa_system_sgpr_workgroup_id_x 1
		.amdhsa_system_sgpr_workgroup_id_y 1
		.amdhsa_system_sgpr_workgroup_id_z 1
		.amdhsa_system_sgpr_workgroup_info 0
		.amdhsa_system_vgpr_workitem_id 1
		.amdhsa_next_free_vgpr 6
		.amdhsa_next_free_sgpr 20
		.amdhsa_reserve_vcc 1
		.amdhsa_float_round_mode_32 0
		.amdhsa_float_round_mode_16_64 0
		.amdhsa_float_denorm_mode_32 3
		.amdhsa_float_denorm_mode_16_64 3
		.amdhsa_dx10_clamp 1
		.amdhsa_ieee_mode 1
		.amdhsa_fp16_overflow 0
		.amdhsa_workgroup_processor_mode 1
		.amdhsa_memory_ordered 1
		.amdhsa_forward_progress 0
		.amdhsa_shared_vgpr_count 0
		.amdhsa_exception_fp_ieee_invalid_op 0
		.amdhsa_exception_fp_denorm_src 0
		.amdhsa_exception_fp_ieee_div_zero 0
		.amdhsa_exception_fp_ieee_overflow 0
		.amdhsa_exception_fp_ieee_underflow 0
		.amdhsa_exception_fp_ieee_inexact 0
		.amdhsa_exception_int_div_zero 0
	.end_amdhsa_kernel
	.section	.text._ZN9rocsolver6v33100L14copy_trans_matIddPdS2_NS0_7no_maskEEEv18rocblas_operation_iiT1_iilT2_iilT3_13rocblas_fill_17rocblas_diagonal_,"axG",@progbits,_ZN9rocsolver6v33100L14copy_trans_matIddPdS2_NS0_7no_maskEEEv18rocblas_operation_iiT1_iilT2_iilT3_13rocblas_fill_17rocblas_diagonal_,comdat
.Lfunc_end122:
	.size	_ZN9rocsolver6v33100L14copy_trans_matIddPdS2_NS0_7no_maskEEEv18rocblas_operation_iiT1_iilT2_iilT3_13rocblas_fill_17rocblas_diagonal_, .Lfunc_end122-_ZN9rocsolver6v33100L14copy_trans_matIddPdS2_NS0_7no_maskEEEv18rocblas_operation_iiT1_iilT2_iilT3_13rocblas_fill_17rocblas_diagonal_
                                        ; -- End function
	.section	.AMDGPU.csdata,"",@progbits
; Kernel info:
; codeLenInByte = 664
; NumSgprs: 22
; NumVgprs: 6
; ScratchSize: 0
; MemoryBound: 0
; FloatMode: 240
; IeeeMode: 1
; LDSByteSize: 0 bytes/workgroup (compile time only)
; SGPRBlocks: 2
; VGPRBlocks: 0
; NumSGPRsForWavesPerEU: 22
; NumVGPRsForWavesPerEU: 6
; Occupancy: 16
; WaveLimiterHint : 0
; COMPUTE_PGM_RSRC2:SCRATCH_EN: 0
; COMPUTE_PGM_RSRC2:USER_SGPR: 13
; COMPUTE_PGM_RSRC2:TRAP_HANDLER: 0
; COMPUTE_PGM_RSRC2:TGID_X_EN: 1
; COMPUTE_PGM_RSRC2:TGID_Y_EN: 1
; COMPUTE_PGM_RSRC2:TGID_Z_EN: 1
; COMPUTE_PGM_RSRC2:TIDIG_COMP_CNT: 1
	.section	.text._ZN9rocsolver6v33100L16orgl2_init_identIdPdEEviiiT0_iil,"axG",@progbits,_ZN9rocsolver6v33100L16orgl2_init_identIdPdEEviiiT0_iil,comdat
	.globl	_ZN9rocsolver6v33100L16orgl2_init_identIdPdEEviiiT0_iil ; -- Begin function _ZN9rocsolver6v33100L16orgl2_init_identIdPdEEviiiT0_iil
	.p2align	8
	.type	_ZN9rocsolver6v33100L16orgl2_init_identIdPdEEviiiT0_iil,@function
_ZN9rocsolver6v33100L16orgl2_init_identIdPdEEviiiT0_iil: ; @_ZN9rocsolver6v33100L16orgl2_init_identIdPdEEviiiT0_iil
; %bb.0:
	s_clause 0x1
	s_load_b32 s2, s[0:1], 0x34
	s_load_b128 s[4:7], s[0:1], 0x0
	v_and_b32_e32 v1, 0x3ff, v0
	v_bfe_u32 v0, v0, 10, 10
	s_waitcnt lgkmcnt(0)
	s_lshr_b32 s3, s2, 16
	s_and_b32 s2, s2, 0xffff
	s_delay_alu instid0(VALU_DEP_1) | instskip(SKIP_1) | instid1(VALU_DEP_2)
	v_mad_u64_u32 v[4:5], null, s14, s3, v[0:1]
	v_mad_u64_u32 v[6:7], null, s13, s2, v[1:2]
	v_cmp_gt_u32_e64 s2, s5, v4
	s_delay_alu instid0(VALU_DEP_2) | instskip(NEXT) | instid1(VALU_DEP_2)
	v_cmp_gt_u32_e32 vcc_lo, s4, v6
	s_and_b32 s2, vcc_lo, s2
	s_delay_alu instid0(SALU_CYCLE_1)
	s_and_saveexec_b32 s3, s2
	s_cbranch_execz .LBB123_5
; %bb.1:
	s_load_b64 s[2:3], s[0:1], 0x18
	s_mov_b32 s4, 0
                                        ; implicit-def: $vgpr2_vgpr3
                                        ; implicit-def: $vgpr0
	s_mov_b32 s5, exec_lo
	v_cmpx_ne_u32_e64 v6, v4
	s_xor_b32 s7, exec_lo, s5
	s_cbranch_execnz .LBB123_6
; %bb.2:
	s_and_not1_saveexec_b32 s5, s7
	s_cbranch_execnz .LBB123_13
.LBB123_3:
	s_or_b32 exec_lo, exec_lo, s5
	s_delay_alu instid0(SALU_CYCLE_1)
	s_and_b32 exec_lo, exec_lo, s4
	s_cbranch_execz .LBB123_5
.LBB123_4:
	s_clause 0x1
	s_load_b64 s[4:5], s[0:1], 0x20
	s_load_b64 s[0:1], s[0:1], 0x10
	v_mov_b32_e32 v1, 0
	s_delay_alu instid0(VALU_DEP_1)
	v_lshlrev_b64 v[0:1], 3, v[0:1]
	s_waitcnt lgkmcnt(0)
	s_mul_i32 s3, s15, s5
	s_mul_hi_u32 s5, s15, s4
	s_mul_i32 s4, s15, s4
	s_add_i32 s5, s5, s3
	s_ashr_i32 s3, s2, 31
	s_lshl_b64 s[4:5], s[4:5], 3
	s_delay_alu instid0(SALU_CYCLE_1) | instskip(SKIP_2) | instid1(SALU_CYCLE_1)
	s_add_u32 s4, s0, s4
	s_addc_u32 s5, s1, s5
	s_lshl_b64 s[0:1], s[2:3], 3
	s_add_u32 s0, s4, s0
	s_addc_u32 s1, s5, s1
	v_add_co_u32 v0, vcc_lo, s0, v0
	v_add_co_ci_u32_e32 v1, vcc_lo, s1, v1, vcc_lo
	global_store_b64 v[0:1], v[2:3], off
.LBB123_5:
	s_nop 0
	s_sendmsg sendmsg(MSG_DEALLOC_VGPRS)
	s_endpgm
.LBB123_6:
	s_mov_b32 s8, 0
	s_mov_b32 s9, exec_lo
                                        ; implicit-def: $sgpr4_sgpr5
                                        ; implicit-def: $vgpr0
	v_cmpx_ge_u32_e64 v4, v6
	s_xor_b32 s9, exec_lo, s9
	s_cbranch_execz .LBB123_10
; %bb.7:
	v_cmp_le_u32_e32 vcc_lo, s6, v6
	s_mov_b32 s6, 0
                                        ; implicit-def: $sgpr4_sgpr5
                                        ; implicit-def: $vgpr0
	s_and_saveexec_b32 s8, vcc_lo
	s_delay_alu instid0(SALU_CYCLE_1)
	s_xor_b32 s8, exec_lo, s8
	s_cbranch_execz .LBB123_9
; %bb.8:
	s_waitcnt lgkmcnt(0)
	v_mad_u64_u32 v[0:1], null, v4, s3, v[6:7]
	s_mov_b32 s6, exec_lo
	s_mov_b64 s[4:5], 0
.LBB123_9:
	s_or_b32 exec_lo, exec_lo, s8
	s_delay_alu instid0(SALU_CYCLE_1)
	s_and_b32 s8, s6, exec_lo
                                        ; implicit-def: $vgpr6_vgpr7
                                        ; implicit-def: $vgpr4_vgpr5
.LBB123_10:
	s_or_saveexec_b32 s6, s9
	v_dual_mov_b32 v2, s4 :: v_dual_mov_b32 v3, s5
	s_xor_b32 exec_lo, exec_lo, s6
	s_cbranch_execz .LBB123_12
; %bb.11:
	v_mov_b32_e32 v2, 0
	s_waitcnt lgkmcnt(0)
	v_mad_u64_u32 v[0:1], null, v4, s3, v[6:7]
	v_mov_b32_e32 v3, 0
	s_or_b32 s8, s8, exec_lo
.LBB123_12:
	s_or_b32 exec_lo, exec_lo, s6
	s_delay_alu instid0(SALU_CYCLE_1)
	s_and_b32 s4, s8, exec_lo
                                        ; implicit-def: $vgpr4_vgpr5
	s_and_not1_saveexec_b32 s5, s7
	s_cbranch_execz .LBB123_3
.LBB123_13:
	s_waitcnt lgkmcnt(0)
	v_mad_u64_u32 v[0:1], null, v4, s3, v[4:5]
	v_mov_b32_e32 v2, 0
	v_mov_b32_e32 v3, 0x3ff00000
	s_or_b32 s4, s4, exec_lo
	s_or_b32 exec_lo, exec_lo, s5
	s_delay_alu instid0(SALU_CYCLE_1)
	s_and_b32 exec_lo, exec_lo, s4
	s_cbranch_execnz .LBB123_4
	s_branch .LBB123_5
	.section	.rodata,"a",@progbits
	.p2align	6, 0x0
	.amdhsa_kernel _ZN9rocsolver6v33100L16orgl2_init_identIdPdEEviiiT0_iil
		.amdhsa_group_segment_fixed_size 0
		.amdhsa_private_segment_fixed_size 0
		.amdhsa_kernarg_size 296
		.amdhsa_user_sgpr_count 13
		.amdhsa_user_sgpr_dispatch_ptr 0
		.amdhsa_user_sgpr_queue_ptr 0
		.amdhsa_user_sgpr_kernarg_segment_ptr 1
		.amdhsa_user_sgpr_dispatch_id 0
		.amdhsa_user_sgpr_private_segment_size 0
		.amdhsa_wavefront_size32 1
		.amdhsa_uses_dynamic_stack 0
		.amdhsa_enable_private_segment 0
		.amdhsa_system_sgpr_workgroup_id_x 1
		.amdhsa_system_sgpr_workgroup_id_y 1
		.amdhsa_system_sgpr_workgroup_id_z 1
		.amdhsa_system_sgpr_workgroup_info 0
		.amdhsa_system_vgpr_workitem_id 1
		.amdhsa_next_free_vgpr 8
		.amdhsa_next_free_sgpr 16
		.amdhsa_reserve_vcc 1
		.amdhsa_float_round_mode_32 0
		.amdhsa_float_round_mode_16_64 0
		.amdhsa_float_denorm_mode_32 3
		.amdhsa_float_denorm_mode_16_64 3
		.amdhsa_dx10_clamp 1
		.amdhsa_ieee_mode 1
		.amdhsa_fp16_overflow 0
		.amdhsa_workgroup_processor_mode 1
		.amdhsa_memory_ordered 1
		.amdhsa_forward_progress 0
		.amdhsa_shared_vgpr_count 0
		.amdhsa_exception_fp_ieee_invalid_op 0
		.amdhsa_exception_fp_denorm_src 0
		.amdhsa_exception_fp_ieee_div_zero 0
		.amdhsa_exception_fp_ieee_overflow 0
		.amdhsa_exception_fp_ieee_underflow 0
		.amdhsa_exception_fp_ieee_inexact 0
		.amdhsa_exception_int_div_zero 0
	.end_amdhsa_kernel
	.section	.text._ZN9rocsolver6v33100L16orgl2_init_identIdPdEEviiiT0_iil,"axG",@progbits,_ZN9rocsolver6v33100L16orgl2_init_identIdPdEEviiiT0_iil,comdat
.Lfunc_end123:
	.size	_ZN9rocsolver6v33100L16orgl2_init_identIdPdEEviiiT0_iil, .Lfunc_end123-_ZN9rocsolver6v33100L16orgl2_init_identIdPdEEviiiT0_iil
                                        ; -- End function
	.section	.AMDGPU.csdata,"",@progbits
; Kernel info:
; codeLenInByte = 472
; NumSgprs: 18
; NumVgprs: 8
; ScratchSize: 0
; MemoryBound: 0
; FloatMode: 240
; IeeeMode: 1
; LDSByteSize: 0 bytes/workgroup (compile time only)
; SGPRBlocks: 2
; VGPRBlocks: 0
; NumSGPRsForWavesPerEU: 18
; NumVGPRsForWavesPerEU: 8
; Occupancy: 16
; WaveLimiterHint : 0
; COMPUTE_PGM_RSRC2:SCRATCH_EN: 0
; COMPUTE_PGM_RSRC2:USER_SGPR: 13
; COMPUTE_PGM_RSRC2:TRAP_HANDLER: 0
; COMPUTE_PGM_RSRC2:TGID_X_EN: 1
; COMPUTE_PGM_RSRC2:TGID_Y_EN: 1
; COMPUTE_PGM_RSRC2:TGID_Z_EN: 1
; COMPUTE_PGM_RSRC2:TIDIG_COMP_CNT: 1
	.section	.text._ZN9rocsolver6v33100L6iota_nI19rocblas_complex_numIfEEEvPT_jS4_,"axG",@progbits,_ZN9rocsolver6v33100L6iota_nI19rocblas_complex_numIfEEEvPT_jS4_,comdat
	.globl	_ZN9rocsolver6v33100L6iota_nI19rocblas_complex_numIfEEEvPT_jS4_ ; -- Begin function _ZN9rocsolver6v33100L6iota_nI19rocblas_complex_numIfEEEvPT_jS4_
	.p2align	8
	.type	_ZN9rocsolver6v33100L6iota_nI19rocblas_complex_numIfEEEvPT_jS4_,@function
_ZN9rocsolver6v33100L6iota_nI19rocblas_complex_numIfEEEvPT_jS4_: ; @_ZN9rocsolver6v33100L6iota_nI19rocblas_complex_numIfEEEvPT_jS4_
; %bb.0:
	s_load_b32 s2, s[0:1], 0x8
	s_waitcnt lgkmcnt(0)
	v_cmp_gt_u32_e32 vcc_lo, s2, v0
	s_and_saveexec_b32 s2, vcc_lo
	s_cbranch_execz .LBB124_2
; %bb.1:
	s_clause 0x1
	s_load_b64 s[2:3], s[0:1], 0xc
	s_load_b64 s[0:1], s[0:1], 0x0
	v_cvt_f32_ubyte0_e32 v1, v0
	s_waitcnt lgkmcnt(0)
	s_delay_alu instid0(VALU_DEP_1)
	v_dual_add_f32 v1, s2, v1 :: v_dual_lshlrev_b32 v0, 3, v0
	v_add_f32_e64 v2, s3, 0
	global_store_b64 v0, v[1:2], s[0:1]
.LBB124_2:
	s_nop 0
	s_sendmsg sendmsg(MSG_DEALLOC_VGPRS)
	s_endpgm
	.section	.rodata,"a",@progbits
	.p2align	6, 0x0
	.amdhsa_kernel _ZN9rocsolver6v33100L6iota_nI19rocblas_complex_numIfEEEvPT_jS4_
		.amdhsa_group_segment_fixed_size 0
		.amdhsa_private_segment_fixed_size 0
		.amdhsa_kernarg_size 20
		.amdhsa_user_sgpr_count 15
		.amdhsa_user_sgpr_dispatch_ptr 0
		.amdhsa_user_sgpr_queue_ptr 0
		.amdhsa_user_sgpr_kernarg_segment_ptr 1
		.amdhsa_user_sgpr_dispatch_id 0
		.amdhsa_user_sgpr_private_segment_size 0
		.amdhsa_wavefront_size32 1
		.amdhsa_uses_dynamic_stack 0
		.amdhsa_enable_private_segment 0
		.amdhsa_system_sgpr_workgroup_id_x 1
		.amdhsa_system_sgpr_workgroup_id_y 0
		.amdhsa_system_sgpr_workgroup_id_z 0
		.amdhsa_system_sgpr_workgroup_info 0
		.amdhsa_system_vgpr_workitem_id 0
		.amdhsa_next_free_vgpr 3
		.amdhsa_next_free_sgpr 4
		.amdhsa_reserve_vcc 1
		.amdhsa_float_round_mode_32 0
		.amdhsa_float_round_mode_16_64 0
		.amdhsa_float_denorm_mode_32 3
		.amdhsa_float_denorm_mode_16_64 3
		.amdhsa_dx10_clamp 1
		.amdhsa_ieee_mode 1
		.amdhsa_fp16_overflow 0
		.amdhsa_workgroup_processor_mode 1
		.amdhsa_memory_ordered 1
		.amdhsa_forward_progress 0
		.amdhsa_shared_vgpr_count 0
		.amdhsa_exception_fp_ieee_invalid_op 0
		.amdhsa_exception_fp_denorm_src 0
		.amdhsa_exception_fp_ieee_div_zero 0
		.amdhsa_exception_fp_ieee_overflow 0
		.amdhsa_exception_fp_ieee_underflow 0
		.amdhsa_exception_fp_ieee_inexact 0
		.amdhsa_exception_int_div_zero 0
	.end_amdhsa_kernel
	.section	.text._ZN9rocsolver6v33100L6iota_nI19rocblas_complex_numIfEEEvPT_jS4_,"axG",@progbits,_ZN9rocsolver6v33100L6iota_nI19rocblas_complex_numIfEEEvPT_jS4_,comdat
.Lfunc_end124:
	.size	_ZN9rocsolver6v33100L6iota_nI19rocblas_complex_numIfEEEvPT_jS4_, .Lfunc_end124-_ZN9rocsolver6v33100L6iota_nI19rocblas_complex_numIfEEEvPT_jS4_
                                        ; -- End function
	.section	.AMDGPU.csdata,"",@progbits
; Kernel info:
; codeLenInByte = 92
; NumSgprs: 6
; NumVgprs: 3
; ScratchSize: 0
; MemoryBound: 0
; FloatMode: 240
; IeeeMode: 1
; LDSByteSize: 0 bytes/workgroup (compile time only)
; SGPRBlocks: 0
; VGPRBlocks: 0
; NumSGPRsForWavesPerEU: 6
; NumVGPRsForWavesPerEU: 3
; Occupancy: 16
; WaveLimiterHint : 0
; COMPUTE_PGM_RSRC2:SCRATCH_EN: 0
; COMPUTE_PGM_RSRC2:USER_SGPR: 15
; COMPUTE_PGM_RSRC2:TRAP_HANDLER: 0
; COMPUTE_PGM_RSRC2:TGID_X_EN: 1
; COMPUTE_PGM_RSRC2:TGID_Y_EN: 0
; COMPUTE_PGM_RSRC2:TGID_Z_EN: 0
; COMPUTE_PGM_RSRC2:TIDIG_COMP_CNT: 0
	.section	.text._ZN9rocsolver6v33100L16syev_scalar_caseI19rocblas_complex_numIfEfPS3_TnNSt9enable_ifIX18rocblas_is_complexIT_EEiE4typeELi0EEEv14rocblas_evect_T1_lPT0_li,"axG",@progbits,_ZN9rocsolver6v33100L16syev_scalar_caseI19rocblas_complex_numIfEfPS3_TnNSt9enable_ifIX18rocblas_is_complexIT_EEiE4typeELi0EEEv14rocblas_evect_T1_lPT0_li,comdat
	.globl	_ZN9rocsolver6v33100L16syev_scalar_caseI19rocblas_complex_numIfEfPS3_TnNSt9enable_ifIX18rocblas_is_complexIT_EEiE4typeELi0EEEv14rocblas_evect_T1_lPT0_li ; -- Begin function _ZN9rocsolver6v33100L16syev_scalar_caseI19rocblas_complex_numIfEfPS3_TnNSt9enable_ifIX18rocblas_is_complexIT_EEiE4typeELi0EEEv14rocblas_evect_T1_lPT0_li
	.p2align	8
	.type	_ZN9rocsolver6v33100L16syev_scalar_caseI19rocblas_complex_numIfEfPS3_TnNSt9enable_ifIX18rocblas_is_complexIT_EEiE4typeELi0EEEv14rocblas_evect_T1_lPT0_li,@function
_ZN9rocsolver6v33100L16syev_scalar_caseI19rocblas_complex_numIfEfPS3_TnNSt9enable_ifIX18rocblas_is_complexIT_EEiE4typeELi0EEEv14rocblas_evect_T1_lPT0_li: ; @_ZN9rocsolver6v33100L16syev_scalar_caseI19rocblas_complex_numIfEfPS3_TnNSt9enable_ifIX18rocblas_is_complexIT_EEiE4typeELi0EEEv14rocblas_evect_T1_lPT0_li
; %bb.0:
	s_clause 0x1
	s_load_b32 s2, s[0:1], 0x3c
	s_load_b32 s3, s[0:1], 0x28
	s_waitcnt lgkmcnt(0)
	s_and_b32 s2, s2, 0xffff
	s_delay_alu instid0(SALU_CYCLE_1) | instskip(SKIP_1) | instid1(VALU_DEP_1)
	v_mad_u64_u32 v[1:2], null, s15, s2, v[0:1]
	s_mov_b32 s2, exec_lo
	v_cmpx_gt_i32_e64 s3, v1
	s_cbranch_execz .LBB125_3
; %bb.1:
	s_load_b256 s[4:11], s[0:1], 0x8
	v_ashrrev_i32_e32 v0, 31, v1
	s_load_b32 s0, s[0:1], 0x0
	s_waitcnt lgkmcnt(0)
	v_mul_lo_u32 v4, v1, s7
	s_delay_alu instid0(VALU_DEP_2) | instskip(SKIP_4) | instid1(VALU_DEP_3)
	v_mul_lo_u32 v5, v0, s6
	v_mad_u64_u32 v[2:3], null, v1, s6, 0
	v_mul_lo_u32 v7, v1, s11
	v_mul_lo_u32 v0, v0, s10
	s_cmpk_lg_i32 s0, 0xd3
	v_add3_u32 v3, v3, v4, v5
	v_mad_u64_u32 v[4:5], null, v1, s10, 0
	s_delay_alu instid0(VALU_DEP_2) | instskip(NEXT) | instid1(VALU_DEP_2)
	v_lshlrev_b64 v[2:3], 3, v[2:3]
	v_add3_u32 v5, v5, v7, v0
	s_delay_alu instid0(VALU_DEP_2) | instskip(NEXT) | instid1(VALU_DEP_3)
	v_add_co_u32 v2, vcc_lo, s4, v2
	v_add_co_ci_u32_e32 v3, vcc_lo, s5, v3, vcc_lo
	s_delay_alu instid0(VALU_DEP_3)
	v_lshlrev_b64 v[0:1], 2, v[4:5]
	global_load_b32 v6, v[2:3], off
	v_add_co_u32 v0, vcc_lo, s8, v0
	v_add_co_ci_u32_e32 v1, vcc_lo, s9, v1, vcc_lo
	s_waitcnt vmcnt(0)
	global_store_b32 v[0:1], v6, off
	s_cbranch_scc1 .LBB125_3
; %bb.2:
	v_dual_mov_b32 v0, 1.0 :: v_dual_mov_b32 v1, 0
	global_store_b64 v[2:3], v[0:1], off
.LBB125_3:
	s_nop 0
	s_sendmsg sendmsg(MSG_DEALLOC_VGPRS)
	s_endpgm
	.section	.rodata,"a",@progbits
	.p2align	6, 0x0
	.amdhsa_kernel _ZN9rocsolver6v33100L16syev_scalar_caseI19rocblas_complex_numIfEfPS3_TnNSt9enable_ifIX18rocblas_is_complexIT_EEiE4typeELi0EEEv14rocblas_evect_T1_lPT0_li
		.amdhsa_group_segment_fixed_size 0
		.amdhsa_private_segment_fixed_size 0
		.amdhsa_kernarg_size 304
		.amdhsa_user_sgpr_count 15
		.amdhsa_user_sgpr_dispatch_ptr 0
		.amdhsa_user_sgpr_queue_ptr 0
		.amdhsa_user_sgpr_kernarg_segment_ptr 1
		.amdhsa_user_sgpr_dispatch_id 0
		.amdhsa_user_sgpr_private_segment_size 0
		.amdhsa_wavefront_size32 1
		.amdhsa_uses_dynamic_stack 0
		.amdhsa_enable_private_segment 0
		.amdhsa_system_sgpr_workgroup_id_x 1
		.amdhsa_system_sgpr_workgroup_id_y 0
		.amdhsa_system_sgpr_workgroup_id_z 0
		.amdhsa_system_sgpr_workgroup_info 0
		.amdhsa_system_vgpr_workitem_id 0
		.amdhsa_next_free_vgpr 8
		.amdhsa_next_free_sgpr 16
		.amdhsa_reserve_vcc 1
		.amdhsa_float_round_mode_32 0
		.amdhsa_float_round_mode_16_64 0
		.amdhsa_float_denorm_mode_32 3
		.amdhsa_float_denorm_mode_16_64 3
		.amdhsa_dx10_clamp 1
		.amdhsa_ieee_mode 1
		.amdhsa_fp16_overflow 0
		.amdhsa_workgroup_processor_mode 1
		.amdhsa_memory_ordered 1
		.amdhsa_forward_progress 0
		.amdhsa_shared_vgpr_count 0
		.amdhsa_exception_fp_ieee_invalid_op 0
		.amdhsa_exception_fp_denorm_src 0
		.amdhsa_exception_fp_ieee_div_zero 0
		.amdhsa_exception_fp_ieee_overflow 0
		.amdhsa_exception_fp_ieee_underflow 0
		.amdhsa_exception_fp_ieee_inexact 0
		.amdhsa_exception_int_div_zero 0
	.end_amdhsa_kernel
	.section	.text._ZN9rocsolver6v33100L16syev_scalar_caseI19rocblas_complex_numIfEfPS3_TnNSt9enable_ifIX18rocblas_is_complexIT_EEiE4typeELi0EEEv14rocblas_evect_T1_lPT0_li,"axG",@progbits,_ZN9rocsolver6v33100L16syev_scalar_caseI19rocblas_complex_numIfEfPS3_TnNSt9enable_ifIX18rocblas_is_complexIT_EEiE4typeELi0EEEv14rocblas_evect_T1_lPT0_li,comdat
.Lfunc_end125:
	.size	_ZN9rocsolver6v33100L16syev_scalar_caseI19rocblas_complex_numIfEfPS3_TnNSt9enable_ifIX18rocblas_is_complexIT_EEiE4typeELi0EEEv14rocblas_evect_T1_lPT0_li, .Lfunc_end125-_ZN9rocsolver6v33100L16syev_scalar_caseI19rocblas_complex_numIfEfPS3_TnNSt9enable_ifIX18rocblas_is_complexIT_EEiE4typeELi0EEEv14rocblas_evect_T1_lPT0_li
                                        ; -- End function
	.section	.AMDGPU.csdata,"",@progbits
; Kernel info:
; codeLenInByte = 260
; NumSgprs: 18
; NumVgprs: 8
; ScratchSize: 0
; MemoryBound: 0
; FloatMode: 240
; IeeeMode: 1
; LDSByteSize: 0 bytes/workgroup (compile time only)
; SGPRBlocks: 2
; VGPRBlocks: 0
; NumSGPRsForWavesPerEU: 18
; NumVGPRsForWavesPerEU: 8
; Occupancy: 16
; WaveLimiterHint : 0
; COMPUTE_PGM_RSRC2:SCRATCH_EN: 0
; COMPUTE_PGM_RSRC2:USER_SGPR: 15
; COMPUTE_PGM_RSRC2:TRAP_HANDLER: 0
; COMPUTE_PGM_RSRC2:TGID_X_EN: 1
; COMPUTE_PGM_RSRC2:TGID_Y_EN: 0
; COMPUTE_PGM_RSRC2:TGID_Z_EN: 0
; COMPUTE_PGM_RSRC2:TIDIG_COMP_CNT: 0
	.section	.text._ZN9rocsolver6v33100L24sytd2_lower_kernel_smallILi256E19rocblas_complex_numIfEifPS3_EEvT1_T3_lS5_lPT2_lS8_lPT0_l,"axG",@progbits,_ZN9rocsolver6v33100L24sytd2_lower_kernel_smallILi256E19rocblas_complex_numIfEifPS3_EEvT1_T3_lS5_lPT2_lS8_lPT0_l,comdat
	.globl	_ZN9rocsolver6v33100L24sytd2_lower_kernel_smallILi256E19rocblas_complex_numIfEifPS3_EEvT1_T3_lS5_lPT2_lS8_lPT0_l ; -- Begin function _ZN9rocsolver6v33100L24sytd2_lower_kernel_smallILi256E19rocblas_complex_numIfEifPS3_EEvT1_T3_lS5_lPT2_lS8_lPT0_l
	.p2align	8
	.type	_ZN9rocsolver6v33100L24sytd2_lower_kernel_smallILi256E19rocblas_complex_numIfEifPS3_EEvT1_T3_lS5_lPT2_lS8_lPT0_l,@function
_ZN9rocsolver6v33100L24sytd2_lower_kernel_smallILi256E19rocblas_complex_numIfEifPS3_EEvT1_T3_lS5_lPT2_lS8_lPT0_l: ; @_ZN9rocsolver6v33100L24sytd2_lower_kernel_smallILi256E19rocblas_complex_numIfEifPS3_EEvT1_T3_lS5_lPT2_lS8_lPT0_l
; %bb.0:
	s_clause 0x3
	s_load_b64 s[2:3], s[0:1], 0x20
	s_load_b32 s12, s[0:1], 0x0
	s_load_b128 s[4:7], s[0:1], 0x8
	s_load_b32 s16, s[0:1], 0x18
	s_ashr_i32 s17, s15, 31
	v_and_b32_e32 v1, 0x7f, v0
	v_lshrrev_b32_e32 v5, 7, v0
	s_delay_alu instid0(VALU_DEP_2)
	v_lshlrev_b32_e32 v6, 3, v1
	s_waitcnt lgkmcnt(0)
	s_mul_i32 s3, s15, s3
	s_mul_hi_u32 s8, s15, s2
	s_mul_i32 s9, s17, s2
	s_add_i32 s3, s8, s3
	s_mul_i32 s2, s15, s2
	s_add_i32 s3, s3, s9
	s_delay_alu instid0(SALU_CYCLE_1) | instskip(SKIP_4) | instid1(SALU_CYCLE_1)
	s_lshl_b64 s[8:9], s[2:3], 3
	v_cmp_gt_i32_e64 s2, s12, v1
	s_add_u32 s3, s4, s8
	s_addc_u32 s8, s5, s9
	s_lshl_b64 s[4:5], s[6:7], 3
	s_add_u32 s13, s3, s4
	s_addc_u32 s14, s8, s5
	s_and_saveexec_b32 s4, s2
	s_cbranch_execz .LBB126_6
; %bb.1:
	v_lshrrev_b32_e32 v7, 7, v0
	v_mov_b32_e32 v9, v1
	s_mov_b32 s5, 0
	s_lshl_b32 s6, s12, 4
	s_lshl_b32 s7, s16, 1
	v_mul_lo_u32 v2, s12, v7
	v_cmp_gt_u32_e32 vcc_lo, s12, v7
	s_delay_alu instid0(VALU_DEP_2) | instskip(SKIP_1) | instid1(VALU_DEP_2)
	v_lshl_add_u32 v4, v2, 3, v6
	v_mad_u64_u32 v[2:3], null, s16, v7, v[1:2]
	v_add3_u32 v8, v4, 0, 8
	s_set_inst_prefetch_distance 0x1
	s_branch .LBB126_3
	.p2align	6
.LBB126_2:                              ;   in Loop: Header=BB126_3 Depth=1
	s_or_b32 exec_lo, exec_lo, s8
	v_add_nc_u32_e32 v9, 0x80, v9
	v_add_nc_u32_e32 v8, 0x400, v8
	;; [unrolled: 1-line block ×3, first 2 shown]
	s_delay_alu instid0(VALU_DEP_3) | instskip(NEXT) | instid1(VALU_DEP_1)
	v_cmp_le_i32_e64 s3, s12, v9
	s_or_b32 s5, s3, s5
	s_delay_alu instid0(SALU_CYCLE_1)
	s_and_not1_b32 exec_lo, exec_lo, s5
	s_cbranch_execz .LBB126_6
.LBB126_3:                              ; =>This Loop Header: Depth=1
                                        ;     Child Loop BB126_5 Depth 2
	s_and_saveexec_b32 s8, vcc_lo
	s_cbranch_execz .LBB126_2
; %bb.4:                                ;   in Loop: Header=BB126_3 Depth=1
	s_delay_alu instid0(VALU_DEP_2)
	v_dual_mov_b32 v3, v2 :: v_dual_mov_b32 v10, v8
	v_mov_b32_e32 v11, v7
	s_mov_b32 s9, 0
	.p2align	6
.LBB126_5:                              ;   Parent Loop BB126_3 Depth=1
                                        ; =>  This Inner Loop Header: Depth=2
	s_delay_alu instid0(VALU_DEP_2) | instskip(NEXT) | instid1(VALU_DEP_2)
	v_ashrrev_i32_e32 v4, 31, v3
	v_add_nc_u32_e32 v11, 2, v11
	s_delay_alu instid0(VALU_DEP_2) | instskip(SKIP_1) | instid1(VALU_DEP_2)
	v_lshlrev_b64 v[12:13], 3, v[3:4]
	v_add_nc_u32_e32 v3, s7, v3
	v_add_co_u32 v12, s3, s13, v12
	s_delay_alu instid0(VALU_DEP_1)
	v_add_co_ci_u32_e64 v13, s3, s14, v13, s3
	v_cmp_le_i32_e64 s3, s12, v11
	global_load_b64 v[12:13], v[12:13], off
	s_or_b32 s9, s3, s9
	s_waitcnt vmcnt(0)
	ds_store_b64 v10, v[12:13]
	v_add_nc_u32_e32 v10, s6, v10
	s_and_not1_b32 exec_lo, exec_lo, s9
	s_cbranch_execnz .LBB126_5
	s_branch .LBB126_2
.LBB126_6:
	s_set_inst_prefetch_distance 0x2
	s_or_b32 exec_lo, exec_lo, s4
	s_waitcnt lgkmcnt(0)
	s_barrier
	buffer_gl0_inv
	s_and_saveexec_b32 s4, s2
	s_cbranch_execz .LBB126_16
; %bb.7:
	v_lshrrev_b32_e32 v2, 7, v0
	v_mul_lo_u32 v3, s12, v1
	s_mov_b32 s5, 0
	s_lshl_b32 s6, s12, 10
	s_lshl_b32 s7, s12, 4
	v_mul_lo_u32 v4, s12, v2
	v_lshlrev_b32_e32 v7, 3, v2
	v_cmp_gt_u32_e32 vcc_lo, s12, v2
	s_delay_alu instid0(VALU_DEP_2) | instskip(SKIP_2) | instid1(VALU_DEP_3)
	v_lshl_add_u32 v7, v3, 3, v7
	v_mov_b32_e32 v3, 0
	v_lshl_add_u32 v8, v4, 3, v6
	v_add3_u32 v4, v7, 0, 8
	s_delay_alu instid0(VALU_DEP_2)
	v_add3_u32 v7, v8, 0, 8
	v_mov_b32_e32 v8, v1
	s_branch .LBB126_9
.LBB126_8:                              ;   in Loop: Header=BB126_9 Depth=1
	s_set_inst_prefetch_distance 0x2
	s_or_b32 exec_lo, exec_lo, s8
	v_add_nc_u32_e32 v8, 0x80, v8
	v_add_nc_u32_e32 v4, s6, v4
	;; [unrolled: 1-line block ×3, first 2 shown]
	s_delay_alu instid0(VALU_DEP_3) | instskip(NEXT) | instid1(VALU_DEP_1)
	v_cmp_le_i32_e64 s3, s12, v8
	s_or_b32 s5, s3, s5
	s_delay_alu instid0(SALU_CYCLE_1)
	s_and_not1_b32 exec_lo, exec_lo, s5
	s_cbranch_execz .LBB126_16
.LBB126_9:                              ; =>This Loop Header: Depth=1
                                        ;     Child Loop BB126_12 Depth 2
	s_and_saveexec_b32 s8, vcc_lo
	s_cbranch_execz .LBB126_8
; %bb.10:                               ;   in Loop: Header=BB126_9 Depth=1
	s_delay_alu instid0(VALU_DEP_1) | instskip(SKIP_3) | instid1(VALU_DEP_3)
	v_mul_lo_u32 v9, v8, s12
	v_lshl_add_u32 v11, v8, 3, 0
	v_mov_b32_e32 v10, v4
	s_mov_b32 s9, 0
	v_dual_mov_b32 v9, v7 :: v_dual_lshlrev_b32 v12, 3, v9
	s_delay_alu instid0(VALU_DEP_1)
	v_add3_u32 v11, v11, v12, 4
	v_mov_b32_e32 v12, v2
	s_set_inst_prefetch_distance 0x1
	s_branch .LBB126_12
	.p2align	6
.LBB126_11:                             ;   in Loop: Header=BB126_12 Depth=2
	s_or_b32 exec_lo, exec_lo, s10
	v_add_nc_u32_e32 v12, 2, v12
	v_add_nc_u32_e32 v10, 16, v10
	;; [unrolled: 1-line block ×3, first 2 shown]
	s_delay_alu instid0(VALU_DEP_3) | instskip(NEXT) | instid1(VALU_DEP_1)
	v_cmp_le_i32_e64 s3, s12, v12
	s_or_b32 s9, s3, s9
	s_delay_alu instid0(SALU_CYCLE_1)
	s_and_not1_b32 exec_lo, exec_lo, s9
	s_cbranch_execz .LBB126_8
.LBB126_12:                             ;   Parent Loop BB126_9 Depth=1
                                        ; =>  This Inner Loop Header: Depth=2
	s_mov_b32 s10, exec_lo
	s_delay_alu instid0(VALU_DEP_1)
	v_cmpx_eq_u32_e64 v8, v12
	s_cbranch_execz .LBB126_14
; %bb.13:                               ;   in Loop: Header=BB126_12 Depth=2
	ds_store_b32 v11, v3 offset:8
.LBB126_14:                             ;   in Loop: Header=BB126_12 Depth=2
	s_or_b32 exec_lo, exec_lo, s10
	s_delay_alu instid0(SALU_CYCLE_1)
	s_mov_b32 s10, exec_lo
	v_cmpx_lt_u32_e64 v8, v12
	s_cbranch_execz .LBB126_11
; %bb.15:                               ;   in Loop: Header=BB126_12 Depth=2
	ds_load_b64 v[13:14], v10
	s_waitcnt lgkmcnt(0)
	v_xor_b32_e32 v14, 0x80000000, v14
	ds_store_b64 v9, v[13:14]
	s_branch .LBB126_11
.LBB126_16:
	s_or_b32 exec_lo, exec_lo, s4
	s_cmp_lt_i32 s12, 2
	s_waitcnt lgkmcnt(0)
	s_barrier
	buffer_gl0_inv
	s_cbranch_scc1 .LBB126_68
; %bb.17:
	s_load_b256 s[4:11], s[0:1], 0x38
	v_mbcnt_lo_u32_b32 v2, -1, 0
	s_mul_i32 s3, s12, s12
	v_and_b32_e32 v12, 31, v0
	v_mov_b32_e32 v18, 1.0
	s_delay_alu instid0(VALU_DEP_3) | instskip(SKIP_2) | instid1(VALU_DEP_2)
	v_cmp_ne_u32_e32 vcc_lo, 31, v2
	v_add_co_ci_u32_e32 v3, vcc_lo, 0, v2, vcc_lo
	v_cmp_gt_u32_e32 vcc_lo, 30, v2
	v_lshlrev_b32_e32 v7, 2, v3
	v_cndmask_b32_e64 v4, 0, 1, vcc_lo
	v_cmp_gt_u32_e32 vcc_lo, 28, v2
	s_waitcnt lgkmcnt(0)
	s_mul_i32 s1, s15, s7
	s_mul_hi_u32 s7, s15, s6
	s_mul_i32 s18, s17, s6
	s_add_i32 s1, s7, s1
	s_mul_i32 s0, s15, s6
	s_add_i32 s1, s1, s18
	v_cndmask_b32_e64 v8, 0, 1, vcc_lo
	v_cmp_gt_u32_e32 vcc_lo, 24, v2
	s_lshl_b64 s[0:1], s[0:1], 2
	s_mul_i32 s6, s15, s11
	s_mul_hi_u32 s7, s15, s10
	s_mul_i32 s11, s17, s10
	s_add_u32 s17, s4, s0
	s_addc_u32 s18, s5, s1
	s_add_i32 s1, s7, s6
	v_cndmask_b32_e64 v9, 0, 1, vcc_lo
	v_cmp_gt_u32_e32 vcc_lo, 16, v2
	s_mul_i32 s0, s15, s10
	s_add_i32 s1, s1, s11
	v_lshlrev_b32_e32 v3, 1, v4
	s_lshl_b64 s[0:1], s[0:1], 3
	v_cndmask_b32_e64 v10, 0, 1, vcc_lo
	s_add_u32 s15, s8, s0
	v_lshlrev_b32_e32 v4, 2, v8
	s_addc_u32 s19, s9, s1
	s_lshl_b32 s0, s3, 3
	s_lshl_b32 s20, s12, 3
	s_add_i32 s1, s0, 0
	v_lshlrev_b32_e32 v11, 3, v9
	s_add_i32 s26, s1, s20
	v_add_lshl_u32 v8, v3, v2, 2
	v_lshlrev_b32_e32 v3, 4, v10
	v_add_lshl_u32 v9, v4, v2, 2
	v_lshlrev_b32_e32 v4, 3, v0
	s_add_i32 s21, s1, 8
	s_add_i32 s22, s26, s20
	s_cmp_lg_u64 s[4:5], 0
	v_add_lshl_u32 v10, v11, v2, 2
	s_cselect_b32 s23, -1, 0
	s_add_i32 s24, s20, 8
	v_add_lshl_u32 v11, v3, v2, 2
	v_lshrrev_b32_e32 v2, 2, v0
	v_add_nc_u32_e32 v3, s1, v4
	v_add_nc_u32_e32 v15, 16, v4
	s_mul_i32 s3, s12, s24
	v_cmp_eq_u32_e64 s0, 0, v12
	s_add_i32 s3, s3, 0
	v_cmp_eq_u32_e64 s1, 0, v0
	v_add_nc_u32_e32 v12, 8, v3
	v_add_nc_u32_e32 v13, 0, v15
	;; [unrolled: 1-line block ×3, first 2 shown]
	v_add3_u32 v15, 0, s20, v15
	v_add3_u32 v16, s3, v4, 8
	v_dual_mov_b32 v2, 0 :: v_dual_add_nc_u32 v17, s22, v2
	s_mov_b32 s8, 0
	s_add_i32 s25, s12, -2
	s_add_i32 s26, s26, 8
	s_branch .LBB126_19
.LBB126_18:                             ;   in Loop: Header=BB126_19 Depth=1
	s_or_b32 exec_lo, exec_lo, s4
	v_add_nc_u32_e32 v13, s24, v13
	v_add_nc_u32_e32 v15, s24, v15
	s_add_i32 s3, s8, 1
	s_cmp_eq_u32 s8, s25
	s_mov_b32 s8, s3
	s_waitcnt lgkmcnt(0)
	s_barrier
	buffer_gl0_inv
	s_cbranch_scc1 .LBB126_68
.LBB126_19:                             ; =>This Loop Header: Depth=1
                                        ;     Child Loop BB126_21 Depth 2
                                        ;     Child Loop BB126_24 Depth 2
                                        ;     Child Loop BB126_43 Depth 2
                                        ;     Child Loop BB126_46 Depth 2
                                        ;       Child Loop BB126_47 Depth 3
                                        ;     Child Loop BB126_50 Depth 2
                                        ;     Child Loop BB126_53 Depth 2
	;; [unrolled: 1-line block ×4, first 2 shown]
                                        ;       Child Loop BB126_65 Depth 3
	s_not_b32 s27, s8
	s_delay_alu instid0(SALU_CYCLE_1) | instskip(NEXT) | instid1(SALU_CYCLE_1)
	s_add_i32 s27, s27, s12
	v_cmp_gt_i32_e64 s3, s27, v0
	s_delay_alu instid0(VALU_DEP_1)
	s_and_saveexec_b32 s4, s3
	s_cbranch_execz .LBB126_22
; %bb.20:                               ;   in Loop: Header=BB126_19 Depth=1
	v_dual_mov_b32 v3, v13 :: v_dual_mov_b32 v4, v12
	v_mov_b32_e32 v19, v0
	s_mov_b32 s5, 0
.LBB126_21:                             ;   Parent Loop BB126_19 Depth=1
                                        ; =>  This Inner Loop Header: Depth=2
	ds_load_b64 v[20:21], v3
	v_add_nc_u32_e32 v19, 0x100, v19
	v_add_nc_u32_e32 v3, 0x800, v3
	s_delay_alu instid0(VALU_DEP_2)
	v_cmp_le_i32_e32 vcc_lo, s27, v19
	s_or_b32 s5, vcc_lo, s5
	s_waitcnt lgkmcnt(0)
	ds_store_b64 v4, v[20:21]
	v_add_nc_u32_e32 v4, 0x800, v4
	s_and_not1_b32 exec_lo, exec_lo, s5
	s_cbranch_execnz .LBB126_21
.LBB126_22:                             ;   in Loop: Header=BB126_19 Depth=1
	s_or_b32 exec_lo, exec_lo, s4
	s_add_i32 s28, s27, -1
	v_dual_mov_b32 v3, 0 :: v_dual_mov_b32 v4, 0
	v_cmp_gt_i32_e64 s4, s28, v0
	s_waitcnt lgkmcnt(0)
	s_barrier
	buffer_gl0_inv
	s_and_saveexec_b32 s5, s4
	s_cbranch_execz .LBB126_26
; %bb.23:                               ;   in Loop: Header=BB126_19 Depth=1
	v_dual_mov_b32 v3, 0 :: v_dual_mov_b32 v20, v0
	v_dual_mov_b32 v19, v14 :: v_dual_mov_b32 v4, 0
	s_mov_b32 s6, 0
	.p2align	6
.LBB126_24:                             ;   Parent Loop BB126_19 Depth=1
                                        ; =>  This Inner Loop Header: Depth=2
	ds_load_b64 v[21:22], v19
	v_add_nc_u32_e32 v20, 0x100, v20
	v_add_nc_u32_e32 v19, 0x800, v19
	s_delay_alu instid0(VALU_DEP_2) | instskip(SKIP_4) | instid1(VALU_DEP_2)
	v_cmp_le_i32_e32 vcc_lo, s28, v20
	s_or_b32 s6, vcc_lo, s6
	s_waitcnt lgkmcnt(0)
	v_mul_f32_e32 v23, v22, v22
	v_mul_f32_e32 v24, v22, v21
	v_fmac_f32_e32 v23, v21, v21
	s_delay_alu instid0(VALU_DEP_2) | instskip(NEXT) | instid1(VALU_DEP_1)
	v_fma_f32 v21, v21, v22, -v24
	v_dual_add_f32 v4, v4, v23 :: v_dual_add_f32 v3, v3, v21
	s_and_not1_b32 exec_lo, exec_lo, s6
	s_cbranch_execnz .LBB126_24
; %bb.25:                               ;   in Loop: Header=BB126_19 Depth=1
	s_or_b32 exec_lo, exec_lo, s6
.LBB126_26:                             ;   in Loop: Header=BB126_19 Depth=1
	s_delay_alu instid0(SALU_CYCLE_1)
	s_or_b32 exec_lo, exec_lo, s5
	ds_bpermute_b32 v19, v7, v4
	ds_bpermute_b32 v20, v7, v3
	s_waitcnt lgkmcnt(0)
	v_dual_add_f32 v4, v4, v19 :: v_dual_add_f32 v3, v3, v20
	ds_bpermute_b32 v19, v8, v4
	ds_bpermute_b32 v20, v8, v3
	s_waitcnt lgkmcnt(0)
	v_dual_add_f32 v4, v4, v19 :: v_dual_add_f32 v3, v3, v20
	;; [unrolled: 4-line block ×4, first 2 shown]
	ds_bpermute_b32 v3, v11, v21
	ds_bpermute_b32 v19, v11, v4
	s_waitcnt lgkmcnt(1)
	v_add_f32_e32 v3, v21, v3
	s_and_saveexec_b32 s5, s0
	s_cbranch_execz .LBB126_28
; %bb.27:                               ;   in Loop: Header=BB126_19 Depth=1
	s_waitcnt lgkmcnt(0)
	v_add_f32_e32 v4, v4, v19
	ds_store_2addr_b32 v17, v3, v4 offset0:2 offset1:3
.LBB126_28:                             ;   in Loop: Header=BB126_19 Depth=1
	s_or_b32 exec_lo, exec_lo, s5
	s_waitcnt lgkmcnt(0)
	s_barrier
	buffer_gl0_inv
	s_and_saveexec_b32 s29, s1
	s_cbranch_execz .LBB126_41
; %bb.29:                               ;   in Loop: Header=BB126_19 Depth=1
	v_mov_b32_e32 v4, s22
	s_mov_b32 s9, 0
                                        ; implicit-def: $sgpr5
                                        ; implicit-def: $sgpr30
                                        ; implicit-def: $sgpr33
	ds_load_2addr_b32 v[19:20], v4 offset0:4 offset1:6
	ds_load_2addr_b32 v[21:22], v4 offset0:8 offset1:10
	s_lshl_b64 s[6:7], s[8:9], 2
	s_mov_b32 s31, s9
	s_add_u32 s10, s17, s6
	s_addc_u32 s11, s18, s7
	s_mov_b32 s7, exec_lo
                                        ; implicit-def: $sgpr6
	s_waitcnt lgkmcnt(1)
	v_add_f32_e32 v3, v3, v19
	ds_load_2addr_b32 v[23:24], v4 offset0:12 offset1:14
	v_add_f32_e32 v3, v3, v20
	s_waitcnt lgkmcnt(1)
	s_delay_alu instid0(VALU_DEP_1) | instskip(SKIP_4) | instid1(VALU_DEP_1)
	v_dual_mov_b32 v19, s21 :: v_dual_add_f32 v20, v3, v21
	ds_load_b32 v4, v4 offset:64
	ds_load_b32 v3, v19 offset:4
	v_add_f32_e32 v19, v20, v22
	s_waitcnt lgkmcnt(2)
	v_add_f32_e32 v19, v19, v23
	s_delay_alu instid0(VALU_DEP_1) | instskip(SKIP_1) | instid1(VALU_DEP_1)
	v_add_f32_e32 v19, v19, v24
	s_waitcnt lgkmcnt(1)
	v_add_f32_e32 v19, v19, v4
	s_waitcnt lgkmcnt(0)
	v_mul_f32_e32 v4, v3, v3
	s_delay_alu instid0(VALU_DEP_1) | instskip(NEXT) | instid1(VALU_DEP_1)
	v_max_f32_e32 v20, v19, v4
	v_cmpx_nlt_f32_e32 0, v20
	s_xor_b32 s7, exec_lo, s7
	s_cbranch_execz .LBB126_33
; %bb.30:                               ;   in Loop: Header=BB126_19 Depth=1
	v_mov_b32_e32 v3, v2
	s_mov_b32 s30, 0
	s_and_b32 vcc_lo, exec_lo, s23
	s_mov_b32 s31, 0
                                        ; implicit-def: $sgpr5
                                        ; implicit-def: $sgpr6
	ds_store_b64 v2, v[2:3]
	s_cbranch_vccz .LBB126_32
; %bb.31:                               ;   in Loop: Header=BB126_19 Depth=1
	v_mov_b32_e32 v3, s21
	s_mov_b32 s31, -1
	s_mov_b32 s6, 1.0
	s_mov_b32 s5, 0
	ds_load_b32 v4, v3
	ds_store_b32 v3, v18
	s_waitcnt lgkmcnt(1)
	global_store_b32 v2, v4, s[10:11]
.LBB126_32:                             ;   in Loop: Header=BB126_19 Depth=1
	s_mov_b32 s33, 1.0
	s_and_b32 s31, s31, exec_lo
                                        ; implicit-def: $vgpr4
                                        ; implicit-def: $vgpr19
                                        ; implicit-def: $vgpr3
.LBB126_33:                             ;   in Loop: Header=BB126_19 Depth=1
	s_or_saveexec_b32 s34, s7
	v_dual_mov_b32 v20, s5 :: v_dual_mov_b32 v21, s6
	s_xor_b32 exec_lo, exec_lo, s34
	s_cbranch_execz .LBB126_38
; %bb.34:                               ;   in Loop: Header=BB126_19 Depth=1
	v_mov_b32_e32 v20, s21
	ds_load_b32 v20, v20
	s_waitcnt lgkmcnt(0)
	v_fma_f32 v21, v20, v20, v4
	s_delay_alu instid0(VALU_DEP_1) | instskip(NEXT) | instid1(VALU_DEP_1)
	v_add_f32_e32 v19, v19, v21
	v_mul_f32_e32 v21, 0x4f800000, v19
	v_cmp_gt_f32_e32 vcc_lo, 0xf800000, v19
	s_delay_alu instid0(VALU_DEP_2) | instskip(NEXT) | instid1(VALU_DEP_1)
	v_cndmask_b32_e32 v19, v19, v21, vcc_lo
	v_sqrt_f32_e32 v21, v19
	s_waitcnt_depctr 0xfff
	v_add_nc_u32_e32 v22, -1, v21
	v_add_nc_u32_e32 v23, 1, v21
	s_delay_alu instid0(VALU_DEP_2) | instskip(NEXT) | instid1(VALU_DEP_2)
	v_fma_f32 v24, -v22, v21, v19
	v_fma_f32 v25, -v23, v21, v19
	s_delay_alu instid0(VALU_DEP_2) | instskip(NEXT) | instid1(VALU_DEP_1)
	v_cmp_ge_f32_e64 s5, 0, v24
	v_cndmask_b32_e64 v21, v21, v22, s5
	s_delay_alu instid0(VALU_DEP_3) | instskip(NEXT) | instid1(VALU_DEP_1)
	v_cmp_lt_f32_e64 s5, 0, v25
	v_cndmask_b32_e64 v21, v21, v23, s5
	s_delay_alu instid0(VALU_DEP_1) | instskip(NEXT) | instid1(VALU_DEP_1)
	v_mul_f32_e32 v22, 0x37800000, v21
	v_cndmask_b32_e32 v21, v21, v22, vcc_lo
	v_cmp_class_f32_e64 vcc_lo, v19, 0x260
	s_delay_alu instid0(VALU_DEP_2) | instskip(SKIP_1) | instid1(VALU_DEP_2)
	v_cndmask_b32_e32 v19, v21, v19, vcc_lo
	v_cmp_le_f32_e32 vcc_lo, 0, v20
	v_cndmask_b32_e64 v19, v19, -v19, vcc_lo
	s_delay_alu instid0(VALU_DEP_1) | instskip(SKIP_2) | instid1(VALU_DEP_3)
	v_dual_sub_f32 v21, v20, v19 :: v_dual_sub_f32 v20, v19, v20
	v_div_scale_f32 v22, null, v19, v19, -v3
	v_div_scale_f32 v30, s5, -v3, v19, -v3
	v_div_scale_f32 v23, null, v19, v19, v20
	s_delay_alu instid0(VALU_DEP_3) | instskip(SKIP_1) | instid1(VALU_DEP_2)
	v_rcp_f32_e32 v26, v22
	v_div_scale_f32 v31, s6, v20, v19, v20
	v_rcp_f32_e32 v27, v23
	s_waitcnt_depctr 0xfff
	v_fma_f32 v33, -v22, v26, 1.0
	v_fma_f32 v34, -v23, v27, 1.0
	v_fmac_f32_e32 v4, v21, v21
	s_delay_alu instid0(VALU_DEP_2) | instskip(NEXT) | instid1(VALU_DEP_2)
	v_dual_fmac_f32 v26, v33, v26 :: v_dual_fmac_f32 v27, v34, v27
	v_div_scale_f32 v24, null, v4, v4, v21
	v_div_scale_f32 v25, null, v4, v4, -v3
	v_div_scale_f32 v32, vcc_lo, v21, v4, v21
	s_delay_alu instid0(VALU_DEP_3) | instskip(NEXT) | instid1(VALU_DEP_2)
	v_rcp_f32_e32 v28, v24
	v_rcp_f32_e32 v29, v25
	v_div_scale_f32 v37, s7, -v3, v4, -v3
	s_waitcnt_depctr 0xfff
	v_fma_f32 v35, -v24, v28, 1.0
	v_fma_f32 v36, -v25, v29, 1.0
	s_delay_alu instid0(VALU_DEP_2) | instskip(NEXT) | instid1(VALU_DEP_1)
	v_fmac_f32_e32 v28, v35, v28
	v_mul_f32_e32 v34, v32, v28
	s_delay_alu instid0(VALU_DEP_1) | instskip(NEXT) | instid1(VALU_DEP_1)
	v_fma_f32 v39, -v24, v34, v32
	v_dual_fmac_f32 v29, v36, v29 :: v_dual_fmac_f32 v34, v39, v28
	s_delay_alu instid0(VALU_DEP_1) | instskip(NEXT) | instid1(VALU_DEP_2)
	v_dual_mul_f32 v33, v30, v26 :: v_dual_mul_f32 v36, v37, v29
	v_fma_f32 v24, -v24, v34, v32
	s_delay_alu instid0(VALU_DEP_2) | instskip(NEXT) | instid1(VALU_DEP_3)
	v_fma_f32 v38, -v22, v33, v30
	v_fma_f32 v41, -v25, v36, v37
	v_mul_f32_e32 v35, v31, v27
	s_delay_alu instid0(VALU_DEP_4) | instskip(NEXT) | instid1(VALU_DEP_3)
	v_div_fmas_f32 v24, v24, v28, v34
	v_dual_fmac_f32 v33, v38, v26 :: v_dual_fmac_f32 v36, v41, v29
	s_delay_alu instid0(VALU_DEP_3) | instskip(SKIP_1) | instid1(VALU_DEP_3)
	v_fma_f32 v40, -v23, v35, v31
	s_mov_b32 vcc_lo, s7
	v_div_fixup_f32 v21, v24, v4, v21
	s_delay_alu instid0(VALU_DEP_3) | instskip(SKIP_2) | instid1(VALU_DEP_2)
	v_fma_f32 v22, -v22, v33, v30
	v_fma_f32 v25, -v25, v36, v37
	v_fmac_f32_e32 v35, v40, v27
	v_div_fmas_f32 v25, v25, v29, v36
	s_delay_alu instid0(VALU_DEP_2) | instskip(SKIP_1) | instid1(VALU_DEP_1)
	v_fma_f32 v23, -v23, v35, v31
	s_mov_b32 vcc_lo, s6
	v_div_fmas_f32 v23, v23, v27, v35
	s_mov_b32 vcc_lo, s5
	v_div_fmas_f32 v26, v22, v26, v33
	s_and_b32 vcc_lo, exec_lo, s23
	s_delay_alu instid0(VALU_DEP_2) | instskip(SKIP_1) | instid1(VALU_DEP_3)
	v_div_fixup_f32 v22, v23, v19, v20
	v_div_fixup_f32 v20, v25, v4, -v3
	v_div_fixup_f32 v23, v26, v19, -v3
	ds_store_b64 v2, v[22:23]
	s_cbranch_vccz .LBB126_67
; %bb.35:                               ;   in Loop: Header=BB126_19 Depth=1
	v_mov_b32_e32 v3, s21
	global_store_b32 v2, v19, s[10:11]
	ds_store_b32 v3, v18
	s_cbranch_execnz .LBB126_37
.LBB126_36:                             ;   in Loop: Header=BB126_19 Depth=1
	v_mov_b32_e32 v3, s21
	ds_store_b32 v3, v19
.LBB126_37:                             ;   in Loop: Header=BB126_19 Depth=1
	s_or_b32 s31, s31, exec_lo
.LBB126_38:                             ;   in Loop: Header=BB126_19 Depth=1
	s_or_b32 exec_lo, exec_lo, s34
	v_dual_mov_b32 v3, s33 :: v_dual_mov_b32 v4, s30
	s_and_saveexec_b32 s5, s31
	s_cbranch_execz .LBB126_40
; %bb.39:                               ;   in Loop: Header=BB126_19 Depth=1
	v_dual_mov_b32 v19, s21 :: v_dual_mov_b32 v4, v20
	v_mov_b32_e32 v3, v21
	ds_store_b32 v19, v2 offset:4
.LBB126_40:                             ;   in Loop: Header=BB126_19 Depth=1
	s_or_b32 exec_lo, exec_lo, s5
	ds_load_b64 v[19:20], v2
	s_lshl_b64 s[6:7], s[8:9], 3
	v_mov_b32_e32 v21, s22
	s_add_u32 s6, s15, s6
	s_addc_u32 s7, s19, s7
	ds_store_b64 v21, v[3:4] offset:8
	s_waitcnt lgkmcnt(1)
	global_store_b64 v2, v[19:20], s[6:7]
.LBB126_41:                             ;   in Loop: Header=BB126_19 Depth=1
	s_or_b32 exec_lo, exec_lo, s29
	s_waitcnt lgkmcnt(0)
	s_waitcnt_vscnt null, 0x0
	s_barrier
	buffer_gl0_inv
	s_and_saveexec_b32 s5, s4
	s_cbranch_execz .LBB126_44
; %bb.42:                               ;   in Loop: Header=BB126_19 Depth=1
	v_dual_mov_b32 v3, v14 :: v_dual_mov_b32 v4, v0
	s_mov_b32 s4, 0
	.p2align	6
.LBB126_43:                             ;   Parent Loop BB126_19 Depth=1
                                        ; =>  This Inner Loop Header: Depth=2
	s_delay_alu instid0(VALU_DEP_1)
	v_dual_mov_b32 v21, s22 :: v_dual_add_nc_u32 v4, 0x100, v4
	ds_load_b64 v[19:20], v3
	ds_load_b64 v[21:22], v21 offset:8
	v_cmp_le_i32_e32 vcc_lo, s28, v4
	s_or_b32 s4, vcc_lo, s4
	s_waitcnt lgkmcnt(0)
	v_mul_f32_e32 v23, v22, v20
	v_mul_f32_e32 v24, v21, v20
	s_delay_alu instid0(VALU_DEP_2) | instskip(NEXT) | instid1(VALU_DEP_2)
	v_fma_f32 v23, v21, v19, -v23
	v_fmac_f32_e32 v24, v22, v19
	ds_store_b64 v3, v[23:24]
	v_add_nc_u32_e32 v3, 0x800, v3
	s_and_not1_b32 exec_lo, exec_lo, s4
	s_cbranch_execnz .LBB126_43
.LBB126_44:                             ;   in Loop: Header=BB126_19 Depth=1
	s_or_b32 exec_lo, exec_lo, s5
	s_waitcnt lgkmcnt(0)
	s_barrier
	buffer_gl0_inv
	s_and_saveexec_b32 s4, s3
	s_cbranch_execz .LBB126_51
; %bb.45:                               ;   in Loop: Header=BB126_19 Depth=1
	v_dual_mov_b32 v3, v15 :: v_dual_mov_b32 v4, v0
	s_mov_b32 s5, 0
	s_set_inst_prefetch_distance 0x1
	.p2align	6
.LBB126_46:                             ;   Parent Loop BB126_19 Depth=1
                                        ; =>  This Loop Header: Depth=2
                                        ;       Child Loop BB126_47 Depth 3
	v_dual_mov_b32 v19, 0 :: v_dual_mov_b32 v20, 0
	s_delay_alu instid0(VALU_DEP_2)
	v_mov_b32_e32 v21, v3
	s_mov_b32 s6, s21
	s_mov_b32 s7, 0
	.p2align	6
.LBB126_47:                             ;   Parent Loop BB126_19 Depth=1
                                        ;     Parent Loop BB126_46 Depth=2
                                        ; =>    This Inner Loop Header: Depth=3
	v_mov_b32_e32 v24, s6
	s_add_i32 s7, s7, 1
	s_add_i32 s6, s6, 8
	s_cmp_ge_i32 s7, s27
	ds_load_b64 v[22:23], v21
	ds_load_b64 v[24:25], v24
	s_waitcnt lgkmcnt(0)
	v_dual_mul_f32 v26, v25, v23 :: v_dual_add_nc_u32 v21, s20, v21
	v_mul_f32_e32 v23, v24, v23
	s_delay_alu instid0(VALU_DEP_2) | instskip(NEXT) | instid1(VALU_DEP_1)
	v_fma_f32 v24, v24, v22, -v26
	v_dual_fmac_f32 v23, v25, v22 :: v_dual_add_f32 v20, v20, v24
	s_delay_alu instid0(VALU_DEP_1)
	v_add_f32_e32 v19, v19, v23
	s_cbranch_scc0 .LBB126_47
; %bb.48:                               ;   in Loop: Header=BB126_46 Depth=2
	ds_load_b64 v[21:22], v2
	v_lshl_add_u32 v24, v4, 3, s26
	v_add_nc_u32_e32 v4, 0x100, v4
	v_add_nc_u32_e32 v3, 0x800, v3
	s_waitcnt lgkmcnt(0)
	v_mul_f32_e32 v25, v19, v22
	v_mul_f32_e32 v23, v20, v22
	v_cmp_le_i32_e32 vcc_lo, s27, v4
	s_delay_alu instid0(VALU_DEP_3) | instskip(NEXT) | instid1(VALU_DEP_3)
	v_fma_f32 v22, v20, v21, -v25
	v_fmac_f32_e32 v23, v19, v21
	s_or_b32 s5, vcc_lo, s5
	ds_store_b64 v24, v[22:23]
	s_and_not1_b32 exec_lo, exec_lo, s5
	s_cbranch_execnz .LBB126_46
; %bb.49:                               ;   in Loop: Header=BB126_19 Depth=1
	s_set_inst_prefetch_distance 0x2
	s_or_b32 exec_lo, exec_lo, s5
	v_mov_b32_e32 v3, v0
	s_mov_b32 s5, 0
	s_mov_b32 s6, 0
.LBB126_50:                             ;   Parent Loop BB126_19 Depth=1
                                        ; =>  This Inner Loop Header: Depth=2
	s_delay_alu instid0(SALU_CYCLE_1) | instskip(NEXT) | instid1(VALU_DEP_2)
	v_add_nc_u32_e32 v4, s6, v12
	v_add_nc_u32_e32 v3, 0x100, v3
	ds_load_b64 v[19:20], v4
	v_cmp_le_i32_e32 vcc_lo, s27, v3
	v_add_nc_u32_e32 v4, s6, v13
	s_addk_i32 s6, 0x800
	s_or_b32 s5, vcc_lo, s5
	s_waitcnt lgkmcnt(0)
	ds_store_b64 v4, v[19:20]
	s_and_not1_b32 exec_lo, exec_lo, s5
	s_cbranch_execnz .LBB126_50
.LBB126_51:                             ;   in Loop: Header=BB126_19 Depth=1
	s_or_b32 exec_lo, exec_lo, s4
	v_dual_mov_b32 v3, 0 :: v_dual_mov_b32 v4, 0
	s_waitcnt lgkmcnt(0)
	s_barrier
	buffer_gl0_inv
	s_and_saveexec_b32 s4, s3
	s_cbranch_execz .LBB126_55
; %bb.52:                               ;   in Loop: Header=BB126_19 Depth=1
	v_dual_mov_b32 v3, 0 :: v_dual_mov_b32 v20, v16
	v_dual_mov_b32 v19, v12 :: v_dual_mov_b32 v4, 0
	v_mov_b32_e32 v21, v0
	s_mov_b32 s5, 0
	.p2align	6
.LBB126_53:                             ;   Parent Loop BB126_19 Depth=1
                                        ; =>  This Inner Loop Header: Depth=2
	ds_load_b64 v[22:23], v20
	ds_load_b64 v[24:25], v19
	s_waitcnt lgkmcnt(0)
	v_dual_mul_f32 v26, v23, v25 :: v_dual_add_nc_u32 v19, 0x800, v19
	s_delay_alu instid0(VALU_DEP_1) | instskip(SKIP_1) | instid1(VALU_DEP_2)
	v_dual_fmac_f32 v26, v22, v24 :: v_dual_add_nc_u32 v21, 0x100, v21
	v_mul_f32_e32 v23, v23, v24
	v_cmp_le_i32_e32 vcc_lo, s27, v21
	s_delay_alu instid0(VALU_DEP_3) | instskip(NEXT) | instid1(VALU_DEP_3)
	v_add_f32_e32 v4, v4, v26
	v_fma_f32 v22, v22, v25, -v23
	v_add_nc_u32_e32 v20, 0x800, v20
	s_or_b32 s5, vcc_lo, s5
	s_delay_alu instid0(VALU_DEP_2)
	v_add_f32_e32 v3, v3, v22
	s_and_not1_b32 exec_lo, exec_lo, s5
	s_cbranch_execnz .LBB126_53
; %bb.54:                               ;   in Loop: Header=BB126_19 Depth=1
	s_or_b32 exec_lo, exec_lo, s5
.LBB126_55:                             ;   in Loop: Header=BB126_19 Depth=1
	s_delay_alu instid0(SALU_CYCLE_1)
	s_or_b32 exec_lo, exec_lo, s4
	ds_bpermute_b32 v19, v7, v4
	ds_bpermute_b32 v20, v7, v3
	s_waitcnt lgkmcnt(0)
	v_dual_add_f32 v4, v4, v19 :: v_dual_add_f32 v3, v3, v20
	ds_bpermute_b32 v19, v8, v4
	ds_bpermute_b32 v20, v8, v3
	s_waitcnt lgkmcnt(0)
	v_dual_add_f32 v4, v4, v19 :: v_dual_add_f32 v3, v3, v20
	;; [unrolled: 4-line block ×5, first 2 shown]
	s_and_saveexec_b32 s4, s0
	s_cbranch_execz .LBB126_57
; %bb.56:                               ;   in Loop: Header=BB126_19 Depth=1
	ds_store_2addr_b32 v17, v3, v4 offset0:2 offset1:3
.LBB126_57:                             ;   in Loop: Header=BB126_19 Depth=1
	s_or_b32 exec_lo, exec_lo, s4
	s_waitcnt lgkmcnt(0)
	s_barrier
	buffer_gl0_inv
	s_and_saveexec_b32 s4, s1
	s_cbranch_execz .LBB126_59
; %bb.58:                               ;   in Loop: Header=BB126_19 Depth=1
	v_mov_b32_e32 v33, s22
	ds_load_2addr_b64 v[19:22], v33 offset0:2 offset1:3
	ds_load_2addr_b64 v[23:26], v33 offset0:4 offset1:5
	;; [unrolled: 1-line block ×3, first 2 shown]
	ds_load_b64 v[31:32], v2
	s_waitcnt lgkmcnt(3)
	v_dual_add_f32 v4, v4, v20 :: v_dual_add_f32 v3, v3, v19
	s_delay_alu instid0(VALU_DEP_1) | instskip(SKIP_4) | instid1(VALU_DEP_1)
	v_dual_add_f32 v19, v4, v22 :: v_dual_add_f32 v20, v3, v21
	ds_load_b64 v[3:4], v33 offset:64
	s_waitcnt lgkmcnt(1)
	v_mul_f32_e32 v21, -0.5, v32
	v_dual_add_f32 v19, v19, v24 :: v_dual_add_f32 v20, v20, v23
	v_dual_add_f32 v20, v20, v25 :: v_dual_add_f32 v19, v19, v26
	s_delay_alu instid0(VALU_DEP_1) | instskip(NEXT) | instid1(VALU_DEP_1)
	v_dual_add_f32 v20, v20, v27 :: v_dual_add_f32 v19, v19, v28
	v_dual_add_f32 v20, v20, v29 :: v_dual_add_f32 v19, v19, v30
	s_waitcnt lgkmcnt(0)
	s_delay_alu instid0(VALU_DEP_1) | instskip(NEXT) | instid1(VALU_DEP_2)
	v_add_f32_e32 v3, v20, v3
	v_dual_mul_f32 v20, -0.5, v31 :: v_dual_add_f32 v19, v19, v4
	s_delay_alu instid0(VALU_DEP_1) | instskip(NEXT) | instid1(VALU_DEP_3)
	v_mul_f32_e32 v22, v19, v21
	v_mul_f32_e32 v4, v3, v21
	s_delay_alu instid0(VALU_DEP_2) | instskip(NEXT) | instid1(VALU_DEP_2)
	v_fma_f32 v3, v3, v20, -v22
	v_fmac_f32_e32 v4, v19, v20
	ds_store_b64 v33, v[3:4] offset:8
.LBB126_59:                             ;   in Loop: Header=BB126_19 Depth=1
	s_or_b32 exec_lo, exec_lo, s4
	s_waitcnt lgkmcnt(0)
	s_barrier
	buffer_gl0_inv
	s_and_saveexec_b32 s4, s3
	s_cbranch_execz .LBB126_62
; %bb.60:                               ;   in Loop: Header=BB126_19 Depth=1
	v_mov_b32_e32 v3, v12
	v_mov_b32_e32 v4, v16
	;; [unrolled: 1-line block ×3, first 2 shown]
	s_mov_b32 s5, 0
	.p2align	6
.LBB126_61:                             ;   Parent Loop BB126_19 Depth=1
                                        ; =>  This Inner Loop Header: Depth=2
	s_delay_alu instid0(VALU_DEP_1)
	v_dual_mov_b32 v22, s22 :: v_dual_add_nc_u32 v19, 0x100, v19
	ds_load_b64 v[20:21], v3
	ds_load_b64 v[22:23], v22 offset:8
	ds_load_b64 v[24:25], v4
	v_add_nc_u32_e32 v3, 0x800, v3
	v_cmp_le_i32_e32 vcc_lo, s27, v19
	s_or_b32 s5, vcc_lo, s5
	s_waitcnt lgkmcnt(1)
	v_mul_f32_e32 v26, v21, v23
	v_mul_f32_e32 v23, v20, v23
	s_delay_alu instid0(VALU_DEP_2) | instskip(SKIP_1) | instid1(VALU_DEP_1)
	v_fma_f32 v20, v20, v22, -v26
	s_waitcnt lgkmcnt(0)
	v_dual_fmac_f32 v23, v21, v22 :: v_dual_add_f32 v20, v24, v20
	s_delay_alu instid0(VALU_DEP_1)
	v_add_f32_e32 v21, v25, v23
	ds_store_b64 v4, v[20:21]
	v_add_nc_u32_e32 v4, 0x800, v4
	s_and_not1_b32 exec_lo, exec_lo, s5
	s_cbranch_execnz .LBB126_61
.LBB126_62:                             ;   in Loop: Header=BB126_19 Depth=1
	s_or_b32 exec_lo, exec_lo, s4
	s_waitcnt lgkmcnt(0)
	s_barrier
	buffer_gl0_inv
	s_and_saveexec_b32 s4, s3
	s_cbranch_execz .LBB126_18
; %bb.63:                               ;   in Loop: Header=BB126_19 Depth=1
	v_dual_mov_b32 v3, v15 :: v_dual_mov_b32 v4, v0
	s_mov_b32 s3, 0
.LBB126_64:                             ;   Parent Loop BB126_19 Depth=1
                                        ; =>  This Loop Header: Depth=2
                                        ;       Child Loop BB126_65 Depth 3
	s_delay_alu instid0(VALU_DEP_1) | instskip(SKIP_3) | instid1(VALU_DEP_1)
	v_dual_mov_b32 v21, v3 :: v_dual_lshlrev_b32 v20, 3, v4
	s_mov_b32 s5, s26
	s_mov_b32 s6, s21
	;; [unrolled: 1-line block ×3, first 2 shown]
	v_add_nc_u32_e32 v19, s21, v20
	v_add_nc_u32_e32 v20, s26, v20
	s_set_inst_prefetch_distance 0x1
	.p2align	6
.LBB126_65:                             ;   Parent Loop BB126_19 Depth=1
                                        ;     Parent Loop BB126_64 Depth=2
                                        ; =>    This Inner Loop Header: Depth=3
	v_mov_b32_e32 v26, s5
	v_mov_b32_e32 v28, s6
	s_add_i32 s7, s7, 1
	ds_load_b64 v[22:23], v19
	ds_load_b64 v[24:25], v20
	;; [unrolled: 1-line block ×5, first 2 shown]
	s_add_i32 s6, s6, 8
	s_add_i32 s5, s5, 8
	s_cmp_ge_i32 s7, s27
	s_waitcnt lgkmcnt(2)
	v_mul_f32_e32 v32, v27, v23
	v_mul_f32_e32 v27, v27, v22
	s_waitcnt lgkmcnt(1)
	v_mul_f32_e32 v33, v29, v25
	s_delay_alu instid0(VALU_DEP_3) | instskip(NEXT) | instid1(VALU_DEP_3)
	v_dual_mul_f32 v29, v29, v24 :: v_dual_fmac_f32 v32, v26, v22
	v_fma_f32 v22, v26, v23, -v27
	s_delay_alu instid0(VALU_DEP_3) | instskip(NEXT) | instid1(VALU_DEP_3)
	v_fmac_f32_e32 v33, v28, v24
	v_fma_f32 v23, v28, v25, -v29
	s_waitcnt lgkmcnt(0)
	s_delay_alu instid0(VALU_DEP_3) | instskip(NEXT) | instid1(VALU_DEP_1)
	v_dual_sub_f32 v24, v30, v32 :: v_dual_sub_f32 v25, v31, v22
	v_dual_sub_f32 v22, v24, v33 :: v_dual_sub_f32 v23, v25, v23
	ds_store_b64 v21, v[22:23]
	v_add_nc_u32_e32 v21, s20, v21
	s_cbranch_scc0 .LBB126_65
; %bb.66:                               ;   in Loop: Header=BB126_64 Depth=2
	s_set_inst_prefetch_distance 0x2
	v_add_nc_u32_e32 v4, 0x100, v4
	v_add_nc_u32_e32 v3, 0x800, v3
	s_delay_alu instid0(VALU_DEP_2) | instskip(SKIP_1) | instid1(SALU_CYCLE_1)
	v_cmp_le_i32_e32 vcc_lo, s27, v4
	s_or_b32 s3, vcc_lo, s3
	s_and_not1_b32 exec_lo, exec_lo, s3
	s_cbranch_execnz .LBB126_64
	s_branch .LBB126_18
.LBB126_67:                             ;   in Loop: Header=BB126_19 Depth=1
	s_branch .LBB126_36
.LBB126_68:
	s_and_saveexec_b32 s0, s2
	s_cbranch_execz .LBB126_76
; %bb.69:
	v_mul_lo_u32 v0, s12, v5
	v_mad_u64_u32 v[2:3], null, s16, v5, v[1:2]
	v_cmp_gt_u32_e32 vcc_lo, s12, v5
	s_lshl_b32 s1, s16, 1
	s_mov_b32 s2, 0
	s_lshl_b32 s3, s12, 4
	s_delay_alu instid0(VALU_DEP_3) | instskip(NEXT) | instid1(VALU_DEP_1)
	v_lshl_add_u32 v0, v0, 3, v6
	v_add3_u32 v0, v0, 0, 8
	s_set_inst_prefetch_distance 0x1
	s_branch .LBB126_71
	.p2align	6
.LBB126_70:                             ;   in Loop: Header=BB126_71 Depth=1
	s_or_b32 exec_lo, exec_lo, s4
	v_add_nc_u32_e32 v1, 0x80, v1
	v_add_nc_u32_e32 v2, 0x80, v2
	;; [unrolled: 1-line block ×3, first 2 shown]
	s_delay_alu instid0(VALU_DEP_3) | instskip(NEXT) | instid1(VALU_DEP_1)
	v_cmp_le_i32_e64 s0, s12, v1
	s_or_b32 s2, s0, s2
	s_delay_alu instid0(SALU_CYCLE_1)
	s_and_not1_b32 exec_lo, exec_lo, s2
	s_cbranch_execz .LBB126_76
.LBB126_71:                             ; =>This Loop Header: Depth=1
                                        ;     Child Loop BB126_74 Depth 2
	s_and_saveexec_b32 s4, vcc_lo
	s_cbranch_execz .LBB126_70
; %bb.72:                               ;   in Loop: Header=BB126_71 Depth=1
	v_dual_mov_b32 v6, v0 :: v_dual_mov_b32 v3, v2
	v_mov_b32_e32 v7, v5
	s_mov_b32 s5, 0
	s_branch .LBB126_74
	.p2align	6
.LBB126_73:                             ;   in Loop: Header=BB126_74 Depth=2
	s_or_b32 exec_lo, exec_lo, s6
	v_add_nc_u32_e32 v7, 2, v7
	v_add_nc_u32_e32 v3, s1, v3
	;; [unrolled: 1-line block ×3, first 2 shown]
	s_delay_alu instid0(VALU_DEP_3) | instskip(NEXT) | instid1(VALU_DEP_1)
	v_cmp_le_i32_e64 s0, s12, v7
	s_or_b32 s5, s0, s5
	s_delay_alu instid0(SALU_CYCLE_1)
	s_and_not1_b32 exec_lo, exec_lo, s5
	s_cbranch_execz .LBB126_70
.LBB126_74:                             ;   Parent Loop BB126_71 Depth=1
                                        ; =>  This Inner Loop Header: Depth=2
	s_mov_b32 s6, exec_lo
	s_delay_alu instid0(VALU_DEP_1)
	v_cmpx_ge_u32_e64 v1, v7
	s_cbranch_execz .LBB126_73
; %bb.75:                               ;   in Loop: Header=BB126_74 Depth=2
	ds_load_b64 v[8:9], v6
	v_ashrrev_i32_e32 v4, 31, v3
	s_delay_alu instid0(VALU_DEP_1) | instskip(NEXT) | instid1(VALU_DEP_1)
	v_lshlrev_b64 v[10:11], 3, v[3:4]
	v_add_co_u32 v10, s0, s13, v10
	s_delay_alu instid0(VALU_DEP_1)
	v_add_co_ci_u32_e64 v11, s0, s14, v11, s0
	s_waitcnt lgkmcnt(0)
	global_store_b64 v[10:11], v[8:9], off
	s_branch .LBB126_73
.LBB126_76:
	s_set_inst_prefetch_distance 0x2
	s_nop 0
	s_sendmsg sendmsg(MSG_DEALLOC_VGPRS)
	s_endpgm
	.section	.rodata,"a",@progbits
	.p2align	6, 0x0
	.amdhsa_kernel _ZN9rocsolver6v33100L24sytd2_lower_kernel_smallILi256E19rocblas_complex_numIfEifPS3_EEvT1_T3_lS5_lPT2_lS8_lPT0_l
		.amdhsa_group_segment_fixed_size 0
		.amdhsa_private_segment_fixed_size 0
		.amdhsa_kernarg_size 88
		.amdhsa_user_sgpr_count 14
		.amdhsa_user_sgpr_dispatch_ptr 0
		.amdhsa_user_sgpr_queue_ptr 0
		.amdhsa_user_sgpr_kernarg_segment_ptr 1
		.amdhsa_user_sgpr_dispatch_id 0
		.amdhsa_user_sgpr_private_segment_size 0
		.amdhsa_wavefront_size32 1
		.amdhsa_uses_dynamic_stack 0
		.amdhsa_enable_private_segment 0
		.amdhsa_system_sgpr_workgroup_id_x 1
		.amdhsa_system_sgpr_workgroup_id_y 0
		.amdhsa_system_sgpr_workgroup_id_z 1
		.amdhsa_system_sgpr_workgroup_info 0
		.amdhsa_system_vgpr_workitem_id 0
		.amdhsa_next_free_vgpr 42
		.amdhsa_next_free_sgpr 35
		.amdhsa_reserve_vcc 1
		.amdhsa_float_round_mode_32 0
		.amdhsa_float_round_mode_16_64 0
		.amdhsa_float_denorm_mode_32 3
		.amdhsa_float_denorm_mode_16_64 3
		.amdhsa_dx10_clamp 1
		.amdhsa_ieee_mode 1
		.amdhsa_fp16_overflow 0
		.amdhsa_workgroup_processor_mode 1
		.amdhsa_memory_ordered 1
		.amdhsa_forward_progress 0
		.amdhsa_shared_vgpr_count 0
		.amdhsa_exception_fp_ieee_invalid_op 0
		.amdhsa_exception_fp_denorm_src 0
		.amdhsa_exception_fp_ieee_div_zero 0
		.amdhsa_exception_fp_ieee_overflow 0
		.amdhsa_exception_fp_ieee_underflow 0
		.amdhsa_exception_fp_ieee_inexact 0
		.amdhsa_exception_int_div_zero 0
	.end_amdhsa_kernel
	.section	.text._ZN9rocsolver6v33100L24sytd2_lower_kernel_smallILi256E19rocblas_complex_numIfEifPS3_EEvT1_T3_lS5_lPT2_lS8_lPT0_l,"axG",@progbits,_ZN9rocsolver6v33100L24sytd2_lower_kernel_smallILi256E19rocblas_complex_numIfEifPS3_EEvT1_T3_lS5_lPT2_lS8_lPT0_l,comdat
.Lfunc_end126:
	.size	_ZN9rocsolver6v33100L24sytd2_lower_kernel_smallILi256E19rocblas_complex_numIfEifPS3_EEvT1_T3_lS5_lPT2_lS8_lPT0_l, .Lfunc_end126-_ZN9rocsolver6v33100L24sytd2_lower_kernel_smallILi256E19rocblas_complex_numIfEifPS3_EEvT1_T3_lS5_lPT2_lS8_lPT0_l
                                        ; -- End function
	.section	.AMDGPU.csdata,"",@progbits
; Kernel info:
; codeLenInByte = 4296
; NumSgprs: 37
; NumVgprs: 42
; ScratchSize: 0
; MemoryBound: 0
; FloatMode: 240
; IeeeMode: 1
; LDSByteSize: 0 bytes/workgroup (compile time only)
; SGPRBlocks: 4
; VGPRBlocks: 5
; NumSGPRsForWavesPerEU: 37
; NumVGPRsForWavesPerEU: 42
; Occupancy: 16
; WaveLimiterHint : 0
; COMPUTE_PGM_RSRC2:SCRATCH_EN: 0
; COMPUTE_PGM_RSRC2:USER_SGPR: 14
; COMPUTE_PGM_RSRC2:TRAP_HANDLER: 0
; COMPUTE_PGM_RSRC2:TGID_X_EN: 1
; COMPUTE_PGM_RSRC2:TGID_Y_EN: 0
; COMPUTE_PGM_RSRC2:TGID_Z_EN: 1
; COMPUTE_PGM_RSRC2:TIDIG_COMP_CNT: 0
	.section	.text._ZN9rocsolver6v33100L16reset_batch_infoI19rocblas_complex_numIfEiiPS3_EEvT2_lT0_T1_,"axG",@progbits,_ZN9rocsolver6v33100L16reset_batch_infoI19rocblas_complex_numIfEiiPS3_EEvT2_lT0_T1_,comdat
	.globl	_ZN9rocsolver6v33100L16reset_batch_infoI19rocblas_complex_numIfEiiPS3_EEvT2_lT0_T1_ ; -- Begin function _ZN9rocsolver6v33100L16reset_batch_infoI19rocblas_complex_numIfEiiPS3_EEvT2_lT0_T1_
	.p2align	8
	.type	_ZN9rocsolver6v33100L16reset_batch_infoI19rocblas_complex_numIfEiiPS3_EEvT2_lT0_T1_,@function
_ZN9rocsolver6v33100L16reset_batch_infoI19rocblas_complex_numIfEiiPS3_EEvT2_lT0_T1_: ; @_ZN9rocsolver6v33100L16reset_batch_infoI19rocblas_complex_numIfEiiPS3_EEvT2_lT0_T1_
; %bb.0:
	s_clause 0x1
	s_load_b32 s4, s[0:1], 0x24
	s_load_b64 s[2:3], s[0:1], 0x10
	s_waitcnt lgkmcnt(0)
	s_and_b32 s4, s4, 0xffff
	s_delay_alu instid0(SALU_CYCLE_1) | instskip(NEXT) | instid1(VALU_DEP_1)
	v_mad_u64_u32 v[1:2], null, s14, s4, v[0:1]
	v_cmp_gt_i32_e32 vcc_lo, s2, v1
	s_and_saveexec_b32 s2, vcc_lo
	s_cbranch_execz .LBB127_2
; %bb.1:
	s_load_b128 s[4:7], s[0:1], 0x0
	v_ashrrev_i32_e32 v2, 31, v1
	s_ashr_i32 s0, s15, 31
	v_mov_b32_e32 v3, 0
	s_delay_alu instid0(VALU_DEP_2)
	v_lshlrev_b64 v[0:1], 3, v[1:2]
	v_cvt_f32_i32_e32 v2, s3
	s_waitcnt lgkmcnt(0)
	s_mul_i32 s1, s15, s7
	s_mul_hi_u32 s2, s15, s6
	s_mul_i32 s7, s0, s6
	s_add_i32 s1, s2, s1
	s_mul_i32 s0, s15, s6
	s_add_i32 s1, s1, s7
	s_delay_alu instid0(SALU_CYCLE_1) | instskip(NEXT) | instid1(SALU_CYCLE_1)
	s_lshl_b64 s[0:1], s[0:1], 3
	s_add_u32 s0, s4, s0
	s_addc_u32 s1, s5, s1
	v_add_co_u32 v0, vcc_lo, s0, v0
	v_add_co_ci_u32_e32 v1, vcc_lo, s1, v1, vcc_lo
	global_store_b64 v[0:1], v[2:3], off
.LBB127_2:
	s_nop 0
	s_sendmsg sendmsg(MSG_DEALLOC_VGPRS)
	s_endpgm
	.section	.rodata,"a",@progbits
	.p2align	6, 0x0
	.amdhsa_kernel _ZN9rocsolver6v33100L16reset_batch_infoI19rocblas_complex_numIfEiiPS3_EEvT2_lT0_T1_
		.amdhsa_group_segment_fixed_size 0
		.amdhsa_private_segment_fixed_size 0
		.amdhsa_kernarg_size 280
		.amdhsa_user_sgpr_count 14
		.amdhsa_user_sgpr_dispatch_ptr 0
		.amdhsa_user_sgpr_queue_ptr 0
		.amdhsa_user_sgpr_kernarg_segment_ptr 1
		.amdhsa_user_sgpr_dispatch_id 0
		.amdhsa_user_sgpr_private_segment_size 0
		.amdhsa_wavefront_size32 1
		.amdhsa_uses_dynamic_stack 0
		.amdhsa_enable_private_segment 0
		.amdhsa_system_sgpr_workgroup_id_x 1
		.amdhsa_system_sgpr_workgroup_id_y 1
		.amdhsa_system_sgpr_workgroup_id_z 0
		.amdhsa_system_sgpr_workgroup_info 0
		.amdhsa_system_vgpr_workitem_id 0
		.amdhsa_next_free_vgpr 4
		.amdhsa_next_free_sgpr 16
		.amdhsa_reserve_vcc 1
		.amdhsa_float_round_mode_32 0
		.amdhsa_float_round_mode_16_64 0
		.amdhsa_float_denorm_mode_32 3
		.amdhsa_float_denorm_mode_16_64 3
		.amdhsa_dx10_clamp 1
		.amdhsa_ieee_mode 1
		.amdhsa_fp16_overflow 0
		.amdhsa_workgroup_processor_mode 1
		.amdhsa_memory_ordered 1
		.amdhsa_forward_progress 0
		.amdhsa_shared_vgpr_count 0
		.amdhsa_exception_fp_ieee_invalid_op 0
		.amdhsa_exception_fp_denorm_src 0
		.amdhsa_exception_fp_ieee_div_zero 0
		.amdhsa_exception_fp_ieee_overflow 0
		.amdhsa_exception_fp_ieee_underflow 0
		.amdhsa_exception_fp_ieee_inexact 0
		.amdhsa_exception_int_div_zero 0
	.end_amdhsa_kernel
	.section	.text._ZN9rocsolver6v33100L16reset_batch_infoI19rocblas_complex_numIfEiiPS3_EEvT2_lT0_T1_,"axG",@progbits,_ZN9rocsolver6v33100L16reset_batch_infoI19rocblas_complex_numIfEiiPS3_EEvT2_lT0_T1_,comdat
.Lfunc_end127:
	.size	_ZN9rocsolver6v33100L16reset_batch_infoI19rocblas_complex_numIfEiiPS3_EEvT2_lT0_T1_, .Lfunc_end127-_ZN9rocsolver6v33100L16reset_batch_infoI19rocblas_complex_numIfEiiPS3_EEvT2_lT0_T1_
                                        ; -- End function
	.section	.AMDGPU.csdata,"",@progbits
; Kernel info:
; codeLenInByte = 168
; NumSgprs: 18
; NumVgprs: 4
; ScratchSize: 0
; MemoryBound: 0
; FloatMode: 240
; IeeeMode: 1
; LDSByteSize: 0 bytes/workgroup (compile time only)
; SGPRBlocks: 2
; VGPRBlocks: 0
; NumSGPRsForWavesPerEU: 18
; NumVGPRsForWavesPerEU: 4
; Occupancy: 16
; WaveLimiterHint : 0
; COMPUTE_PGM_RSRC2:SCRATCH_EN: 0
; COMPUTE_PGM_RSRC2:USER_SGPR: 14
; COMPUTE_PGM_RSRC2:TRAP_HANDLER: 0
; COMPUTE_PGM_RSRC2:TGID_X_EN: 1
; COMPUTE_PGM_RSRC2:TGID_Y_EN: 1
; COMPUTE_PGM_RSRC2:TGID_Z_EN: 0
; COMPUTE_PGM_RSRC2:TIDIG_COMP_CNT: 0
	.section	.text._ZN9rocsolver6v33100L8set_diagI19rocblas_complex_numIfEifPS3_TnNSt9enable_ifIXaa18rocblas_is_complexIT_Ent18rocblas_is_complexIT1_EEiE4typeELi0EEEvPS7_llT2_lT0_lSC_b,"axG",@progbits,_ZN9rocsolver6v33100L8set_diagI19rocblas_complex_numIfEifPS3_TnNSt9enable_ifIXaa18rocblas_is_complexIT_Ent18rocblas_is_complexIT1_EEiE4typeELi0EEEvPS7_llT2_lT0_lSC_b,comdat
	.globl	_ZN9rocsolver6v33100L8set_diagI19rocblas_complex_numIfEifPS3_TnNSt9enable_ifIXaa18rocblas_is_complexIT_Ent18rocblas_is_complexIT1_EEiE4typeELi0EEEvPS7_llT2_lT0_lSC_b ; -- Begin function _ZN9rocsolver6v33100L8set_diagI19rocblas_complex_numIfEifPS3_TnNSt9enable_ifIXaa18rocblas_is_complexIT_Ent18rocblas_is_complexIT1_EEiE4typeELi0EEEvPS7_llT2_lT0_lSC_b
	.p2align	8
	.type	_ZN9rocsolver6v33100L8set_diagI19rocblas_complex_numIfEifPS3_TnNSt9enable_ifIXaa18rocblas_is_complexIT_Ent18rocblas_is_complexIT1_EEiE4typeELi0EEEvPS7_llT2_lT0_lSC_b,@function
_ZN9rocsolver6v33100L8set_diagI19rocblas_complex_numIfEifPS3_TnNSt9enable_ifIXaa18rocblas_is_complexIT_Ent18rocblas_is_complexIT1_EEiE4typeELi0EEEvPS7_llT2_lT0_lSC_b: ; @_ZN9rocsolver6v33100L8set_diagI19rocblas_complex_numIfEifPS3_TnNSt9enable_ifIXaa18rocblas_is_complexIT_Ent18rocblas_is_complexIT1_EEiE4typeELi0EEEvPS7_llT2_lT0_lSC_b
; %bb.0:
	s_clause 0x1
	s_load_b32 s4, s[0:1], 0x4c
	s_load_b64 s[2:3], s[0:1], 0x38
	v_bfe_u32 v2, v0, 10, 10
	s_waitcnt lgkmcnt(0)
	s_lshr_b32 s4, s4, 16
	s_delay_alu instid0(VALU_DEP_1) | instid1(SALU_CYCLE_1)
	v_mad_u64_u32 v[0:1], null, s15, s4, v[2:3]
	s_delay_alu instid0(VALU_DEP_1)
	v_cmp_gt_i32_e32 vcc_lo, s2, v0
	s_and_saveexec_b32 s2, vcc_lo
	s_cbranch_execz .LBB128_5
; %bb.1:
	s_clause 0x3
	s_load_b32 s2, s[0:1], 0x28
	s_load_b64 s[12:13], s[0:1], 0x30
	s_load_b256 s[4:11], s[0:1], 0x0
	s_load_b64 s[0:1], s[0:1], 0x20
	s_bitcmp1_b32 s3, 0
	s_cselect_b32 s15, -1, 0
	s_ashr_i32 s16, s14, 31
	s_waitcnt lgkmcnt(0)
	v_mad_u64_u32 v[1:2], null, v0, s2, v[0:1]
	s_mul_i32 s2, s14, s13
	s_mul_hi_u32 s3, s14, s12
	s_mul_i32 s13, s16, s12
	s_add_i32 s3, s3, s2
	s_mul_i32 s2, s14, s12
	s_add_i32 s3, s3, s13
	s_delay_alu instid0(VALU_DEP_1)
	v_ashrrev_i32_e32 v2, 31, v1
	s_lshl_b64 s[2:3], s[2:3], 3
	s_mul_i32 s16, s16, s8
	s_add_u32 s2, s10, s2
	s_addc_u32 s3, s11, s3
	v_lshlrev_b64 v[2:3], 3, v[1:2]
	s_lshl_b64 s[0:1], s[0:1], 3
	v_ashrrev_i32_e32 v1, 31, v0
	s_add_u32 s0, s2, s0
	s_addc_u32 s1, s3, s1
	s_delay_alu instid0(VALU_DEP_2)
	v_add_co_u32 v2, vcc_lo, s0, v2
	v_add_co_ci_u32_e32 v3, vcc_lo, s1, v3, vcc_lo
	s_mul_i32 s0, s14, s9
	s_mul_hi_u32 s1, s14, s8
	v_lshlrev_b64 v[0:1], 2, v[0:1]
	global_load_b32 v4, v[2:3], off
	s_add_i32 s1, s1, s0
	s_mul_i32 s0, s14, s8
	s_add_i32 s1, s1, s16
	s_delay_alu instid0(SALU_CYCLE_1) | instskip(NEXT) | instid1(SALU_CYCLE_1)
	s_lshl_b64 s[0:1], s[0:1], 2
	s_add_u32 s2, s4, s0
	s_addc_u32 s3, s5, s1
	s_lshl_b64 s[0:1], s[6:7], 2
	s_delay_alu instid0(SALU_CYCLE_1)
	s_add_u32 s0, s2, s0
	s_addc_u32 s1, s3, s1
	v_add_co_u32 v0, vcc_lo, s0, v0
	v_add_co_ci_u32_e32 v1, vcc_lo, s1, v1, vcc_lo
	s_and_b32 vcc_lo, exec_lo, s15
	s_waitcnt vmcnt(0)
	global_store_b32 v[0:1], v4, off
	s_cbranch_vccnz .LBB128_3
; %bb.2:
	global_load_b32 v5, v[2:3], off offset:4
	s_branch .LBB128_4
.LBB128_3:
	v_dual_mov_b32 v5, 0 :: v_dual_mov_b32 v4, 1.0
.LBB128_4:
	s_waitcnt vmcnt(0)
	global_store_b64 v[2:3], v[4:5], off
.LBB128_5:
	s_nop 0
	s_sendmsg sendmsg(MSG_DEALLOC_VGPRS)
	s_endpgm
	.section	.rodata,"a",@progbits
	.p2align	6, 0x0
	.amdhsa_kernel _ZN9rocsolver6v33100L8set_diagI19rocblas_complex_numIfEifPS3_TnNSt9enable_ifIXaa18rocblas_is_complexIT_Ent18rocblas_is_complexIT1_EEiE4typeELi0EEEvPS7_llT2_lT0_lSC_b
		.amdhsa_group_segment_fixed_size 0
		.amdhsa_private_segment_fixed_size 0
		.amdhsa_kernarg_size 320
		.amdhsa_user_sgpr_count 14
		.amdhsa_user_sgpr_dispatch_ptr 0
		.amdhsa_user_sgpr_queue_ptr 0
		.amdhsa_user_sgpr_kernarg_segment_ptr 1
		.amdhsa_user_sgpr_dispatch_id 0
		.amdhsa_user_sgpr_private_segment_size 0
		.amdhsa_wavefront_size32 1
		.amdhsa_uses_dynamic_stack 0
		.amdhsa_enable_private_segment 0
		.amdhsa_system_sgpr_workgroup_id_x 1
		.amdhsa_system_sgpr_workgroup_id_y 1
		.amdhsa_system_sgpr_workgroup_id_z 0
		.amdhsa_system_sgpr_workgroup_info 0
		.amdhsa_system_vgpr_workitem_id 1
		.amdhsa_next_free_vgpr 6
		.amdhsa_next_free_sgpr 17
		.amdhsa_reserve_vcc 1
		.amdhsa_float_round_mode_32 0
		.amdhsa_float_round_mode_16_64 0
		.amdhsa_float_denorm_mode_32 3
		.amdhsa_float_denorm_mode_16_64 3
		.amdhsa_dx10_clamp 1
		.amdhsa_ieee_mode 1
		.amdhsa_fp16_overflow 0
		.amdhsa_workgroup_processor_mode 1
		.amdhsa_memory_ordered 1
		.amdhsa_forward_progress 0
		.amdhsa_shared_vgpr_count 0
		.amdhsa_exception_fp_ieee_invalid_op 0
		.amdhsa_exception_fp_denorm_src 0
		.amdhsa_exception_fp_ieee_div_zero 0
		.amdhsa_exception_fp_ieee_overflow 0
		.amdhsa_exception_fp_ieee_underflow 0
		.amdhsa_exception_fp_ieee_inexact 0
		.amdhsa_exception_int_div_zero 0
	.end_amdhsa_kernel
	.section	.text._ZN9rocsolver6v33100L8set_diagI19rocblas_complex_numIfEifPS3_TnNSt9enable_ifIXaa18rocblas_is_complexIT_Ent18rocblas_is_complexIT1_EEiE4typeELi0EEEvPS7_llT2_lT0_lSC_b,"axG",@progbits,_ZN9rocsolver6v33100L8set_diagI19rocblas_complex_numIfEifPS3_TnNSt9enable_ifIXaa18rocblas_is_complexIT_Ent18rocblas_is_complexIT1_EEiE4typeELi0EEEvPS7_llT2_lT0_lSC_b,comdat
.Lfunc_end128:
	.size	_ZN9rocsolver6v33100L8set_diagI19rocblas_complex_numIfEifPS3_TnNSt9enable_ifIXaa18rocblas_is_complexIT_Ent18rocblas_is_complexIT1_EEiE4typeELi0EEEvPS7_llT2_lT0_lSC_b, .Lfunc_end128-_ZN9rocsolver6v33100L8set_diagI19rocblas_complex_numIfEifPS3_TnNSt9enable_ifIXaa18rocblas_is_complexIT_Ent18rocblas_is_complexIT1_EEiE4typeELi0EEEvPS7_llT2_lT0_lSC_b
                                        ; -- End function
	.section	.AMDGPU.csdata,"",@progbits
; Kernel info:
; codeLenInByte = 356
; NumSgprs: 19
; NumVgprs: 6
; ScratchSize: 0
; MemoryBound: 0
; FloatMode: 240
; IeeeMode: 1
; LDSByteSize: 0 bytes/workgroup (compile time only)
; SGPRBlocks: 2
; VGPRBlocks: 0
; NumSGPRsForWavesPerEU: 19
; NumVGPRsForWavesPerEU: 6
; Occupancy: 16
; WaveLimiterHint : 0
; COMPUTE_PGM_RSRC2:SCRATCH_EN: 0
; COMPUTE_PGM_RSRC2:USER_SGPR: 14
; COMPUTE_PGM_RSRC2:TRAP_HANDLER: 0
; COMPUTE_PGM_RSRC2:TGID_X_EN: 1
; COMPUTE_PGM_RSRC2:TGID_Y_EN: 1
; COMPUTE_PGM_RSRC2:TGID_Z_EN: 0
; COMPUTE_PGM_RSRC2:TIDIG_COMP_CNT: 1
	.section	.text._ZN9rocsolver6v33100L11set_taubetaI19rocblas_complex_numIfEifPS3_EEvPT_lS6_T2_llPT1_ll,"axG",@progbits,_ZN9rocsolver6v33100L11set_taubetaI19rocblas_complex_numIfEifPS3_EEvPT_lS6_T2_llPT1_ll,comdat
	.globl	_ZN9rocsolver6v33100L11set_taubetaI19rocblas_complex_numIfEifPS3_EEvPT_lS6_T2_llPT1_ll ; -- Begin function _ZN9rocsolver6v33100L11set_taubetaI19rocblas_complex_numIfEifPS3_EEvPT_lS6_T2_llPT1_ll
	.p2align	8
	.type	_ZN9rocsolver6v33100L11set_taubetaI19rocblas_complex_numIfEifPS3_EEvPT_lS6_T2_llPT1_ll,@function
_ZN9rocsolver6v33100L11set_taubetaI19rocblas_complex_numIfEifPS3_EEvPT_lS6_T2_llPT1_ll: ; @_ZN9rocsolver6v33100L11set_taubetaI19rocblas_complex_numIfEifPS3_EEvPT_lS6_T2_llPT1_ll
; %bb.0:
	s_mov_b32 s2, s15
	s_load_b512 s[4:19], s[0:1], 0x0
	s_ashr_i32 s3, s2, 31
	s_mov_b64 s[20:21], 0
	s_waitcnt lgkmcnt(0)
	s_cmp_eq_u64 s[16:17], 0
	s_cbranch_scc1 .LBB129_2
; %bb.1:
	s_load_b64 s[0:1], s[0:1], 0x40
	s_waitcnt lgkmcnt(0)
	s_mul_i32 s1, s2, s1
	s_mul_hi_u32 s20, s2, s0
	s_mul_i32 s21, s3, s0
	s_add_i32 s1, s20, s1
	s_mul_i32 s0, s2, s0
	s_add_i32 s1, s1, s21
	s_delay_alu instid0(SALU_CYCLE_1) | instskip(NEXT) | instid1(SALU_CYCLE_1)
	s_lshl_b64 s[0:1], s[0:1], 2
	s_add_u32 s16, s16, s0
	s_addc_u32 s17, s17, s1
	s_lshl_b64 s[0:1], s[18:19], 2
	s_delay_alu instid0(SALU_CYCLE_1)
	s_add_u32 s20, s16, s0
	s_addc_u32 s21, s17, s1
.LBB129_2:
	s_mul_i32 s0, s2, s15
	s_mul_hi_u32 s1, s2, s14
	s_mul_i32 s15, s3, s14
	s_add_i32 s1, s1, s0
	s_mul_i32 s0, s2, s14
	s_add_i32 s1, s1, s15
	s_mul_i32 s7, s2, s7
	s_lshl_b64 s[0:1], s[0:1], 3
	s_delay_alu instid0(SALU_CYCLE_1) | instskip(SKIP_2) | instid1(SALU_CYCLE_1)
	s_add_u32 s10, s10, s0
	s_addc_u32 s11, s11, s1
	s_lshl_b64 s[0:1], s[12:13], 3
	s_add_u32 s10, s10, s0
	s_mul_hi_u32 s0, s2, s6
	s_addc_u32 s11, s11, s1
	s_add_i32 s0, s0, s7
	s_mul_i32 s1, s3, s6
	s_delay_alu instid0(SALU_CYCLE_1) | instskip(SKIP_1) | instid1(SALU_CYCLE_1)
	s_add_i32 s1, s0, s1
	s_mul_i32 s0, s2, s6
	s_lshl_b64 s[0:1], s[0:1], 3
	s_delay_alu instid0(SALU_CYCLE_1)
	s_add_u32 s4, s4, s0
	s_addc_u32 s5, s5, s1
	s_lshl_b64 s[0:1], s[2:3], 3
	s_mov_b32 s2, -1
	s_add_u32 s6, s8, s0
	s_addc_u32 s7, s9, s1
	s_load_b32 s3, s[10:11], 0x4
	s_load_b32 s0, s[6:7], 0x0
	s_cmp_lg_u64 s[20:21], 0
	s_mov_b32 s1, 0
	s_cselect_b32 s8, -1, 0
	s_waitcnt lgkmcnt(0)
	v_mul_f32_e64 v2, s3, s3
	v_max_f32_e64 v0, s0, s0
	s_delay_alu instid0(VALU_DEP_1) | instskip(NEXT) | instid1(VALU_DEP_1)
	v_max_f32_e32 v0, v0, v2
	v_cmp_nlt_f32_e32 vcc_lo, 0, v0
	s_cbranch_vccz .LBB129_5
; %bb.3:
	v_dual_mov_b32 v1, 0 :: v_dual_mov_b32 v0, 1.0
	s_mov_b32 s2, 0
	s_and_b32 vcc_lo, exec_lo, s8
	s_delay_alu instid0(VALU_DEP_1)
	v_mov_b32_e32 v3, v1
	v_mov_b32_e32 v4, v1
	s_clause 0x1
	global_store_b64 v1, v[0:1], s[6:7]
	global_store_b64 v1, v[3:4], s[4:5]
	s_cbranch_vccz .LBB129_5
; %bb.4:
	global_load_b32 v5, v1, s[10:11]
	v_dual_mov_b32 v3, s20 :: v_dual_mov_b32 v4, s21
	s_mov_b32 s1, -1
	s_waitcnt vmcnt(0)
	flat_store_b32 v[3:4], v5
	global_store_b32 v1, v0, s[10:11]
.LBB129_5:
	s_and_b32 vcc_lo, exec_lo, s2
	s_cbranch_vccnz .LBB129_8
; %bb.6:
	s_and_not1_b32 vcc_lo, exec_lo, s1
	s_cbranch_vccz .LBB129_13
; %bb.7:
	s_endpgm
.LBB129_8:
	s_load_b32 s1, s[10:11], 0x0
	s_waitcnt lgkmcnt(0)
	v_fma_f32 v0, s1, s1, v2
	s_delay_alu instid0(VALU_DEP_1) | instskip(NEXT) | instid1(VALU_DEP_1)
	v_add_f32_e32 v0, s0, v0
	v_mul_f32_e32 v1, 0x4f800000, v0
	v_cmp_gt_f32_e32 vcc_lo, 0xf800000, v0
	s_delay_alu instid0(VALU_DEP_2) | instskip(NEXT) | instid1(VALU_DEP_1)
	v_cndmask_b32_e32 v0, v0, v1, vcc_lo
	v_sqrt_f32_e32 v1, v0
	s_waitcnt_depctr 0xfff
	v_add_nc_u32_e32 v3, -1, v1
	v_add_nc_u32_e32 v4, 1, v1
	s_delay_alu instid0(VALU_DEP_2) | instskip(NEXT) | instid1(VALU_DEP_2)
	v_fma_f32 v5, -v3, v1, v0
	v_fma_f32 v6, -v4, v1, v0
	s_delay_alu instid0(VALU_DEP_2) | instskip(NEXT) | instid1(VALU_DEP_1)
	v_cmp_ge_f32_e64 s0, 0, v5
	v_cndmask_b32_e64 v1, v1, v3, s0
	s_delay_alu instid0(VALU_DEP_3) | instskip(NEXT) | instid1(VALU_DEP_1)
	v_cmp_lt_f32_e64 s0, 0, v6
	v_cndmask_b32_e64 v1, v1, v4, s0
	v_cmp_ge_f32_e64 s0, s1, 0
	s_delay_alu instid0(VALU_DEP_2) | instskip(NEXT) | instid1(VALU_DEP_1)
	v_mul_f32_e32 v3, 0x37800000, v1
	v_cndmask_b32_e32 v1, v1, v3, vcc_lo
	v_cmp_class_f32_e64 vcc_lo, v0, 0x260
	s_delay_alu instid0(VALU_DEP_2) | instskip(NEXT) | instid1(VALU_DEP_1)
	v_cndmask_b32_e32 v0, v1, v0, vcc_lo
	v_cndmask_b32_e64 v0, v0, -v0, s0
	s_delay_alu instid0(VALU_DEP_1) | instskip(SKIP_2) | instid1(VALU_DEP_3)
	v_sub_f32_e32 v3, s1, v0
	v_div_scale_f32 v1, null, v0, v0, -s3
	v_div_scale_f32 v12, s0, -s3, v0, -s3
	v_fmac_f32_e32 v2, v3, v3
	s_delay_alu instid0(VALU_DEP_3) | instskip(NEXT) | instid1(VALU_DEP_1)
	v_rcp_f32_e32 v8, v1
	v_div_scale_f32 v6, null, v2, v2, v3
	v_div_scale_f32 v7, null, v2, v2, -s3
	v_div_scale_f32 v14, vcc_lo, v3, v2, v3
	s_delay_alu instid0(VALU_DEP_3) | instskip(NEXT) | instid1(VALU_DEP_2)
	v_rcp_f32_e32 v10, v6
	v_rcp_f32_e32 v11, v7
	s_delay_alu instid0(TRANS32_DEP_3)
	v_fma_f32 v15, -v1, v8, 1.0
	v_div_scale_f32 v19, s2, -s3, v2, -s3
	s_waitcnt_depctr 0xfff
	v_fma_f32 v17, -v6, v10, 1.0
	v_subrev_f32_e32 v5, s1, v0
	v_fma_f32 v18, -v7, v11, 1.0
	s_delay_alu instid0(VALU_DEP_3) | instskip(NEXT) | instid1(VALU_DEP_3)
	v_fmac_f32_e32 v10, v17, v10
	v_div_scale_f32 v4, null, v0, v0, v5
	v_div_scale_f32 v13, s1, v5, v0, v5
	s_delay_alu instid0(VALU_DEP_2) | instskip(SKIP_2) | instid1(VALU_DEP_1)
	v_rcp_f32_e32 v9, v4
	s_waitcnt_depctr 0xfff
	v_fma_f32 v16, -v4, v9, 1.0
	v_dual_fmac_f32 v8, v15, v8 :: v_dual_fmac_f32 v9, v16, v9
	s_delay_alu instid0(VALU_DEP_1) | instskip(NEXT) | instid1(VALU_DEP_1)
	v_dual_mul_f32 v15, v12, v8 :: v_dual_mul_f32 v16, v14, v10
	v_fma_f32 v20, -v1, v15, v12
	s_delay_alu instid0(VALU_DEP_2) | instskip(NEXT) | instid1(VALU_DEP_1)
	v_fma_f32 v21, -v6, v16, v14
	v_dual_fmac_f32 v11, v18, v11 :: v_dual_fmac_f32 v16, v21, v10
	s_delay_alu instid0(VALU_DEP_1) | instskip(NEXT) | instid1(VALU_DEP_2)
	v_dual_mul_f32 v17, v13, v9 :: v_dual_mul_f32 v18, v19, v11
	v_fma_f32 v6, -v6, v16, v14
	s_delay_alu instid0(VALU_DEP_2) | instskip(NEXT) | instid1(VALU_DEP_3)
	v_fma_f32 v22, -v4, v17, v13
	v_fma_f32 v23, -v7, v18, v19
	v_fmac_f32_e32 v15, v20, v8
	s_delay_alu instid0(VALU_DEP_4) | instskip(NEXT) | instid1(VALU_DEP_3)
	v_div_fmas_f32 v6, v6, v10, v16
	v_dual_fmac_f32 v17, v22, v9 :: v_dual_fmac_f32 v18, v23, v11
	s_mov_b32 vcc_lo, s2
	s_delay_alu instid0(VALU_DEP_3) | instskip(NEXT) | instid1(VALU_DEP_3)
	v_fma_f32 v1, -v1, v15, v12
	v_div_fixup_f32 v3, v6, v2, v3
	s_delay_alu instid0(VALU_DEP_3) | instskip(SKIP_1) | instid1(VALU_DEP_1)
	v_fma_f32 v4, -v4, v17, v13
	v_fma_f32 v7, -v7, v18, v19
	v_div_fmas_f32 v7, v7, v11, v18
	s_mov_b32 vcc_lo, s1
	s_delay_alu instid0(VALU_DEP_3) | instskip(SKIP_1) | instid1(VALU_DEP_2)
	v_div_fmas_f32 v9, v4, v9, v17
	s_mov_b32 vcc_lo, s0
	v_div_fixup_f32 v4, v7, v2, -s3
	v_div_fmas_f32 v8, v1, v8, v15
	v_mov_b32_e32 v1, 0
	v_div_fixup_f32 v5, v9, v0, v5
	s_mov_b32 s0, -1
	s_and_b32 vcc_lo, exec_lo, s8
	v_div_fixup_f32 v6, v8, v0, -s3
	s_clause 0x1
	global_store_b64 v1, v[3:4], s[6:7]
	global_store_b64 v1, v[5:6], s[4:5]
	s_cbranch_vccz .LBB129_10
; %bb.9:
	v_dual_mov_b32 v2, s20 :: v_dual_mov_b32 v3, s21
	v_mov_b32_e32 v4, 1.0
	s_mov_b32 s0, 0
	flat_store_b32 v[2:3], v0
	s_waitcnt lgkmcnt(0)
	global_store_b32 v1, v4, s[10:11]
.LBB129_10:
	s_and_not1_b32 vcc_lo, exec_lo, s0
	s_cbranch_vccnz .LBB129_12
; %bb.11:
	v_mov_b32_e32 v1, 0
	global_store_b32 v1, v0, s[10:11]
.LBB129_12:
.LBB129_13:
	v_mov_b32_e32 v0, 0
	global_store_b32 v0, v0, s[10:11] offset:4
	s_endpgm
	.section	.rodata,"a",@progbits
	.p2align	6, 0x0
	.amdhsa_kernel _ZN9rocsolver6v33100L11set_taubetaI19rocblas_complex_numIfEifPS3_EEvPT_lS6_T2_llPT1_ll
		.amdhsa_group_segment_fixed_size 0
		.amdhsa_private_segment_fixed_size 0
		.amdhsa_kernarg_size 72
		.amdhsa_user_sgpr_count 15
		.amdhsa_user_sgpr_dispatch_ptr 0
		.amdhsa_user_sgpr_queue_ptr 0
		.amdhsa_user_sgpr_kernarg_segment_ptr 1
		.amdhsa_user_sgpr_dispatch_id 0
		.amdhsa_user_sgpr_private_segment_size 0
		.amdhsa_wavefront_size32 1
		.amdhsa_uses_dynamic_stack 0
		.amdhsa_enable_private_segment 0
		.amdhsa_system_sgpr_workgroup_id_x 1
		.amdhsa_system_sgpr_workgroup_id_y 0
		.amdhsa_system_sgpr_workgroup_id_z 0
		.amdhsa_system_sgpr_workgroup_info 0
		.amdhsa_system_vgpr_workitem_id 0
		.amdhsa_next_free_vgpr 24
		.amdhsa_next_free_sgpr 22
		.amdhsa_reserve_vcc 1
		.amdhsa_float_round_mode_32 0
		.amdhsa_float_round_mode_16_64 0
		.amdhsa_float_denorm_mode_32 3
		.amdhsa_float_denorm_mode_16_64 3
		.amdhsa_dx10_clamp 1
		.amdhsa_ieee_mode 1
		.amdhsa_fp16_overflow 0
		.amdhsa_workgroup_processor_mode 1
		.amdhsa_memory_ordered 1
		.amdhsa_forward_progress 0
		.amdhsa_shared_vgpr_count 0
		.amdhsa_exception_fp_ieee_invalid_op 0
		.amdhsa_exception_fp_denorm_src 0
		.amdhsa_exception_fp_ieee_div_zero 0
		.amdhsa_exception_fp_ieee_overflow 0
		.amdhsa_exception_fp_ieee_underflow 0
		.amdhsa_exception_fp_ieee_inexact 0
		.amdhsa_exception_int_div_zero 0
	.end_amdhsa_kernel
	.section	.text._ZN9rocsolver6v33100L11set_taubetaI19rocblas_complex_numIfEifPS3_EEvPT_lS6_T2_llPT1_ll,"axG",@progbits,_ZN9rocsolver6v33100L11set_taubetaI19rocblas_complex_numIfEifPS3_EEvPT_lS6_T2_llPT1_ll,comdat
.Lfunc_end129:
	.size	_ZN9rocsolver6v33100L11set_taubetaI19rocblas_complex_numIfEifPS3_EEvPT_lS6_T2_llPT1_ll, .Lfunc_end129-_ZN9rocsolver6v33100L11set_taubetaI19rocblas_complex_numIfEifPS3_EEvPT_lS6_T2_llPT1_ll
                                        ; -- End function
	.section	.AMDGPU.csdata,"",@progbits
; Kernel info:
; codeLenInByte = 1052
; NumSgprs: 24
; NumVgprs: 24
; ScratchSize: 0
; MemoryBound: 0
; FloatMode: 240
; IeeeMode: 1
; LDSByteSize: 0 bytes/workgroup (compile time only)
; SGPRBlocks: 2
; VGPRBlocks: 2
; NumSGPRsForWavesPerEU: 24
; NumVGPRsForWavesPerEU: 24
; Occupancy: 16
; WaveLimiterHint : 0
; COMPUTE_PGM_RSRC2:SCRATCH_EN: 0
; COMPUTE_PGM_RSRC2:USER_SGPR: 15
; COMPUTE_PGM_RSRC2:TRAP_HANDLER: 0
; COMPUTE_PGM_RSRC2:TGID_X_EN: 1
; COMPUTE_PGM_RSRC2:TGID_Y_EN: 0
; COMPUTE_PGM_RSRC2:TGID_Z_EN: 0
; COMPUTE_PGM_RSRC2:TIDIG_COMP_CNT: 0
	.section	.text._ZN9rocsolver6v33100L20latrd_dot_scale_axpyILi64E19rocblas_complex_numIfEiPS3_EEvT1_T2_llPT0_llS8_l,"axG",@progbits,_ZN9rocsolver6v33100L20latrd_dot_scale_axpyILi64E19rocblas_complex_numIfEiPS3_EEvT1_T2_llPT0_llS8_l,comdat
	.globl	_ZN9rocsolver6v33100L20latrd_dot_scale_axpyILi64E19rocblas_complex_numIfEiPS3_EEvT1_T2_llPT0_llS8_l ; -- Begin function _ZN9rocsolver6v33100L20latrd_dot_scale_axpyILi64E19rocblas_complex_numIfEiPS3_EEvT1_T2_llPT0_llS8_l
	.p2align	8
	.type	_ZN9rocsolver6v33100L20latrd_dot_scale_axpyILi64E19rocblas_complex_numIfEiPS3_EEvT1_T2_llPT0_llS8_l,@function
_ZN9rocsolver6v33100L20latrd_dot_scale_axpyILi64E19rocblas_complex_numIfEiPS3_EEvT1_T2_llPT0_llS8_l: ; @_ZN9rocsolver6v33100L20latrd_dot_scale_axpyILi64E19rocblas_complex_numIfEiPS3_EEvT1_T2_llPT0_llS8_l
; %bb.0:
	s_clause 0x1
	s_load_b32 s6, s[0:1], 0x0
	s_load_b512 s[16:31], s[0:1], 0x8
	v_dual_mov_b32 v10, 0 :: v_dual_lshlrev_b32 v9, 3, v0
	v_mov_b32_e32 v11, 0
	s_ashr_i32 s13, s15, 31
	s_waitcnt lgkmcnt(0)
	v_cmp_gt_i32_e32 vcc_lo, s6, v0
	s_mul_i32 s7, s20, s13
	s_mul_hi_u32 s9, s20, s15
	s_mul_i32 s8, s21, s15
	s_mul_i32 s2, s20, s15
	;; [unrolled: 1-line block ×3, first 2 shown]
	s_mul_hi_u32 s11, s26, s15
	s_mul_i32 s12, s27, s15
	s_mul_i32 s4, s26, s15
	s_and_saveexec_b32 s14, vcc_lo
	s_cbranch_execz .LBB130_6
; %bb.1:
	s_add_i32 s0, s9, s7
	v_dual_mov_b32 v13, v0 :: v_dual_lshlrev_b32 v12, 3, v0
	s_add_i32 s3, s0, s8
	s_lshl_b64 s[0:1], s[18:19], 3
	s_lshl_b64 s[20:21], s[2:3], 3
	v_dual_mov_b32 v10, 0 :: v_dual_mov_b32 v11, 0
	s_add_u32 s0, s20, s0
	s_addc_u32 s1, s21, s1
	s_add_u32 s3, s16, s0
	s_addc_u32 s26, s17, s1
	s_add_i32 s0, s11, s10
	s_delay_alu instid0(SALU_CYCLE_1) | instskip(SKIP_2) | instid1(SALU_CYCLE_1)
	s_add_i32 s5, s0, s12
	s_lshl_b64 s[0:1], s[24:25], 3
	s_lshl_b64 s[20:21], s[4:5], 3
	s_add_u32 s0, s20, s0
	s_addc_u32 s1, s21, s1
	s_add_u32 s0, s22, s0
	s_addc_u32 s1, s23, s1
	v_add_co_u32 v3, s0, s0, v12
	s_delay_alu instid0(VALU_DEP_1) | instskip(SKIP_1) | instid1(VALU_DEP_1)
	v_add_co_ci_u32_e64 v4, null, s1, 0, s0
	v_add_co_u32 v1, s0, s3, v12
	v_add_co_ci_u32_e64 v2, null, s26, 0, s0
	s_delay_alu instid0(VALU_DEP_4) | instskip(NEXT) | instid1(VALU_DEP_1)
	v_add_co_u32 v3, s0, v3, 4
	v_add_co_ci_u32_e64 v4, s0, 0, v4, s0
	s_mov_b32 s3, 0
	s_set_inst_prefetch_distance 0x1
	s_branch .LBB130_3
	.p2align	6
.LBB130_2:                              ;   in Loop: Header=BB130_3 Depth=1
	s_or_b32 exec_lo, exec_lo, s1
	s_waitcnt vmcnt(0)
	v_dual_mul_f32 v14, v8, v6 :: v_dual_add_nc_u32 v13, 64, v13
	v_add_co_u32 v1, s0, 0x200, v1
	s_delay_alu instid0(VALU_DEP_1) | instskip(NEXT) | instid1(VALU_DEP_3)
	v_add_co_ci_u32_e64 v2, s0, 0, v2, s0
	v_fmac_f32_e32 v14, v5, v7
	v_mul_f32_e32 v8, v5, v8
	v_cmp_le_i32_e64 s0, s6, v13
	v_add_co_u32 v3, s1, 0x200, v3
	s_delay_alu instid0(VALU_DEP_4) | instskip(NEXT) | instid1(VALU_DEP_4)
	v_add_f32_e32 v11, v11, v14
	v_fma_f32 v5, v7, v6, -v8
	v_add_co_ci_u32_e64 v4, s1, 0, v4, s1
	v_add_nc_u32_e32 v12, 0x200, v12
	s_or_b32 s3, s0, s3
	s_delay_alu instid0(VALU_DEP_3)
	v_add_f32_e32 v10, v10, v5
	s_and_not1_b32 exec_lo, exec_lo, s3
	s_cbranch_execz .LBB130_5
.LBB130_3:                              ; =>This Inner Loop Header: Depth=1
	global_load_b64 v[5:6], v[1:2], off
	global_load_b64 v[7:8], v[3:4], off offset:-4
	s_mov_b32 s1, exec_lo
	v_cmpx_gt_u32_e32 64, v13
	s_cbranch_execz .LBB130_2
; %bb.4:                                ;   in Loop: Header=BB130_3 Depth=1
	s_waitcnt vmcnt(0)
	ds_store_2addr_stride64_b64 v12, v[5:6], v[7:8] offset1:1
	s_branch .LBB130_2
.LBB130_5:
	s_set_inst_prefetch_distance 0x2
	s_or_b32 exec_lo, exec_lo, s3
.LBB130_6:
	s_delay_alu instid0(SALU_CYCLE_1) | instskip(SKIP_2) | instid1(VALU_DEP_1)
	s_or_b32 exec_lo, exec_lo, s14
	v_mbcnt_lo_u32_b32 v1, -1, 0
	s_mov_b32 s1, exec_lo
	v_cmp_ne_u32_e64 s0, 31, v1
	s_delay_alu instid0(VALU_DEP_1) | instskip(SKIP_1) | instid1(VALU_DEP_2)
	v_add_co_ci_u32_e64 v2, s0, 0, v1, s0
	v_cmp_gt_u32_e64 s0, 30, v1
	v_lshlrev_b32_e32 v2, 2, v2
	s_delay_alu instid0(VALU_DEP_2) | instskip(SKIP_4) | instid1(VALU_DEP_2)
	v_cndmask_b32_e64 v4, 0, 1, s0
	v_cmp_gt_u32_e64 s0, 28, v1
	ds_bpermute_b32 v3, v2, v11
	v_cndmask_b32_e64 v6, 0, 1, s0
	v_cmp_gt_u32_e64 s0, 24, v1
	v_lshlrev_b32_e32 v6, 2, v6
	s_delay_alu instid0(VALU_DEP_1)
	v_add_lshl_u32 v6, v6, v1, 2
	s_waitcnt lgkmcnt(0)
	v_dual_add_f32 v3, v11, v3 :: v_dual_lshlrev_b32 v4, 1, v4
	ds_bpermute_b32 v2, v2, v10
	v_add_lshl_u32 v4, v4, v1, 2
	ds_bpermute_b32 v5, v4, v3
	s_waitcnt lgkmcnt(0)
	v_dual_add_f32 v3, v3, v5 :: v_dual_add_f32 v2, v10, v2
	ds_bpermute_b32 v4, v4, v2
	s_waitcnt lgkmcnt(0)
	v_add_f32_e32 v2, v2, v4
	ds_bpermute_b32 v4, v6, v3
	ds_bpermute_b32 v5, v6, v2
	v_cndmask_b32_e64 v6, 0, 1, s0
	v_cmp_gt_u32_e64 s0, 16, v1
	s_delay_alu instid0(VALU_DEP_2) | instskip(NEXT) | instid1(VALU_DEP_1)
	v_lshlrev_b32_e32 v6, 3, v6
	v_add_lshl_u32 v6, v6, v1, 2
	s_waitcnt lgkmcnt(0)
	v_dual_add_f32 v3, v3, v4 :: v_dual_add_f32 v2, v2, v5
	ds_bpermute_b32 v4, v6, v3
	ds_bpermute_b32 v5, v6, v2
	v_cndmask_b32_e64 v6, 0, 1, s0
	s_delay_alu instid0(VALU_DEP_1) | instskip(NEXT) | instid1(VALU_DEP_1)
	v_lshlrev_b32_e32 v6, 4, v6
	v_add_lshl_u32 v1, v6, v1, 2
	v_and_b32_e32 v6, 31, v0
	s_waitcnt lgkmcnt(0)
	v_dual_add_f32 v3, v3, v4 :: v_dual_add_f32 v2, v2, v5
	ds_bpermute_b32 v4, v1, v3
	ds_bpermute_b32 v5, v1, v2
	s_waitcnt lgkmcnt(0)
	v_dual_add_f32 v1, v3, v4 :: v_dual_add_f32 v2, v2, v5
	v_cmpx_eq_u32_e32 0, v6
	s_cbranch_execz .LBB130_8
; %bb.7:
	v_lshrrev_b32_e32 v3, 2, v0
	ds_store_b64 v3, v[1:2] offset:1024
.LBB130_8:
	s_or_b32 exec_lo, exec_lo, s1
	s_delay_alu instid0(SALU_CYCLE_1)
	s_mov_b32 s1, exec_lo
	s_waitcnt lgkmcnt(0)
	s_barrier
	buffer_gl0_inv
	v_cmpx_eq_u32_e32 0, v0
	s_cbranch_execz .LBB130_10
; %bb.9:
	s_mul_i32 s0, s15, s31
	s_mul_hi_u32 s3, s15, s30
	s_mul_i32 s5, s13, s30
	s_add_i32 s0, s3, s0
	s_mul_i32 s20, s15, s30
	s_add_i32 s21, s0, s5
	v_mov_b32_e32 v5, 0
	s_lshl_b64 s[14:15], s[20:21], 3
	s_delay_alu instid0(SALU_CYCLE_1)
	s_add_u32 s14, s28, s14
	s_addc_u32 s15, s29, s15
	ds_load_b64 v[3:4], v5 offset:1032
	s_load_b64 s[14:15], s[14:15], 0x0
	s_waitcnt lgkmcnt(0)
	v_add_f32_e32 v4, v2, v4
	v_mul_f32_e64 v2, s15, -0.5
	v_add_f32_e32 v1, v1, v3
	v_mul_f32_e64 v3, s14, -0.5
	s_delay_alu instid0(VALU_DEP_3) | instskip(NEXT) | instid1(VALU_DEP_3)
	v_mul_f32_e32 v6, v4, v2
	v_mul_f32_e32 v2, v1, v2
	s_delay_alu instid0(VALU_DEP_2) | instskip(NEXT) | instid1(VALU_DEP_2)
	v_fma_f32 v1, v1, v3, -v6
	v_fmac_f32_e32 v2, v4, v3
	ds_store_b64 v5, v[1:2] offset:1024
.LBB130_10:
	s_or_b32 exec_lo, exec_lo, s1
	s_waitcnt lgkmcnt(0)
	s_barrier
	buffer_gl0_inv
	s_and_saveexec_b32 s0, vcc_lo
	s_cbranch_execz .LBB130_17
; %bb.11:
	s_add_i32 s0, s11, s10
	v_mov_b32_e32 v1, 0
	s_add_i32 s5, s0, s12
	s_lshl_b64 s[0:1], s[24:25], 3
	s_lshl_b64 s[4:5], s[4:5], 3
	ds_load_b64 v[1:2], v1 offset:1024
	s_add_u32 s0, s4, s0
	s_addc_u32 s1, s5, s1
	s_add_u32 s4, s22, s0
	s_addc_u32 s5, s23, s1
	s_add_i32 s0, s9, s7
	v_add_co_u32 v3, s4, s4, v9
	s_add_i32 s3, s0, s8
	s_lshl_b64 s[0:1], s[18:19], 3
	s_lshl_b64 s[2:3], s[2:3], 3
	v_add_co_ci_u32_e64 v4, null, s5, 0, s4
	s_add_u32 s0, s2, s0
	s_addc_u32 s1, s3, s1
	s_add_u32 s0, s16, s0
	s_addc_u32 s1, s17, s1
	v_add_co_u32 v5, s0, s0, v9
	s_delay_alu instid0(VALU_DEP_1) | instskip(SKIP_2) | instid1(VALU_DEP_4)
	v_add_co_ci_u32_e64 v6, null, s1, 0, s0
	v_add_co_u32 v3, vcc_lo, v3, 4
	v_add_co_ci_u32_e32 v4, vcc_lo, 0, v4, vcc_lo
	v_add_co_u32 v5, vcc_lo, v5, 4
	s_delay_alu instid0(VALU_DEP_4)
	v_add_co_ci_u32_e32 v6, vcc_lo, 0, v6, vcc_lo
	s_mov_b32 s1, 0
	s_branch .LBB130_13
.LBB130_12:                             ;   in Loop: Header=BB130_13 Depth=1
	s_or_b32 exec_lo, exec_lo, s0
	v_add_nc_u32_e32 v0, 64, v0
	global_store_b32 v[3:4], v7, off
	v_add_co_u32 v3, vcc_lo, 0x200, v3
	v_add_co_ci_u32_e32 v4, vcc_lo, 0, v4, vcc_lo
	v_cmp_le_i32_e32 vcc_lo, s6, v0
	v_add_co_u32 v5, s0, 0x200, v5
	v_add_nc_u32_e32 v9, 0x200, v9
	v_add_co_ci_u32_e64 v6, s0, 0, v6, s0
	s_or_b32 s1, vcc_lo, s1
	s_delay_alu instid0(SALU_CYCLE_1)
	s_and_not1_b32 exec_lo, exec_lo, s1
	s_cbranch_execz .LBB130_17
.LBB130_13:                             ; =>This Inner Loop Header: Depth=1
	s_mov_b32 s0, exec_lo
                                        ; implicit-def: $vgpr7
	v_cmpx_lt_u32_e32 63, v0
	s_xor_b32 s0, exec_lo, s0
	s_cbranch_execz .LBB130_15
; %bb.14:                               ;   in Loop: Header=BB130_13 Depth=1
	global_load_b64 v[7:8], v[5:6], off offset:-4
	global_load_b64 v[10:11], v[3:4], off offset:-4
	s_waitcnt vmcnt(1) lgkmcnt(0)
	v_mul_f32_e32 v13, v7, v2
	s_delay_alu instid0(VALU_DEP_1) | instskip(SKIP_1) | instid1(VALU_DEP_1)
	v_fmac_f32_e32 v13, v8, v1
	v_mul_f32_e32 v12, v8, v2
	v_fma_f32 v7, v7, v1, -v12
	s_waitcnt vmcnt(0)
	s_delay_alu instid0(VALU_DEP_1)
	v_dual_add_f32 v8, v7, v10 :: v_dual_add_f32 v7, v13, v11
	global_store_b32 v[3:4], v8, off offset:-4
.LBB130_15:                             ;   in Loop: Header=BB130_13 Depth=1
	s_and_not1_saveexec_b32 s0, s0
	s_cbranch_execz .LBB130_12
; %bb.16:                               ;   in Loop: Header=BB130_13 Depth=1
	ds_load_2addr_stride64_b64 v[10:13], v9 offset1:1
	s_waitcnt lgkmcnt(0)
	v_mul_f32_e32 v7, v11, v2
	v_mul_f32_e32 v8, v10, v2
	s_delay_alu instid0(VALU_DEP_2) | instskip(NEXT) | instid1(VALU_DEP_2)
	v_fma_f32 v7, v10, v1, -v7
	v_fmac_f32_e32 v8, v11, v1
	s_delay_alu instid0(VALU_DEP_1)
	v_dual_add_f32 v10, v7, v12 :: v_dual_add_f32 v7, v8, v13
	global_store_b32 v[3:4], v10, off offset:-4
	s_branch .LBB130_12
.LBB130_17:
	s_nop 0
	s_sendmsg sendmsg(MSG_DEALLOC_VGPRS)
	s_endpgm
	.section	.rodata,"a",@progbits
	.p2align	6, 0x0
	.amdhsa_kernel _ZN9rocsolver6v33100L20latrd_dot_scale_axpyILi64E19rocblas_complex_numIfEiPS3_EEvT1_T2_llPT0_llS8_l
		.amdhsa_group_segment_fixed_size 1040
		.amdhsa_private_segment_fixed_size 0
		.amdhsa_kernarg_size 72
		.amdhsa_user_sgpr_count 14
		.amdhsa_user_sgpr_dispatch_ptr 0
		.amdhsa_user_sgpr_queue_ptr 0
		.amdhsa_user_sgpr_kernarg_segment_ptr 1
		.amdhsa_user_sgpr_dispatch_id 0
		.amdhsa_user_sgpr_private_segment_size 0
		.amdhsa_wavefront_size32 1
		.amdhsa_uses_dynamic_stack 0
		.amdhsa_enable_private_segment 0
		.amdhsa_system_sgpr_workgroup_id_x 1
		.amdhsa_system_sgpr_workgroup_id_y 0
		.amdhsa_system_sgpr_workgroup_id_z 1
		.amdhsa_system_sgpr_workgroup_info 0
		.amdhsa_system_vgpr_workitem_id 0
		.amdhsa_next_free_vgpr 15
		.amdhsa_next_free_sgpr 32
		.amdhsa_reserve_vcc 1
		.amdhsa_float_round_mode_32 0
		.amdhsa_float_round_mode_16_64 0
		.amdhsa_float_denorm_mode_32 3
		.amdhsa_float_denorm_mode_16_64 3
		.amdhsa_dx10_clamp 1
		.amdhsa_ieee_mode 1
		.amdhsa_fp16_overflow 0
		.amdhsa_workgroup_processor_mode 1
		.amdhsa_memory_ordered 1
		.amdhsa_forward_progress 0
		.amdhsa_shared_vgpr_count 0
		.amdhsa_exception_fp_ieee_invalid_op 0
		.amdhsa_exception_fp_denorm_src 0
		.amdhsa_exception_fp_ieee_div_zero 0
		.amdhsa_exception_fp_ieee_overflow 0
		.amdhsa_exception_fp_ieee_underflow 0
		.amdhsa_exception_fp_ieee_inexact 0
		.amdhsa_exception_int_div_zero 0
	.end_amdhsa_kernel
	.section	.text._ZN9rocsolver6v33100L20latrd_dot_scale_axpyILi64E19rocblas_complex_numIfEiPS3_EEvT1_T2_llPT0_llS8_l,"axG",@progbits,_ZN9rocsolver6v33100L20latrd_dot_scale_axpyILi64E19rocblas_complex_numIfEiPS3_EEvT1_T2_llPT0_llS8_l,comdat
.Lfunc_end130:
	.size	_ZN9rocsolver6v33100L20latrd_dot_scale_axpyILi64E19rocblas_complex_numIfEiPS3_EEvT1_T2_llPT0_llS8_l, .Lfunc_end130-_ZN9rocsolver6v33100L20latrd_dot_scale_axpyILi64E19rocblas_complex_numIfEiPS3_EEvT1_T2_llPT0_llS8_l
                                        ; -- End function
	.section	.AMDGPU.csdata,"",@progbits
; Kernel info:
; codeLenInByte = 1328
; NumSgprs: 34
; NumVgprs: 15
; ScratchSize: 0
; MemoryBound: 0
; FloatMode: 240
; IeeeMode: 1
; LDSByteSize: 1040 bytes/workgroup (compile time only)
; SGPRBlocks: 4
; VGPRBlocks: 1
; NumSGPRsForWavesPerEU: 34
; NumVGPRsForWavesPerEU: 15
; Occupancy: 16
; WaveLimiterHint : 0
; COMPUTE_PGM_RSRC2:SCRATCH_EN: 0
; COMPUTE_PGM_RSRC2:USER_SGPR: 14
; COMPUTE_PGM_RSRC2:TRAP_HANDLER: 0
; COMPUTE_PGM_RSRC2:TGID_X_EN: 1
; COMPUTE_PGM_RSRC2:TGID_Y_EN: 0
; COMPUTE_PGM_RSRC2:TGID_Z_EN: 1
; COMPUTE_PGM_RSRC2:TIDIG_COMP_CNT: 0
	.section	.text._ZN9rocsolver6v33100L7set_tauI19rocblas_complex_numIfEEEviPT_S5_l,"axG",@progbits,_ZN9rocsolver6v33100L7set_tauI19rocblas_complex_numIfEEEviPT_S5_l,comdat
	.globl	_ZN9rocsolver6v33100L7set_tauI19rocblas_complex_numIfEEEviPT_S5_l ; -- Begin function _ZN9rocsolver6v33100L7set_tauI19rocblas_complex_numIfEEEviPT_S5_l
	.p2align	8
	.type	_ZN9rocsolver6v33100L7set_tauI19rocblas_complex_numIfEEEviPT_S5_l,@function
_ZN9rocsolver6v33100L7set_tauI19rocblas_complex_numIfEEEviPT_S5_l: ; @_ZN9rocsolver6v33100L7set_tauI19rocblas_complex_numIfEEEviPT_S5_l
; %bb.0:
	s_clause 0x1
	s_load_b32 s2, s[0:1], 0x2c
	s_load_b32 s3, s[0:1], 0x0
	s_waitcnt lgkmcnt(0)
	s_and_b32 s2, s2, 0xffff
	s_delay_alu instid0(SALU_CYCLE_1) | instskip(SKIP_1) | instid1(VALU_DEP_1)
	v_mad_u64_u32 v[1:2], null, s15, s2, v[0:1]
	s_mov_b32 s2, exec_lo
	v_cmpx_gt_i32_e64 s3, v1
	s_cbranch_execz .LBB131_2
; %bb.1:
	s_load_b128 s[4:7], s[0:1], 0x8
	v_ashrrev_i32_e32 v2, 31, v1
	s_load_b64 s[0:1], s[0:1], 0x18
	s_delay_alu instid0(VALU_DEP_1) | instskip(SKIP_1) | instid1(VALU_DEP_1)
	v_lshlrev_b64 v[3:4], 3, v[1:2]
	s_waitcnt lgkmcnt(0)
	v_add_co_u32 v3, vcc_lo, s4, v3
	s_delay_alu instid0(VALU_DEP_2)
	v_add_co_ci_u32_e32 v4, vcc_lo, s5, v4, vcc_lo
	v_mul_lo_u32 v0, v1, s1
	v_mul_lo_u32 v2, v2, s0
	v_mad_u64_u32 v[5:6], null, v1, s0, 0
	global_load_b64 v[3:4], v[3:4], off
	v_add3_u32 v6, v6, v0, v2
	s_delay_alu instid0(VALU_DEP_1) | instskip(NEXT) | instid1(VALU_DEP_1)
	v_lshlrev_b64 v[0:1], 3, v[5:6]
	v_add_co_u32 v0, vcc_lo, s6, v0
	s_delay_alu instid0(VALU_DEP_2)
	v_add_co_ci_u32_e32 v1, vcc_lo, s7, v1, vcc_lo
	s_waitcnt vmcnt(0)
	global_store_b64 v[0:1], v[3:4], off
.LBB131_2:
	s_nop 0
	s_sendmsg sendmsg(MSG_DEALLOC_VGPRS)
	s_endpgm
	.section	.rodata,"a",@progbits
	.p2align	6, 0x0
	.amdhsa_kernel _ZN9rocsolver6v33100L7set_tauI19rocblas_complex_numIfEEEviPT_S5_l
		.amdhsa_group_segment_fixed_size 0
		.amdhsa_private_segment_fixed_size 0
		.amdhsa_kernarg_size 288
		.amdhsa_user_sgpr_count 15
		.amdhsa_user_sgpr_dispatch_ptr 0
		.amdhsa_user_sgpr_queue_ptr 0
		.amdhsa_user_sgpr_kernarg_segment_ptr 1
		.amdhsa_user_sgpr_dispatch_id 0
		.amdhsa_user_sgpr_private_segment_size 0
		.amdhsa_wavefront_size32 1
		.amdhsa_uses_dynamic_stack 0
		.amdhsa_enable_private_segment 0
		.amdhsa_system_sgpr_workgroup_id_x 1
		.amdhsa_system_sgpr_workgroup_id_y 0
		.amdhsa_system_sgpr_workgroup_id_z 0
		.amdhsa_system_sgpr_workgroup_info 0
		.amdhsa_system_vgpr_workitem_id 0
		.amdhsa_next_free_vgpr 7
		.amdhsa_next_free_sgpr 16
		.amdhsa_reserve_vcc 1
		.amdhsa_float_round_mode_32 0
		.amdhsa_float_round_mode_16_64 0
		.amdhsa_float_denorm_mode_32 3
		.amdhsa_float_denorm_mode_16_64 3
		.amdhsa_dx10_clamp 1
		.amdhsa_ieee_mode 1
		.amdhsa_fp16_overflow 0
		.amdhsa_workgroup_processor_mode 1
		.amdhsa_memory_ordered 1
		.amdhsa_forward_progress 0
		.amdhsa_shared_vgpr_count 0
		.amdhsa_exception_fp_ieee_invalid_op 0
		.amdhsa_exception_fp_denorm_src 0
		.amdhsa_exception_fp_ieee_div_zero 0
		.amdhsa_exception_fp_ieee_overflow 0
		.amdhsa_exception_fp_ieee_underflow 0
		.amdhsa_exception_fp_ieee_inexact 0
		.amdhsa_exception_int_div_zero 0
	.end_amdhsa_kernel
	.section	.text._ZN9rocsolver6v33100L7set_tauI19rocblas_complex_numIfEEEviPT_S5_l,"axG",@progbits,_ZN9rocsolver6v33100L7set_tauI19rocblas_complex_numIfEEEviPT_S5_l,comdat
.Lfunc_end131:
	.size	_ZN9rocsolver6v33100L7set_tauI19rocblas_complex_numIfEEEviPT_S5_l, .Lfunc_end131-_ZN9rocsolver6v33100L7set_tauI19rocblas_complex_numIfEEEviPT_S5_l
                                        ; -- End function
	.section	.AMDGPU.csdata,"",@progbits
; Kernel info:
; codeLenInByte = 204
; NumSgprs: 18
; NumVgprs: 7
; ScratchSize: 0
; MemoryBound: 0
; FloatMode: 240
; IeeeMode: 1
; LDSByteSize: 0 bytes/workgroup (compile time only)
; SGPRBlocks: 2
; VGPRBlocks: 0
; NumSGPRsForWavesPerEU: 18
; NumVGPRsForWavesPerEU: 7
; Occupancy: 16
; WaveLimiterHint : 0
; COMPUTE_PGM_RSRC2:SCRATCH_EN: 0
; COMPUTE_PGM_RSRC2:USER_SGPR: 15
; COMPUTE_PGM_RSRC2:TRAP_HANDLER: 0
; COMPUTE_PGM_RSRC2:TGID_X_EN: 1
; COMPUTE_PGM_RSRC2:TGID_Y_EN: 0
; COMPUTE_PGM_RSRC2:TGID_Z_EN: 0
; COMPUTE_PGM_RSRC2:TIDIG_COMP_CNT: 0
	.section	.text._ZN9rocsolver6v33100L24sytd2_upper_kernel_smallILi256E19rocblas_complex_numIfEifPS3_EEvT1_T3_lS5_lPT2_lS8_lPT0_l,"axG",@progbits,_ZN9rocsolver6v33100L24sytd2_upper_kernel_smallILi256E19rocblas_complex_numIfEifPS3_EEvT1_T3_lS5_lPT2_lS8_lPT0_l,comdat
	.globl	_ZN9rocsolver6v33100L24sytd2_upper_kernel_smallILi256E19rocblas_complex_numIfEifPS3_EEvT1_T3_lS5_lPT2_lS8_lPT0_l ; -- Begin function _ZN9rocsolver6v33100L24sytd2_upper_kernel_smallILi256E19rocblas_complex_numIfEifPS3_EEvT1_T3_lS5_lPT2_lS8_lPT0_l
	.p2align	8
	.type	_ZN9rocsolver6v33100L24sytd2_upper_kernel_smallILi256E19rocblas_complex_numIfEifPS3_EEvT1_T3_lS5_lPT2_lS8_lPT0_l,@function
_ZN9rocsolver6v33100L24sytd2_upper_kernel_smallILi256E19rocblas_complex_numIfEifPS3_EEvT1_T3_lS5_lPT2_lS8_lPT0_l: ; @_ZN9rocsolver6v33100L24sytd2_upper_kernel_smallILi256E19rocblas_complex_numIfEifPS3_EEvT1_T3_lS5_lPT2_lS8_lPT0_l
; %bb.0:
	s_clause 0x3
	s_load_b64 s[2:3], s[0:1], 0x20
	s_load_b32 s12, s[0:1], 0x0
	s_load_b128 s[4:7], s[0:1], 0x8
	s_load_b32 s16, s[0:1], 0x18
	s_ashr_i32 s17, s15, 31
	v_and_b32_e32 v1, 0x7f, v0
	v_lshrrev_b32_e32 v5, 7, v0
	s_delay_alu instid0(VALU_DEP_2)
	v_lshlrev_b32_e32 v6, 3, v1
	s_waitcnt lgkmcnt(0)
	s_mul_i32 s3, s15, s3
	s_mul_hi_u32 s8, s15, s2
	s_mul_i32 s9, s17, s2
	s_add_i32 s3, s8, s3
	s_mul_i32 s2, s15, s2
	s_add_i32 s3, s3, s9
	s_delay_alu instid0(SALU_CYCLE_1) | instskip(SKIP_4) | instid1(SALU_CYCLE_1)
	s_lshl_b64 s[8:9], s[2:3], 3
	v_cmp_gt_i32_e64 s2, s12, v1
	s_add_u32 s3, s4, s8
	s_addc_u32 s8, s5, s9
	s_lshl_b64 s[4:5], s[6:7], 3
	s_add_u32 s13, s3, s4
	s_addc_u32 s14, s8, s5
	s_and_saveexec_b32 s4, s2
	s_cbranch_execz .LBB132_6
; %bb.1:
	v_lshrrev_b32_e32 v7, 7, v0
	v_mov_b32_e32 v9, v1
	s_mov_b32 s5, 0
	s_lshl_b32 s6, s12, 4
	s_lshl_b32 s7, s16, 1
	v_mul_lo_u32 v2, s12, v7
	v_cmp_gt_u32_e32 vcc_lo, s12, v7
	s_delay_alu instid0(VALU_DEP_2) | instskip(SKIP_1) | instid1(VALU_DEP_2)
	v_lshl_add_u32 v4, v2, 3, v6
	v_mad_u64_u32 v[2:3], null, s16, v7, v[1:2]
	v_add3_u32 v8, v4, 0, 8
	s_set_inst_prefetch_distance 0x1
	s_branch .LBB132_3
	.p2align	6
.LBB132_2:                              ;   in Loop: Header=BB132_3 Depth=1
	s_or_b32 exec_lo, exec_lo, s8
	v_add_nc_u32_e32 v9, 0x80, v9
	v_add_nc_u32_e32 v8, 0x400, v8
	;; [unrolled: 1-line block ×3, first 2 shown]
	s_delay_alu instid0(VALU_DEP_3) | instskip(NEXT) | instid1(VALU_DEP_1)
	v_cmp_le_i32_e64 s3, s12, v9
	s_or_b32 s5, s3, s5
	s_delay_alu instid0(SALU_CYCLE_1)
	s_and_not1_b32 exec_lo, exec_lo, s5
	s_cbranch_execz .LBB132_6
.LBB132_3:                              ; =>This Loop Header: Depth=1
                                        ;     Child Loop BB132_5 Depth 2
	s_and_saveexec_b32 s8, vcc_lo
	s_cbranch_execz .LBB132_2
; %bb.4:                                ;   in Loop: Header=BB132_3 Depth=1
	s_delay_alu instid0(VALU_DEP_2)
	v_dual_mov_b32 v3, v2 :: v_dual_mov_b32 v10, v8
	v_mov_b32_e32 v11, v7
	s_mov_b32 s9, 0
	.p2align	6
.LBB132_5:                              ;   Parent Loop BB132_3 Depth=1
                                        ; =>  This Inner Loop Header: Depth=2
	s_delay_alu instid0(VALU_DEP_2) | instskip(NEXT) | instid1(VALU_DEP_2)
	v_ashrrev_i32_e32 v4, 31, v3
	v_add_nc_u32_e32 v11, 2, v11
	s_delay_alu instid0(VALU_DEP_2) | instskip(SKIP_1) | instid1(VALU_DEP_2)
	v_lshlrev_b64 v[12:13], 3, v[3:4]
	v_add_nc_u32_e32 v3, s7, v3
	v_add_co_u32 v12, s3, s13, v12
	s_delay_alu instid0(VALU_DEP_1)
	v_add_co_ci_u32_e64 v13, s3, s14, v13, s3
	v_cmp_le_i32_e64 s3, s12, v11
	global_load_b64 v[12:13], v[12:13], off
	s_or_b32 s9, s3, s9
	s_waitcnt vmcnt(0)
	ds_store_b64 v10, v[12:13]
	v_add_nc_u32_e32 v10, s6, v10
	s_and_not1_b32 exec_lo, exec_lo, s9
	s_cbranch_execnz .LBB132_5
	s_branch .LBB132_2
.LBB132_6:
	s_set_inst_prefetch_distance 0x2
	s_or_b32 exec_lo, exec_lo, s4
	s_waitcnt lgkmcnt(0)
	s_barrier
	buffer_gl0_inv
	s_and_saveexec_b32 s4, s2
	s_cbranch_execz .LBB132_16
; %bb.7:
	v_lshrrev_b32_e32 v2, 7, v0
	v_mul_lo_u32 v3, s12, v1
	s_mov_b32 s5, 0
	s_lshl_b32 s6, s12, 10
	s_lshl_b32 s7, s12, 4
	v_mul_lo_u32 v4, s12, v2
	v_lshlrev_b32_e32 v7, 3, v2
	v_cmp_gt_u32_e32 vcc_lo, s12, v2
	s_delay_alu instid0(VALU_DEP_2) | instskip(SKIP_2) | instid1(VALU_DEP_3)
	v_lshl_add_u32 v7, v3, 3, v7
	v_mov_b32_e32 v3, 0
	v_lshl_add_u32 v8, v4, 3, v6
	v_add3_u32 v4, v7, 0, 8
	s_delay_alu instid0(VALU_DEP_2)
	v_add3_u32 v7, v8, 0, 8
	v_mov_b32_e32 v8, v1
	s_branch .LBB132_9
.LBB132_8:                              ;   in Loop: Header=BB132_9 Depth=1
	s_set_inst_prefetch_distance 0x2
	s_or_b32 exec_lo, exec_lo, s8
	v_add_nc_u32_e32 v8, 0x80, v8
	v_add_nc_u32_e32 v4, s6, v4
	;; [unrolled: 1-line block ×3, first 2 shown]
	s_delay_alu instid0(VALU_DEP_3) | instskip(NEXT) | instid1(VALU_DEP_1)
	v_cmp_le_i32_e64 s3, s12, v8
	s_or_b32 s5, s3, s5
	s_delay_alu instid0(SALU_CYCLE_1)
	s_and_not1_b32 exec_lo, exec_lo, s5
	s_cbranch_execz .LBB132_16
.LBB132_9:                              ; =>This Loop Header: Depth=1
                                        ;     Child Loop BB132_12 Depth 2
	s_and_saveexec_b32 s8, vcc_lo
	s_cbranch_execz .LBB132_8
; %bb.10:                               ;   in Loop: Header=BB132_9 Depth=1
	s_delay_alu instid0(VALU_DEP_1) | instskip(SKIP_3) | instid1(VALU_DEP_3)
	v_mul_lo_u32 v9, v8, s12
	v_lshl_add_u32 v11, v8, 3, 0
	v_mov_b32_e32 v10, v4
	s_mov_b32 s9, 0
	v_dual_mov_b32 v9, v7 :: v_dual_lshlrev_b32 v12, 3, v9
	s_delay_alu instid0(VALU_DEP_1)
	v_add3_u32 v11, v11, v12, 4
	v_mov_b32_e32 v12, v2
	s_set_inst_prefetch_distance 0x1
	s_branch .LBB132_12
	.p2align	6
.LBB132_11:                             ;   in Loop: Header=BB132_12 Depth=2
	s_or_b32 exec_lo, exec_lo, s10
	v_add_nc_u32_e32 v12, 2, v12
	v_add_nc_u32_e32 v10, 16, v10
	;; [unrolled: 1-line block ×3, first 2 shown]
	s_delay_alu instid0(VALU_DEP_3) | instskip(NEXT) | instid1(VALU_DEP_1)
	v_cmp_le_i32_e64 s3, s12, v12
	s_or_b32 s9, s3, s9
	s_delay_alu instid0(SALU_CYCLE_1)
	s_and_not1_b32 exec_lo, exec_lo, s9
	s_cbranch_execz .LBB132_8
.LBB132_12:                             ;   Parent Loop BB132_9 Depth=1
                                        ; =>  This Inner Loop Header: Depth=2
	s_mov_b32 s10, exec_lo
	s_delay_alu instid0(VALU_DEP_1)
	v_cmpx_eq_u32_e64 v8, v12
	s_cbranch_execz .LBB132_14
; %bb.13:                               ;   in Loop: Header=BB132_12 Depth=2
	ds_store_b32 v11, v3 offset:8
.LBB132_14:                             ;   in Loop: Header=BB132_12 Depth=2
	s_or_b32 exec_lo, exec_lo, s10
	s_delay_alu instid0(SALU_CYCLE_1)
	s_mov_b32 s10, exec_lo
	v_cmpx_gt_u32_e64 v8, v12
	s_cbranch_execz .LBB132_11
; %bb.15:                               ;   in Loop: Header=BB132_12 Depth=2
	ds_load_b64 v[13:14], v10
	s_waitcnt lgkmcnt(0)
	v_xor_b32_e32 v14, 0x80000000, v14
	ds_store_b64 v9, v[13:14]
	s_branch .LBB132_11
.LBB132_16:
	s_or_b32 exec_lo, exec_lo, s4
	s_cmp_lt_i32 s12, 2
	s_waitcnt lgkmcnt(0)
	s_barrier
	buffer_gl0_inv
	s_cbranch_scc1 .LBB132_68
; %bb.17:
	s_load_b256 s[4:11], s[0:1], 0x38
	v_mbcnt_lo_u32_b32 v2, -1, 0
	s_mul_i32 s3, s12, s12
	v_and_b32_e32 v13, 31, v0
	s_mov_b32 s26, s12
	v_mov_b32_e32 v17, 1.0
	v_cmp_ne_u32_e32 vcc_lo, 31, v2
	v_add_co_ci_u32_e32 v3, vcc_lo, 0, v2, vcc_lo
	v_cmp_gt_u32_e32 vcc_lo, 30, v2
	s_delay_alu instid0(VALU_DEP_2)
	v_lshlrev_b32_e32 v7, 2, v3
	v_cndmask_b32_e64 v4, 0, 1, vcc_lo
	v_cmp_gt_u32_e32 vcc_lo, 28, v2
	s_waitcnt lgkmcnt(0)
	s_mul_i32 s1, s15, s7
	s_mul_hi_u32 s7, s15, s6
	s_mul_i32 s18, s17, s6
	s_add_i32 s1, s7, s1
	s_mul_i32 s0, s15, s6
	s_add_i32 s1, s1, s18
	s_mul_i32 s6, s15, s11
	s_lshl_b64 s[0:1], s[0:1], 2
	s_mul_hi_u32 s7, s15, s10
	v_cndmask_b32_e64 v8, 0, 1, vcc_lo
	v_cmp_gt_u32_e32 vcc_lo, 24, v2
	s_mul_i32 s11, s17, s10
	s_add_u32 s17, s4, s0
	s_addc_u32 s18, s5, s1
	s_add_i32 s1, s7, s6
	s_mul_i32 s0, s15, s10
	s_add_i32 s1, s1, s11
	v_cndmask_b32_e64 v9, 0, 1, vcc_lo
	v_cmp_gt_u32_e32 vcc_lo, 16, v2
	s_lshl_b64 s[0:1], s[0:1], 3
	v_lshlrev_b32_e32 v3, 1, v4
	s_add_u32 s15, s8, s0
	s_addc_u32 s19, s9, s1
	s_lshl_b32 s0, s3, 3
	v_cndmask_b32_e64 v10, 0, 1, vcc_lo
	s_lshl_b32 s20, s12, 3
	s_add_i32 s0, s0, 0
	v_lshlrev_b32_e32 v4, 2, v8
	s_add_i32 s24, s0, s20
	v_add_lshl_u32 v8, v3, v2, 2
	v_lshlrev_b32_e32 v3, 3, v0
	s_add_i32 s21, s0, 8
	s_add_i32 s22, s24, s20
	v_lshlrev_b32_e32 v11, 3, v9
	v_lshlrev_b32_e32 v12, 4, v10
	s_cmp_lg_u64 s[4:5], 0
	v_add_lshl_u32 v9, v4, v2, 2
	s_cselect_b32 s23, -1, 0
	s_add_i32 s3, s12, -1
	v_add_nc_u32_e32 v4, 8, v3
	s_mul_i32 s3, s12, s3
	v_add_lshl_u32 v10, v11, v2, 2
	v_add_lshl_u32 v11, v12, v2, 2
	v_lshrrev_b32_e32 v2, 2, v0
	s_lshl_b32 s3, s3, 3
	s_add_i32 s4, s20, 8
	v_cmp_eq_u32_e64 s0, 0, v13
	v_add3_u32 v13, 0, s3, v4
	s_mul_i32 s3, s12, s4
	v_cmp_eq_u32_e64 s1, 0, v0
	v_add_nc_u32_e32 v12, s21, v3
	v_add_nc_u32_e32 v14, 0, v4
	v_add3_u32 v15, 0, s3, v4
	v_add_nc_u32_e32 v16, s22, v2
	v_mov_b32_e32 v2, 0
	s_add_i32 s24, s24, 8
	s_sub_i32 s25, 0, s20
	s_branch .LBB132_19
.LBB132_18:                             ;   in Loop: Header=BB132_19 Depth=1
	s_or_b32 exec_lo, exec_lo, s4
	v_add_nc_u32_e32 v13, s25, v13
	s_cmp_lt_i32 s26, 3
	s_mov_b32 s26, s27
	s_waitcnt lgkmcnt(0)
	s_barrier
	buffer_gl0_inv
	s_cbranch_scc1 .LBB132_68
.LBB132_19:                             ; =>This Loop Header: Depth=1
                                        ;     Child Loop BB132_21 Depth 2
                                        ;     Child Loop BB132_24 Depth 2
	;; [unrolled: 1-line block ×4, first 2 shown]
                                        ;       Child Loop BB132_47 Depth 3
                                        ;     Child Loop BB132_50 Depth 2
                                        ;     Child Loop BB132_53 Depth 2
	;; [unrolled: 1-line block ×4, first 2 shown]
                                        ;       Child Loop BB132_65 Depth 3
	s_add_i32 s27, s26, -1
	s_delay_alu instid0(SALU_CYCLE_1) | instskip(NEXT) | instid1(VALU_DEP_1)
	v_cmp_gt_i32_e64 s3, s27, v0
	s_and_saveexec_b32 s4, s3
	s_cbranch_execz .LBB132_22
; %bb.20:                               ;   in Loop: Header=BB132_19 Depth=1
	v_dual_mov_b32 v3, v13 :: v_dual_mov_b32 v4, v12
	v_mov_b32_e32 v18, v0
	s_mov_b32 s5, 0
.LBB132_21:                             ;   Parent Loop BB132_19 Depth=1
                                        ; =>  This Inner Loop Header: Depth=2
	ds_load_b64 v[19:20], v3
	v_add_nc_u32_e32 v18, 0x100, v18
	v_add_nc_u32_e32 v3, 0x800, v3
	s_delay_alu instid0(VALU_DEP_2)
	v_cmp_le_i32_e32 vcc_lo, s27, v18
	s_or_b32 s5, vcc_lo, s5
	s_waitcnt lgkmcnt(0)
	ds_store_b64 v4, v[19:20]
	v_add_nc_u32_e32 v4, 0x800, v4
	s_and_not1_b32 exec_lo, exec_lo, s5
	s_cbranch_execnz .LBB132_21
.LBB132_22:                             ;   in Loop: Header=BB132_19 Depth=1
	s_or_b32 exec_lo, exec_lo, s4
	s_add_i32 s8, s26, -2
	v_dual_mov_b32 v3, 0 :: v_dual_mov_b32 v4, 0
	v_cmp_gt_i32_e64 s4, s8, v0
	s_waitcnt lgkmcnt(0)
	s_barrier
	buffer_gl0_inv
	s_and_saveexec_b32 s5, s4
	s_cbranch_execz .LBB132_26
; %bb.23:                               ;   in Loop: Header=BB132_19 Depth=1
	v_dual_mov_b32 v3, 0 :: v_dual_mov_b32 v18, v12
	v_dual_mov_b32 v19, v0 :: v_dual_mov_b32 v4, 0
	s_mov_b32 s6, 0
	.p2align	6
.LBB132_24:                             ;   Parent Loop BB132_19 Depth=1
                                        ; =>  This Inner Loop Header: Depth=2
	ds_load_b64 v[20:21], v18
	v_add_nc_u32_e32 v19, 0x100, v19
	v_add_nc_u32_e32 v18, 0x800, v18
	s_delay_alu instid0(VALU_DEP_2) | instskip(SKIP_4) | instid1(VALU_DEP_2)
	v_cmp_le_i32_e32 vcc_lo, s8, v19
	s_or_b32 s6, vcc_lo, s6
	s_waitcnt lgkmcnt(0)
	v_mul_f32_e32 v22, v21, v21
	v_mul_f32_e32 v23, v21, v20
	v_fmac_f32_e32 v22, v20, v20
	s_delay_alu instid0(VALU_DEP_2) | instskip(NEXT) | instid1(VALU_DEP_1)
	v_fma_f32 v20, v20, v21, -v23
	v_dual_add_f32 v4, v4, v22 :: v_dual_add_f32 v3, v3, v20
	s_and_not1_b32 exec_lo, exec_lo, s6
	s_cbranch_execnz .LBB132_24
; %bb.25:                               ;   in Loop: Header=BB132_19 Depth=1
	s_or_b32 exec_lo, exec_lo, s6
.LBB132_26:                             ;   in Loop: Header=BB132_19 Depth=1
	s_delay_alu instid0(SALU_CYCLE_1)
	s_or_b32 exec_lo, exec_lo, s5
	ds_bpermute_b32 v18, v7, v4
	ds_bpermute_b32 v19, v7, v3
	s_waitcnt lgkmcnt(0)
	v_dual_add_f32 v4, v4, v18 :: v_dual_add_f32 v3, v3, v19
	ds_bpermute_b32 v18, v8, v4
	ds_bpermute_b32 v19, v8, v3
	s_waitcnt lgkmcnt(0)
	v_dual_add_f32 v4, v4, v18 :: v_dual_add_f32 v3, v3, v19
	;; [unrolled: 4-line block ×3, first 2 shown]
	ds_bpermute_b32 v18, v10, v4
	ds_bpermute_b32 v19, v10, v3
	s_waitcnt lgkmcnt(1)
	v_add_f32_e32 v20, v4, v18
	s_waitcnt lgkmcnt(0)
	v_add_f32_e32 v4, v3, v19
	ds_bpermute_b32 v3, v11, v20
	ds_bpermute_b32 v18, v11, v4
	s_waitcnt lgkmcnt(1)
	v_add_f32_e32 v3, v20, v3
	s_and_saveexec_b32 s5, s0
	s_cbranch_execz .LBB132_28
; %bb.27:                               ;   in Loop: Header=BB132_19 Depth=1
	s_waitcnt lgkmcnt(0)
	v_add_f32_e32 v4, v4, v18
	ds_store_2addr_b32 v16, v3, v4 offset0:2 offset1:3
.LBB132_28:                             ;   in Loop: Header=BB132_19 Depth=1
	s_or_b32 exec_lo, exec_lo, s5
	s_waitcnt lgkmcnt(0)
	s_barrier
	buffer_gl0_inv
	s_and_saveexec_b32 s28, s1
	s_cbranch_execz .LBB132_41
; %bb.29:                               ;   in Loop: Header=BB132_19 Depth=1
	v_mov_b32_e32 v4, s22
	s_lshl_b32 s5, s8, 3
	s_mov_b32 s9, 0
	s_add_i32 s29, s21, s5
	s_lshl_b64 s[6:7], s[8:9], 2
	ds_load_2addr_b32 v[18:19], v4 offset0:4 offset1:6
	ds_load_2addr_b32 v[20:21], v4 offset0:8 offset1:10
	s_add_u32 s10, s17, s6
	s_addc_u32 s11, s18, s7
	s_mov_b32 s31, s9
	s_mov_b32 s7, exec_lo
                                        ; implicit-def: $sgpr5
                                        ; implicit-def: $sgpr6
                                        ; implicit-def: $sgpr30
                                        ; implicit-def: $sgpr33
	s_waitcnt lgkmcnt(1)
	v_add_f32_e32 v3, v3, v18
	ds_load_2addr_b32 v[22:23], v4 offset0:12 offset1:14
	v_dual_mov_b32 v18, s29 :: v_dual_add_f32 v3, v3, v19
	s_waitcnt lgkmcnt(1)
	s_delay_alu instid0(VALU_DEP_1) | instskip(SKIP_4) | instid1(VALU_DEP_1)
	v_add_f32_e32 v19, v3, v20
	ds_load_b32 v4, v4 offset:64
	ds_load_b32 v3, v18 offset:4
	v_add_f32_e32 v18, v19, v21
	s_waitcnt lgkmcnt(2)
	v_add_f32_e32 v18, v18, v22
	s_delay_alu instid0(VALU_DEP_1) | instskip(SKIP_1) | instid1(VALU_DEP_1)
	v_add_f32_e32 v18, v18, v23
	s_waitcnt lgkmcnt(1)
	v_add_f32_e32 v18, v18, v4
	s_waitcnt lgkmcnt(0)
	v_mul_f32_e32 v4, v3, v3
	s_delay_alu instid0(VALU_DEP_1) | instskip(NEXT) | instid1(VALU_DEP_1)
	v_max_f32_e32 v19, v18, v4
	v_cmpx_nlt_f32_e32 0, v19
	s_xor_b32 s7, exec_lo, s7
	s_cbranch_execz .LBB132_33
; %bb.30:                               ;   in Loop: Header=BB132_19 Depth=1
	v_mov_b32_e32 v3, v2
	s_mov_b32 s30, 0
	s_and_b32 vcc_lo, exec_lo, s23
	s_mov_b32 s31, 0
                                        ; implicit-def: $sgpr5
                                        ; implicit-def: $sgpr6
	ds_store_b64 v2, v[2:3]
	s_cbranch_vccz .LBB132_32
; %bb.31:                               ;   in Loop: Header=BB132_19 Depth=1
	v_mov_b32_e32 v3, s29
	s_mov_b32 s31, -1
	s_mov_b32 s6, 1.0
	s_mov_b32 s5, 0
	ds_load_b32 v4, v3
	ds_store_b32 v3, v17
	s_waitcnt lgkmcnt(1)
	global_store_b32 v2, v4, s[10:11]
.LBB132_32:                             ;   in Loop: Header=BB132_19 Depth=1
	s_mov_b32 s33, 1.0
	s_and_b32 s31, s31, exec_lo
                                        ; implicit-def: $vgpr4
                                        ; implicit-def: $vgpr18
                                        ; implicit-def: $vgpr3
.LBB132_33:                             ;   in Loop: Header=BB132_19 Depth=1
	s_or_saveexec_b32 s34, s7
	v_dual_mov_b32 v19, s5 :: v_dual_mov_b32 v20, s6
	s_xor_b32 exec_lo, exec_lo, s34
	s_cbranch_execz .LBB132_38
; %bb.34:                               ;   in Loop: Header=BB132_19 Depth=1
	v_mov_b32_e32 v19, s29
	ds_load_b32 v19, v19
	s_waitcnt lgkmcnt(0)
	v_fma_f32 v20, v19, v19, v4
	s_delay_alu instid0(VALU_DEP_1) | instskip(NEXT) | instid1(VALU_DEP_1)
	v_add_f32_e32 v18, v18, v20
	v_mul_f32_e32 v20, 0x4f800000, v18
	v_cmp_gt_f32_e32 vcc_lo, 0xf800000, v18
	s_delay_alu instid0(VALU_DEP_2) | instskip(NEXT) | instid1(VALU_DEP_1)
	v_cndmask_b32_e32 v18, v18, v20, vcc_lo
	v_sqrt_f32_e32 v20, v18
	s_waitcnt_depctr 0xfff
	v_add_nc_u32_e32 v21, -1, v20
	v_add_nc_u32_e32 v22, 1, v20
	s_delay_alu instid0(VALU_DEP_2) | instskip(NEXT) | instid1(VALU_DEP_2)
	v_fma_f32 v23, -v21, v20, v18
	v_fma_f32 v24, -v22, v20, v18
	s_delay_alu instid0(VALU_DEP_2) | instskip(NEXT) | instid1(VALU_DEP_1)
	v_cmp_ge_f32_e64 s5, 0, v23
	v_cndmask_b32_e64 v20, v20, v21, s5
	s_delay_alu instid0(VALU_DEP_3) | instskip(NEXT) | instid1(VALU_DEP_1)
	v_cmp_lt_f32_e64 s5, 0, v24
	v_cndmask_b32_e64 v20, v20, v22, s5
	s_delay_alu instid0(VALU_DEP_1) | instskip(NEXT) | instid1(VALU_DEP_1)
	v_mul_f32_e32 v21, 0x37800000, v20
	v_cndmask_b32_e32 v20, v20, v21, vcc_lo
	v_cmp_class_f32_e64 vcc_lo, v18, 0x260
	s_delay_alu instid0(VALU_DEP_2) | instskip(SKIP_1) | instid1(VALU_DEP_2)
	v_cndmask_b32_e32 v18, v20, v18, vcc_lo
	v_cmp_le_f32_e32 vcc_lo, 0, v19
	v_cndmask_b32_e64 v18, v18, -v18, vcc_lo
	s_delay_alu instid0(VALU_DEP_1) | instskip(SKIP_2) | instid1(VALU_DEP_3)
	v_dual_sub_f32 v20, v19, v18 :: v_dual_sub_f32 v19, v18, v19
	v_div_scale_f32 v21, null, v18, v18, -v3
	v_div_scale_f32 v29, s5, -v3, v18, -v3
	v_fmac_f32_e32 v4, v20, v20
	s_delay_alu instid0(VALU_DEP_4) | instskip(NEXT) | instid1(VALU_DEP_4)
	v_div_scale_f32 v22, null, v18, v18, v19
	v_rcp_f32_e32 v25, v21
	v_div_scale_f32 v30, s6, v19, v18, v19
	s_delay_alu instid0(VALU_DEP_3) | instskip(NEXT) | instid1(VALU_DEP_3)
	v_div_scale_f32 v23, null, v4, v4, v20
	v_rcp_f32_e32 v26, v22
	v_div_scale_f32 v31, vcc_lo, v20, v4, v20
	s_delay_alu instid0(VALU_DEP_2) | instskip(NEXT) | instid1(TRANS32_DEP_3)
	v_rcp_f32_e32 v27, v23
	v_fma_f32 v32, -v21, v25, 1.0
	s_waitcnt_depctr 0xfff
	v_fma_f32 v33, -v22, v26, 1.0
	v_fmac_f32_e32 v25, v32, v25
	v_fma_f32 v34, -v23, v27, 1.0
	s_delay_alu instid0(VALU_DEP_1) | instskip(NEXT) | instid1(VALU_DEP_1)
	v_dual_fmac_f32 v26, v33, v26 :: v_dual_fmac_f32 v27, v34, v27
	v_mul_f32_e32 v33, v31, v27
	s_delay_alu instid0(VALU_DEP_1) | instskip(NEXT) | instid1(VALU_DEP_1)
	v_fma_f32 v38, -v23, v33, v31
	v_fmac_f32_e32 v33, v38, v27
	v_div_scale_f32 v24, null, v4, v4, -v3
	v_div_scale_f32 v36, s7, -v3, v4, -v3
	s_delay_alu instid0(VALU_DEP_3) | instskip(NEXT) | instid1(VALU_DEP_3)
	v_fma_f32 v23, -v23, v33, v31
	v_rcp_f32_e32 v28, v24
	s_delay_alu instid0(VALU_DEP_1) | instskip(SKIP_1) | instid1(VALU_DEP_1)
	v_div_fmas_f32 v23, v23, v27, v33
	s_mov_b32 vcc_lo, s7
	v_div_fixup_f32 v20, v23, v4, v20
	s_waitcnt_depctr 0xfff
	v_fma_f32 v35, -v24, v28, 1.0
	s_delay_alu instid0(VALU_DEP_1) | instskip(NEXT) | instid1(VALU_DEP_1)
	v_fmac_f32_e32 v28, v35, v28
	v_dual_mul_f32 v35, v36, v28 :: v_dual_mul_f32 v34, v30, v26
	s_delay_alu instid0(VALU_DEP_1) | instskip(SKIP_1) | instid1(VALU_DEP_3)
	v_fma_f32 v40, -v24, v35, v36
	v_mul_f32_e32 v32, v29, v25
	v_fma_f32 v39, -v22, v34, v30
	s_delay_alu instid0(VALU_DEP_3) | instskip(NEXT) | instid1(VALU_DEP_3)
	v_fmac_f32_e32 v35, v40, v28
	v_fma_f32 v37, -v21, v32, v29
	s_delay_alu instid0(VALU_DEP_3) | instskip(NEXT) | instid1(VALU_DEP_3)
	v_fmac_f32_e32 v34, v39, v26
	;; [unrolled: 3-line block ×3, first 2 shown]
	v_fma_f32 v22, -v22, v34, v30
	s_delay_alu instid0(VALU_DEP_3) | instskip(NEXT) | instid1(VALU_DEP_3)
	v_div_fmas_f32 v24, v24, v28, v35
	v_fma_f32 v21, -v21, v32, v29
	s_mov_b32 vcc_lo, s6
	s_delay_alu instid0(VALU_DEP_3) | instskip(SKIP_1) | instid1(VALU_DEP_2)
	v_div_fmas_f32 v22, v22, v26, v34
	s_mov_b32 vcc_lo, s5
	v_div_fmas_f32 v25, v21, v25, v32
	s_and_b32 vcc_lo, exec_lo, s23
	s_delay_alu instid0(VALU_DEP_2) | instskip(SKIP_1) | instid1(VALU_DEP_3)
	v_div_fixup_f32 v21, v22, v18, v19
	v_div_fixup_f32 v19, v24, v4, -v3
	v_div_fixup_f32 v22, v25, v18, -v3
	ds_store_b64 v2, v[21:22]
	s_cbranch_vccz .LBB132_67
; %bb.35:                               ;   in Loop: Header=BB132_19 Depth=1
	v_mov_b32_e32 v3, s29
	global_store_b32 v2, v18, s[10:11]
	ds_store_b32 v3, v17
	s_cbranch_execnz .LBB132_37
.LBB132_36:                             ;   in Loop: Header=BB132_19 Depth=1
	v_mov_b32_e32 v3, s29
	ds_store_b32 v3, v18
.LBB132_37:                             ;   in Loop: Header=BB132_19 Depth=1
	s_or_b32 s31, s31, exec_lo
.LBB132_38:                             ;   in Loop: Header=BB132_19 Depth=1
	s_or_b32 exec_lo, exec_lo, s34
	v_dual_mov_b32 v3, s33 :: v_dual_mov_b32 v4, s30
	s_and_saveexec_b32 s5, s31
	s_cbranch_execz .LBB132_40
; %bb.39:                               ;   in Loop: Header=BB132_19 Depth=1
	v_dual_mov_b32 v18, s29 :: v_dual_mov_b32 v3, v20
	v_mov_b32_e32 v4, v19
	ds_store_b32 v18, v2 offset:4
.LBB132_40:                             ;   in Loop: Header=BB132_19 Depth=1
	s_or_b32 exec_lo, exec_lo, s5
	ds_load_b64 v[18:19], v2
	s_lshl_b64 s[6:7], s[8:9], 3
	v_mov_b32_e32 v20, s22
	s_add_u32 s6, s15, s6
	s_addc_u32 s7, s19, s7
	ds_store_b64 v20, v[3:4] offset:8
	s_waitcnt lgkmcnt(1)
	global_store_b64 v2, v[18:19], s[6:7]
.LBB132_41:                             ;   in Loop: Header=BB132_19 Depth=1
	s_or_b32 exec_lo, exec_lo, s28
	s_waitcnt lgkmcnt(0)
	s_waitcnt_vscnt null, 0x0
	s_barrier
	buffer_gl0_inv
	s_and_saveexec_b32 s5, s4
	s_cbranch_execz .LBB132_44
; %bb.42:                               ;   in Loop: Header=BB132_19 Depth=1
	v_mov_b32_e32 v3, v12
	v_mov_b32_e32 v4, v0
	s_mov_b32 s4, 0
	.p2align	6
.LBB132_43:                             ;   Parent Loop BB132_19 Depth=1
                                        ; =>  This Inner Loop Header: Depth=2
	v_mov_b32_e32 v20, s22
	ds_load_b64 v[18:19], v3
	ds_load_b64 v[20:21], v20 offset:8
	v_add_nc_u32_e32 v4, 0x100, v4
	s_delay_alu instid0(VALU_DEP_1) | instskip(SKIP_4) | instid1(VALU_DEP_2)
	v_cmp_le_i32_e32 vcc_lo, s8, v4
	s_or_b32 s4, vcc_lo, s4
	s_waitcnt lgkmcnt(0)
	v_mul_f32_e32 v22, v21, v19
	v_mul_f32_e32 v23, v20, v19
	v_fma_f32 v22, v20, v18, -v22
	s_delay_alu instid0(VALU_DEP_2)
	v_fmac_f32_e32 v23, v21, v18
	ds_store_b64 v3, v[22:23]
	v_add_nc_u32_e32 v3, 0x800, v3
	s_and_not1_b32 exec_lo, exec_lo, s4
	s_cbranch_execnz .LBB132_43
.LBB132_44:                             ;   in Loop: Header=BB132_19 Depth=1
	s_or_b32 exec_lo, exec_lo, s5
	s_waitcnt lgkmcnt(0)
	s_barrier
	buffer_gl0_inv
	s_and_saveexec_b32 s4, s3
	s_cbranch_execz .LBB132_51
; %bb.45:                               ;   in Loop: Header=BB132_19 Depth=1
	v_dual_mov_b32 v3, v14 :: v_dual_mov_b32 v4, v0
	s_mov_b32 s5, 0
	s_set_inst_prefetch_distance 0x1
	.p2align	6
.LBB132_46:                             ;   Parent Loop BB132_19 Depth=1
                                        ; =>  This Loop Header: Depth=2
                                        ;       Child Loop BB132_47 Depth 3
	v_dual_mov_b32 v18, 0 :: v_dual_mov_b32 v19, 0
	s_delay_alu instid0(VALU_DEP_2)
	v_mov_b32_e32 v20, v3
	s_mov_b32 s6, s21
	s_mov_b32 s7, 0
	.p2align	6
.LBB132_47:                             ;   Parent Loop BB132_19 Depth=1
                                        ;     Parent Loop BB132_46 Depth=2
                                        ; =>    This Inner Loop Header: Depth=3
	v_mov_b32_e32 v23, s6
	s_add_i32 s7, s7, 1
	s_add_i32 s6, s6, 8
	s_cmp_ge_i32 s7, s27
	ds_load_b64 v[21:22], v20
	ds_load_b64 v[23:24], v23
	s_waitcnt lgkmcnt(0)
	v_dual_mul_f32 v25, v24, v22 :: v_dual_add_nc_u32 v20, s20, v20
	v_mul_f32_e32 v22, v23, v22
	s_delay_alu instid0(VALU_DEP_2) | instskip(NEXT) | instid1(VALU_DEP_1)
	v_fma_f32 v23, v23, v21, -v25
	v_dual_fmac_f32 v22, v24, v21 :: v_dual_add_f32 v19, v19, v23
	s_delay_alu instid0(VALU_DEP_1)
	v_add_f32_e32 v18, v18, v22
	s_cbranch_scc0 .LBB132_47
; %bb.48:                               ;   in Loop: Header=BB132_46 Depth=2
	ds_load_b64 v[20:21], v2
	v_lshl_add_u32 v23, v4, 3, s24
	v_add_nc_u32_e32 v4, 0x100, v4
	v_add_nc_u32_e32 v3, 0x800, v3
	s_delay_alu instid0(VALU_DEP_2) | instskip(SKIP_4) | instid1(VALU_DEP_2)
	v_cmp_le_i32_e32 vcc_lo, s27, v4
	s_or_b32 s5, vcc_lo, s5
	s_waitcnt lgkmcnt(0)
	v_mul_f32_e32 v24, v18, v21
	v_mul_f32_e32 v22, v19, v21
	v_fma_f32 v21, v19, v20, -v24
	s_delay_alu instid0(VALU_DEP_2)
	v_fmac_f32_e32 v22, v18, v20
	ds_store_b64 v23, v[21:22]
	s_and_not1_b32 exec_lo, exec_lo, s5
	s_cbranch_execnz .LBB132_46
; %bb.49:                               ;   in Loop: Header=BB132_19 Depth=1
	s_set_inst_prefetch_distance 0x2
	s_or_b32 exec_lo, exec_lo, s5
	v_mov_b32_e32 v3, v0
	s_mov_b32 s5, 0
	s_mov_b32 s6, 0
.LBB132_50:                             ;   Parent Loop BB132_19 Depth=1
                                        ; =>  This Inner Loop Header: Depth=2
	s_delay_alu instid0(SALU_CYCLE_1) | instskip(NEXT) | instid1(VALU_DEP_2)
	v_add_nc_u32_e32 v4, s6, v12
	v_add_nc_u32_e32 v3, 0x100, v3
	ds_load_b64 v[18:19], v4
	v_cmp_le_i32_e32 vcc_lo, s27, v3
	v_add_nc_u32_e32 v4, s6, v13
	s_addk_i32 s6, 0x800
	s_or_b32 s5, vcc_lo, s5
	s_waitcnt lgkmcnt(0)
	ds_store_b64 v4, v[18:19]
	s_and_not1_b32 exec_lo, exec_lo, s5
	s_cbranch_execnz .LBB132_50
.LBB132_51:                             ;   in Loop: Header=BB132_19 Depth=1
	s_or_b32 exec_lo, exec_lo, s4
	v_dual_mov_b32 v3, 0 :: v_dual_mov_b32 v4, 0
	s_waitcnt lgkmcnt(0)
	s_barrier
	buffer_gl0_inv
	s_and_saveexec_b32 s4, s3
	s_cbranch_execz .LBB132_55
; %bb.52:                               ;   in Loop: Header=BB132_19 Depth=1
	v_dual_mov_b32 v3, 0 :: v_dual_mov_b32 v18, v12
	v_dual_mov_b32 v19, v15 :: v_dual_mov_b32 v20, v0
	v_mov_b32_e32 v4, 0
	s_mov_b32 s5, 0
	.p2align	6
.LBB132_53:                             ;   Parent Loop BB132_19 Depth=1
                                        ; =>  This Inner Loop Header: Depth=2
	ds_load_b64 v[21:22], v19
	ds_load_b64 v[23:24], v18
	s_waitcnt lgkmcnt(0)
	v_dual_mul_f32 v25, v22, v24 :: v_dual_add_nc_u32 v18, 0x800, v18
	v_mul_f32_e32 v22, v22, v23
	s_delay_alu instid0(VALU_DEP_2) | instskip(NEXT) | instid1(VALU_DEP_2)
	v_dual_fmac_f32 v25, v21, v23 :: v_dual_add_nc_u32 v20, 0x100, v20
	v_fma_f32 v21, v21, v24, -v22
	s_delay_alu instid0(VALU_DEP_2) | instskip(NEXT) | instid1(VALU_DEP_3)
	v_cmp_le_i32_e32 vcc_lo, s27, v20
	v_dual_add_f32 v4, v4, v25 :: v_dual_add_nc_u32 v19, 0x800, v19
	s_delay_alu instid0(VALU_DEP_3) | instskip(SKIP_1) | instid1(SALU_CYCLE_1)
	v_add_f32_e32 v3, v3, v21
	s_or_b32 s5, vcc_lo, s5
	s_and_not1_b32 exec_lo, exec_lo, s5
	s_cbranch_execnz .LBB132_53
; %bb.54:                               ;   in Loop: Header=BB132_19 Depth=1
	s_or_b32 exec_lo, exec_lo, s5
.LBB132_55:                             ;   in Loop: Header=BB132_19 Depth=1
	s_delay_alu instid0(SALU_CYCLE_1)
	s_or_b32 exec_lo, exec_lo, s4
	ds_bpermute_b32 v18, v7, v4
	ds_bpermute_b32 v19, v7, v3
	s_waitcnt lgkmcnt(0)
	v_dual_add_f32 v4, v4, v18 :: v_dual_add_f32 v3, v3, v19
	ds_bpermute_b32 v18, v8, v4
	ds_bpermute_b32 v19, v8, v3
	s_waitcnt lgkmcnt(0)
	v_dual_add_f32 v4, v4, v18 :: v_dual_add_f32 v3, v3, v19
	;; [unrolled: 4-line block ×3, first 2 shown]
	ds_bpermute_b32 v18, v10, v4
	ds_bpermute_b32 v19, v10, v3
	s_waitcnt lgkmcnt(1)
	v_add_f32_e32 v4, v4, v18
	s_waitcnt lgkmcnt(0)
	v_add_f32_e32 v18, v3, v19
	ds_bpermute_b32 v3, v11, v4
	ds_bpermute_b32 v19, v11, v18
	s_waitcnt lgkmcnt(1)
	v_add_f32_e32 v3, v4, v3
	s_waitcnt lgkmcnt(0)
	v_add_f32_e32 v4, v18, v19
	s_and_saveexec_b32 s4, s0
	s_cbranch_execz .LBB132_57
; %bb.56:                               ;   in Loop: Header=BB132_19 Depth=1
	ds_store_2addr_b32 v16, v3, v4 offset0:2 offset1:3
.LBB132_57:                             ;   in Loop: Header=BB132_19 Depth=1
	s_or_b32 exec_lo, exec_lo, s4
	s_waitcnt lgkmcnt(0)
	s_barrier
	buffer_gl0_inv
	s_and_saveexec_b32 s4, s1
	s_cbranch_execz .LBB132_59
; %bb.58:                               ;   in Loop: Header=BB132_19 Depth=1
	v_mov_b32_e32 v32, s22
	ds_load_2addr_b64 v[18:21], v32 offset0:2 offset1:3
	ds_load_2addr_b64 v[22:25], v32 offset0:4 offset1:5
	;; [unrolled: 1-line block ×3, first 2 shown]
	ds_load_b64 v[30:31], v2
	s_waitcnt lgkmcnt(3)
	v_dual_add_f32 v3, v3, v18 :: v_dual_add_f32 v4, v4, v19
	s_delay_alu instid0(VALU_DEP_1) | instskip(SKIP_3) | instid1(VALU_DEP_1)
	v_dual_add_f32 v19, v3, v20 :: v_dual_add_f32 v18, v4, v21
	ds_load_b64 v[3:4], v32 offset:64
	s_waitcnt lgkmcnt(1)
	v_dual_mul_f32 v20, -0.5, v31 :: v_dual_add_f32 v19, v19, v22
	v_dual_add_f32 v18, v18, v23 :: v_dual_add_f32 v19, v19, v24
	s_delay_alu instid0(VALU_DEP_1) | instskip(NEXT) | instid1(VALU_DEP_1)
	v_dual_add_f32 v18, v18, v25 :: v_dual_add_f32 v19, v19, v26
	v_dual_add_f32 v18, v18, v27 :: v_dual_add_f32 v19, v19, v28
	s_waitcnt lgkmcnt(0)
	s_delay_alu instid0(VALU_DEP_1) | instskip(NEXT) | instid1(VALU_DEP_1)
	v_dual_add_f32 v18, v18, v29 :: v_dual_add_f32 v3, v19, v3
	v_dual_add_f32 v18, v18, v4 :: v_dual_mul_f32 v19, -0.5, v30
	s_delay_alu instid0(VALU_DEP_2) | instskip(NEXT) | instid1(VALU_DEP_2)
	v_mul_f32_e32 v4, v3, v20
	v_mul_f32_e32 v21, v18, v20
	s_delay_alu instid0(VALU_DEP_2) | instskip(NEXT) | instid1(VALU_DEP_2)
	v_fmac_f32_e32 v4, v18, v19
	v_fma_f32 v3, v3, v19, -v21
	ds_store_b64 v32, v[3:4] offset:8
.LBB132_59:                             ;   in Loop: Header=BB132_19 Depth=1
	s_or_b32 exec_lo, exec_lo, s4
	s_waitcnt lgkmcnt(0)
	s_barrier
	buffer_gl0_inv
	s_and_saveexec_b32 s4, s3
	s_cbranch_execz .LBB132_62
; %bb.60:                               ;   in Loop: Header=BB132_19 Depth=1
	v_dual_mov_b32 v3, v12 :: v_dual_mov_b32 v4, v15
	v_mov_b32_e32 v18, v0
	s_mov_b32 s5, 0
	.p2align	6
.LBB132_61:                             ;   Parent Loop BB132_19 Depth=1
                                        ; =>  This Inner Loop Header: Depth=2
	s_delay_alu instid0(VALU_DEP_1)
	v_dual_mov_b32 v21, s22 :: v_dual_add_nc_u32 v18, 0x100, v18
	ds_load_b64 v[19:20], v3
	ds_load_b64 v[21:22], v21 offset:8
	ds_load_b64 v[23:24], v4
	v_add_nc_u32_e32 v3, 0x800, v3
	v_cmp_le_i32_e32 vcc_lo, s27, v18
	s_or_b32 s5, vcc_lo, s5
	s_waitcnt lgkmcnt(1)
	v_mul_f32_e32 v25, v20, v22
	v_mul_f32_e32 v22, v19, v22
	s_delay_alu instid0(VALU_DEP_2) | instskip(SKIP_1) | instid1(VALU_DEP_1)
	v_fma_f32 v19, v19, v21, -v25
	s_waitcnt lgkmcnt(0)
	v_dual_fmac_f32 v22, v20, v21 :: v_dual_add_f32 v19, v23, v19
	s_delay_alu instid0(VALU_DEP_1)
	v_add_f32_e32 v20, v24, v22
	ds_store_b64 v4, v[19:20]
	v_add_nc_u32_e32 v4, 0x800, v4
	s_and_not1_b32 exec_lo, exec_lo, s5
	s_cbranch_execnz .LBB132_61
.LBB132_62:                             ;   in Loop: Header=BB132_19 Depth=1
	s_or_b32 exec_lo, exec_lo, s4
	s_waitcnt lgkmcnt(0)
	s_barrier
	buffer_gl0_inv
	s_and_saveexec_b32 s4, s3
	s_cbranch_execz .LBB132_18
; %bb.63:                               ;   in Loop: Header=BB132_19 Depth=1
	v_dual_mov_b32 v3, v14 :: v_dual_mov_b32 v4, v0
	s_mov_b32 s3, 0
.LBB132_64:                             ;   Parent Loop BB132_19 Depth=1
                                        ; =>  This Loop Header: Depth=2
                                        ;       Child Loop BB132_65 Depth 3
	s_delay_alu instid0(VALU_DEP_1) | instskip(SKIP_3) | instid1(VALU_DEP_1)
	v_dual_mov_b32 v20, v3 :: v_dual_lshlrev_b32 v19, 3, v4
	s_mov_b32 s5, s24
	s_mov_b32 s6, s21
	;; [unrolled: 1-line block ×3, first 2 shown]
	v_add_nc_u32_e32 v18, s21, v19
	v_add_nc_u32_e32 v19, s24, v19
	s_set_inst_prefetch_distance 0x1
	.p2align	6
.LBB132_65:                             ;   Parent Loop BB132_19 Depth=1
                                        ;     Parent Loop BB132_64 Depth=2
                                        ; =>    This Inner Loop Header: Depth=3
	v_mov_b32_e32 v25, s5
	v_mov_b32_e32 v27, s6
	s_add_i32 s7, s7, 1
	ds_load_b64 v[21:22], v18
	ds_load_b64 v[23:24], v19
	;; [unrolled: 1-line block ×5, first 2 shown]
	s_add_i32 s6, s6, 8
	s_add_i32 s5, s5, 8
	s_cmp_ge_i32 s7, s27
	s_waitcnt lgkmcnt(2)
	v_mul_f32_e32 v31, v26, v22
	v_mul_f32_e32 v26, v26, v21
	s_waitcnt lgkmcnt(1)
	v_mul_f32_e32 v32, v28, v24
	s_delay_alu instid0(VALU_DEP_3) | instskip(NEXT) | instid1(VALU_DEP_3)
	v_dual_mul_f32 v28, v28, v23 :: v_dual_fmac_f32 v31, v25, v21
	v_fma_f32 v21, v25, v22, -v26
	s_delay_alu instid0(VALU_DEP_3) | instskip(NEXT) | instid1(VALU_DEP_3)
	v_fmac_f32_e32 v32, v27, v23
	v_fma_f32 v22, v27, v24, -v28
	s_waitcnt lgkmcnt(0)
	s_delay_alu instid0(VALU_DEP_3) | instskip(NEXT) | instid1(VALU_DEP_1)
	v_dual_sub_f32 v23, v29, v31 :: v_dual_sub_f32 v24, v30, v21
	v_dual_sub_f32 v21, v23, v32 :: v_dual_sub_f32 v22, v24, v22
	ds_store_b64 v20, v[21:22]
	v_add_nc_u32_e32 v20, s20, v20
	s_cbranch_scc0 .LBB132_65
; %bb.66:                               ;   in Loop: Header=BB132_64 Depth=2
	s_set_inst_prefetch_distance 0x2
	v_add_nc_u32_e32 v4, 0x100, v4
	v_add_nc_u32_e32 v3, 0x800, v3
	s_delay_alu instid0(VALU_DEP_2) | instskip(SKIP_1) | instid1(SALU_CYCLE_1)
	v_cmp_le_i32_e32 vcc_lo, s27, v4
	s_or_b32 s3, vcc_lo, s3
	s_and_not1_b32 exec_lo, exec_lo, s3
	s_cbranch_execnz .LBB132_64
	s_branch .LBB132_18
.LBB132_67:                             ;   in Loop: Header=BB132_19 Depth=1
	s_branch .LBB132_36
.LBB132_68:
	s_and_saveexec_b32 s0, s2
	s_cbranch_execz .LBB132_76
; %bb.69:
	v_mul_lo_u32 v0, s12, v5
	v_mad_u64_u32 v[2:3], null, s16, v5, v[1:2]
	v_cmp_gt_u32_e32 vcc_lo, s12, v5
	s_lshl_b32 s1, s16, 1
	s_mov_b32 s2, 0
	s_lshl_b32 s3, s12, 4
	s_delay_alu instid0(VALU_DEP_3) | instskip(NEXT) | instid1(VALU_DEP_1)
	v_lshl_add_u32 v0, v0, 3, v6
	v_add3_u32 v0, v0, 0, 8
	s_set_inst_prefetch_distance 0x1
	s_branch .LBB132_71
	.p2align	6
.LBB132_70:                             ;   in Loop: Header=BB132_71 Depth=1
	s_or_b32 exec_lo, exec_lo, s4
	v_add_nc_u32_e32 v1, 0x80, v1
	v_add_nc_u32_e32 v2, 0x80, v2
	;; [unrolled: 1-line block ×3, first 2 shown]
	s_delay_alu instid0(VALU_DEP_3) | instskip(NEXT) | instid1(VALU_DEP_1)
	v_cmp_le_i32_e64 s0, s12, v1
	s_or_b32 s2, s0, s2
	s_delay_alu instid0(SALU_CYCLE_1)
	s_and_not1_b32 exec_lo, exec_lo, s2
	s_cbranch_execz .LBB132_76
.LBB132_71:                             ; =>This Loop Header: Depth=1
                                        ;     Child Loop BB132_74 Depth 2
	s_and_saveexec_b32 s4, vcc_lo
	s_cbranch_execz .LBB132_70
; %bb.72:                               ;   in Loop: Header=BB132_71 Depth=1
	v_dual_mov_b32 v6, v0 :: v_dual_mov_b32 v3, v2
	v_mov_b32_e32 v7, v5
	s_mov_b32 s5, 0
	s_branch .LBB132_74
	.p2align	6
.LBB132_73:                             ;   in Loop: Header=BB132_74 Depth=2
	s_or_b32 exec_lo, exec_lo, s6
	v_add_nc_u32_e32 v7, 2, v7
	v_add_nc_u32_e32 v3, s1, v3
	;; [unrolled: 1-line block ×3, first 2 shown]
	s_delay_alu instid0(VALU_DEP_3) | instskip(NEXT) | instid1(VALU_DEP_1)
	v_cmp_le_i32_e64 s0, s12, v7
	s_or_b32 s5, s0, s5
	s_delay_alu instid0(SALU_CYCLE_1)
	s_and_not1_b32 exec_lo, exec_lo, s5
	s_cbranch_execz .LBB132_70
.LBB132_74:                             ;   Parent Loop BB132_71 Depth=1
                                        ; =>  This Inner Loop Header: Depth=2
	s_mov_b32 s6, exec_lo
	s_delay_alu instid0(VALU_DEP_1)
	v_cmpx_le_u32_e64 v1, v7
	s_cbranch_execz .LBB132_73
; %bb.75:                               ;   in Loop: Header=BB132_74 Depth=2
	ds_load_b64 v[8:9], v6
	v_ashrrev_i32_e32 v4, 31, v3
	s_delay_alu instid0(VALU_DEP_1) | instskip(NEXT) | instid1(VALU_DEP_1)
	v_lshlrev_b64 v[10:11], 3, v[3:4]
	v_add_co_u32 v10, s0, s13, v10
	s_delay_alu instid0(VALU_DEP_1)
	v_add_co_ci_u32_e64 v11, s0, s14, v11, s0
	s_waitcnt lgkmcnt(0)
	global_store_b64 v[10:11], v[8:9], off
	s_branch .LBB132_73
.LBB132_76:
	s_set_inst_prefetch_distance 0x2
	s_nop 0
	s_sendmsg sendmsg(MSG_DEALLOC_VGPRS)
	s_endpgm
	.section	.rodata,"a",@progbits
	.p2align	6, 0x0
	.amdhsa_kernel _ZN9rocsolver6v33100L24sytd2_upper_kernel_smallILi256E19rocblas_complex_numIfEifPS3_EEvT1_T3_lS5_lPT2_lS8_lPT0_l
		.amdhsa_group_segment_fixed_size 0
		.amdhsa_private_segment_fixed_size 0
		.amdhsa_kernarg_size 88
		.amdhsa_user_sgpr_count 14
		.amdhsa_user_sgpr_dispatch_ptr 0
		.amdhsa_user_sgpr_queue_ptr 0
		.amdhsa_user_sgpr_kernarg_segment_ptr 1
		.amdhsa_user_sgpr_dispatch_id 0
		.amdhsa_user_sgpr_private_segment_size 0
		.amdhsa_wavefront_size32 1
		.amdhsa_uses_dynamic_stack 0
		.amdhsa_enable_private_segment 0
		.amdhsa_system_sgpr_workgroup_id_x 1
		.amdhsa_system_sgpr_workgroup_id_y 0
		.amdhsa_system_sgpr_workgroup_id_z 1
		.amdhsa_system_sgpr_workgroup_info 0
		.amdhsa_system_vgpr_workitem_id 0
		.amdhsa_next_free_vgpr 41
		.amdhsa_next_free_sgpr 35
		.amdhsa_reserve_vcc 1
		.amdhsa_float_round_mode_32 0
		.amdhsa_float_round_mode_16_64 0
		.amdhsa_float_denorm_mode_32 3
		.amdhsa_float_denorm_mode_16_64 3
		.amdhsa_dx10_clamp 1
		.amdhsa_ieee_mode 1
		.amdhsa_fp16_overflow 0
		.amdhsa_workgroup_processor_mode 1
		.amdhsa_memory_ordered 1
		.amdhsa_forward_progress 0
		.amdhsa_shared_vgpr_count 0
		.amdhsa_exception_fp_ieee_invalid_op 0
		.amdhsa_exception_fp_denorm_src 0
		.amdhsa_exception_fp_ieee_div_zero 0
		.amdhsa_exception_fp_ieee_overflow 0
		.amdhsa_exception_fp_ieee_underflow 0
		.amdhsa_exception_fp_ieee_inexact 0
		.amdhsa_exception_int_div_zero 0
	.end_amdhsa_kernel
	.section	.text._ZN9rocsolver6v33100L24sytd2_upper_kernel_smallILi256E19rocblas_complex_numIfEifPS3_EEvT1_T3_lS5_lPT2_lS8_lPT0_l,"axG",@progbits,_ZN9rocsolver6v33100L24sytd2_upper_kernel_smallILi256E19rocblas_complex_numIfEifPS3_EEvT1_T3_lS5_lPT2_lS8_lPT0_l,comdat
.Lfunc_end132:
	.size	_ZN9rocsolver6v33100L24sytd2_upper_kernel_smallILi256E19rocblas_complex_numIfEifPS3_EEvT1_T3_lS5_lPT2_lS8_lPT0_l, .Lfunc_end132-_ZN9rocsolver6v33100L24sytd2_upper_kernel_smallILi256E19rocblas_complex_numIfEifPS3_EEvT1_T3_lS5_lPT2_lS8_lPT0_l
                                        ; -- End function
	.section	.AMDGPU.csdata,"",@progbits
; Kernel info:
; codeLenInByte = 4316
; NumSgprs: 37
; NumVgprs: 41
; ScratchSize: 0
; MemoryBound: 0
; FloatMode: 240
; IeeeMode: 1
; LDSByteSize: 0 bytes/workgroup (compile time only)
; SGPRBlocks: 4
; VGPRBlocks: 5
; NumSGPRsForWavesPerEU: 37
; NumVGPRsForWavesPerEU: 41
; Occupancy: 16
; WaveLimiterHint : 0
; COMPUTE_PGM_RSRC2:SCRATCH_EN: 0
; COMPUTE_PGM_RSRC2:USER_SGPR: 14
; COMPUTE_PGM_RSRC2:TRAP_HANDLER: 0
; COMPUTE_PGM_RSRC2:TGID_X_EN: 1
; COMPUTE_PGM_RSRC2:TGID_Y_EN: 0
; COMPUTE_PGM_RSRC2:TGID_Z_EN: 1
; COMPUTE_PGM_RSRC2:TIDIG_COMP_CNT: 0
	.section	.text._ZN9rocsolver6v33100L8copy_matI19rocblas_complex_numIfEPS3_NS0_7no_maskEEEvNS0_17copymat_directionEiiT0_iilPT_T1_13rocblas_fill_17rocblas_diagonal_,"axG",@progbits,_ZN9rocsolver6v33100L8copy_matI19rocblas_complex_numIfEPS3_NS0_7no_maskEEEvNS0_17copymat_directionEiiT0_iilPT_T1_13rocblas_fill_17rocblas_diagonal_,comdat
	.globl	_ZN9rocsolver6v33100L8copy_matI19rocblas_complex_numIfEPS3_NS0_7no_maskEEEvNS0_17copymat_directionEiiT0_iilPT_T1_13rocblas_fill_17rocblas_diagonal_ ; -- Begin function _ZN9rocsolver6v33100L8copy_matI19rocblas_complex_numIfEPS3_NS0_7no_maskEEEvNS0_17copymat_directionEiiT0_iilPT_T1_13rocblas_fill_17rocblas_diagonal_
	.p2align	8
	.type	_ZN9rocsolver6v33100L8copy_matI19rocblas_complex_numIfEPS3_NS0_7no_maskEEEvNS0_17copymat_directionEiiT0_iilPT_T1_13rocblas_fill_17rocblas_diagonal_,@function
_ZN9rocsolver6v33100L8copy_matI19rocblas_complex_numIfEPS3_NS0_7no_maskEEEvNS0_17copymat_directionEiiT0_iilPT_T1_13rocblas_fill_17rocblas_diagonal_: ; @_ZN9rocsolver6v33100L8copy_matI19rocblas_complex_numIfEPS3_NS0_7no_maskEEEvNS0_17copymat_directionEiiT0_iilPT_T1_13rocblas_fill_17rocblas_diagonal_
; %bb.0:
	s_clause 0x1
	s_load_b32 s2, s[0:1], 0x4c
	s_load_b128 s[8:11], s[0:1], 0x0
	v_and_b32_e32 v2, 0x3ff, v0
	v_bfe_u32 v3, v0, 10, 10
	s_waitcnt lgkmcnt(0)
	s_lshr_b32 s3, s2, 16
	s_and_b32 s2, s2, 0xffff
	s_delay_alu instid0(VALU_DEP_1) | instid1(SALU_CYCLE_1)
	v_mad_u64_u32 v[0:1], null, s13, s2, v[2:3]
	v_mad_u64_u32 v[1:2], null, s14, s3, v[3:4]
	s_delay_alu instid0(VALU_DEP_2) | instskip(NEXT) | instid1(VALU_DEP_2)
	v_cmp_gt_u32_e32 vcc_lo, s9, v0
	v_cmp_gt_u32_e64 s2, s10, v1
	s_delay_alu instid0(VALU_DEP_1) | instskip(NEXT) | instid1(SALU_CYCLE_1)
	s_and_b32 s2, s2, vcc_lo
	s_and_saveexec_b32 s3, s2
	s_cbranch_execz .LBB133_14
; %bb.1:
	s_load_b64 s[4:5], s[0:1], 0x34
	s_waitcnt lgkmcnt(0)
	s_cmpk_lt_i32 s4, 0x7a
	s_cbranch_scc1 .LBB133_4
; %bb.2:
	s_cmpk_gt_i32 s4, 0x7a
	s_cbranch_scc0 .LBB133_5
; %bb.3:
	s_cmpk_lg_i32 s4, 0x7b
	s_mov_b32 s3, -1
	s_cselect_b32 s6, -1, 0
	s_cbranch_execz .LBB133_6
	s_branch .LBB133_7
.LBB133_4:
	s_mov_b32 s6, 0
	s_mov_b32 s3, 0
	s_cbranch_execnz .LBB133_8
	s_branch .LBB133_10
.LBB133_5:
	s_mov_b32 s3, 0
	s_mov_b32 s6, 0
.LBB133_6:
	v_cmp_gt_u32_e32 vcc_lo, v0, v1
	v_cmp_le_u32_e64 s2, v0, v1
	s_and_not1_b32 s3, s3, exec_lo
	s_and_not1_b32 s6, s6, exec_lo
	s_and_b32 s7, vcc_lo, exec_lo
	s_delay_alu instid0(VALU_DEP_1)
	s_and_b32 s2, s2, exec_lo
	s_or_b32 s3, s3, s7
	s_or_b32 s6, s6, s2
.LBB133_7:
	s_branch .LBB133_10
.LBB133_8:
	s_cmpk_eq_i32 s4, 0x79
	s_mov_b32 s6, -1
	s_cbranch_scc0 .LBB133_10
; %bb.9:
	v_cmp_gt_u32_e32 vcc_lo, v1, v0
	v_cmp_le_u32_e64 s2, v1, v0
	s_and_not1_b32 s3, s3, exec_lo
	s_and_b32 s4, vcc_lo, exec_lo
	s_delay_alu instid0(VALU_DEP_1)
	s_or_not1_b32 s6, s2, exec_lo
	s_or_b32 s3, s3, s4
.LBB133_10:
	s_and_saveexec_b32 s2, s6
; %bb.11:
	v_cmp_eq_u32_e32 vcc_lo, v0, v1
	s_cmpk_eq_i32 s5, 0x83
	s_cselect_b32 s4, -1, 0
	s_and_not1_b32 s3, s3, exec_lo
	s_and_b32 s4, s4, vcc_lo
	s_delay_alu instid0(SALU_CYCLE_1) | instskip(NEXT) | instid1(SALU_CYCLE_1)
	s_and_b32 s4, s4, exec_lo
	s_or_b32 s3, s3, s4
; %bb.12:
	s_or_b32 exec_lo, exec_lo, s2
	s_delay_alu instid0(SALU_CYCLE_1)
	s_and_b32 exec_lo, exec_lo, s3
	s_cbranch_execz .LBB133_14
; %bb.13:
	s_load_b256 s[0:7], s[0:1], 0x10
	s_ashr_i32 s12, s10, 31
	s_mul_i32 s16, s9, s15
	s_ashr_i32 s11, s9, 31
	s_mul_i32 s17, s16, s12
	s_mul_hi_u32 s14, s9, s15
	s_mul_i32 s11, s11, s15
	s_waitcnt lgkmcnt(0)
	s_mul_i32 s5, s15, s5
	s_mul_hi_u32 s12, s15, s4
	s_mul_i32 s4, s15, s4
	s_add_i32 s5, s12, s5
	s_ashr_i32 s13, s2, 31
	s_lshl_b64 s[4:5], s[4:5], 3
	s_mov_b32 s12, s2
	s_add_u32 s2, s0, s4
	s_addc_u32 s4, s1, s5
	s_lshl_b64 s[0:1], s[12:13], 3
	s_mul_hi_u32 s5, s16, s10
	s_add_u32 s2, s2, s0
	s_addc_u32 s4, s4, s1
	s_add_i32 s0, s14, s11
	s_add_i32 s1, s5, s17
	s_mul_i32 s5, s0, s10
	s_mul_i32 s0, s16, s10
	s_add_i32 s1, s1, s5
	s_delay_alu instid0(SALU_CYCLE_1) | instskip(NEXT) | instid1(SALU_CYCLE_1)
	s_lshl_b64 s[0:1], s[0:1], 3
	s_add_u32 s0, s6, s0
	s_addc_u32 s1, s7, s1
	s_cmp_eq_u32 s8, 0
	s_cselect_b32 s5, s3, s9
	s_cselect_b32 s6, s2, s0
	v_mad_u64_u32 v[2:3], null, v1, s5, v[0:1]
	v_mov_b32_e32 v3, 0
	s_cselect_b32 s5, s4, s1
	s_cselect_b32 s3, s9, s3
	;; [unrolled: 1-line block ×3, first 2 shown]
	v_mad_u64_u32 v[6:7], null, v1, s3, v[0:1]
	s_delay_alu instid0(VALU_DEP_3) | instskip(SKIP_2) | instid1(VALU_DEP_2)
	v_lshlrev_b64 v[4:5], 3, v[2:3]
	v_mov_b32_e32 v7, v3
	s_cselect_b32 s1, s1, s4
	v_add_co_u32 v4, vcc_lo, s6, v4
	s_delay_alu instid0(VALU_DEP_3) | instskip(NEXT) | instid1(VALU_DEP_3)
	v_add_co_ci_u32_e32 v5, vcc_lo, s5, v5, vcc_lo
	v_lshlrev_b64 v[0:1], 3, v[6:7]
	global_load_b64 v[4:5], v[4:5], off
	v_add_co_u32 v0, vcc_lo, s0, v0
	v_add_co_ci_u32_e32 v1, vcc_lo, s1, v1, vcc_lo
	s_waitcnt vmcnt(0)
	global_store_b64 v[0:1], v[4:5], off
.LBB133_14:
	s_nop 0
	s_sendmsg sendmsg(MSG_DEALLOC_VGPRS)
	s_endpgm
	.section	.rodata,"a",@progbits
	.p2align	6, 0x0
	.amdhsa_kernel _ZN9rocsolver6v33100L8copy_matI19rocblas_complex_numIfEPS3_NS0_7no_maskEEEvNS0_17copymat_directionEiiT0_iilPT_T1_13rocblas_fill_17rocblas_diagonal_
		.amdhsa_group_segment_fixed_size 0
		.amdhsa_private_segment_fixed_size 0
		.amdhsa_kernarg_size 320
		.amdhsa_user_sgpr_count 13
		.amdhsa_user_sgpr_dispatch_ptr 0
		.amdhsa_user_sgpr_queue_ptr 0
		.amdhsa_user_sgpr_kernarg_segment_ptr 1
		.amdhsa_user_sgpr_dispatch_id 0
		.amdhsa_user_sgpr_private_segment_size 0
		.amdhsa_wavefront_size32 1
		.amdhsa_uses_dynamic_stack 0
		.amdhsa_enable_private_segment 0
		.amdhsa_system_sgpr_workgroup_id_x 1
		.amdhsa_system_sgpr_workgroup_id_y 1
		.amdhsa_system_sgpr_workgroup_id_z 1
		.amdhsa_system_sgpr_workgroup_info 0
		.amdhsa_system_vgpr_workitem_id 1
		.amdhsa_next_free_vgpr 8
		.amdhsa_next_free_sgpr 18
		.amdhsa_reserve_vcc 1
		.amdhsa_float_round_mode_32 0
		.amdhsa_float_round_mode_16_64 0
		.amdhsa_float_denorm_mode_32 3
		.amdhsa_float_denorm_mode_16_64 3
		.amdhsa_dx10_clamp 1
		.amdhsa_ieee_mode 1
		.amdhsa_fp16_overflow 0
		.amdhsa_workgroup_processor_mode 1
		.amdhsa_memory_ordered 1
		.amdhsa_forward_progress 0
		.amdhsa_shared_vgpr_count 0
		.amdhsa_exception_fp_ieee_invalid_op 0
		.amdhsa_exception_fp_denorm_src 0
		.amdhsa_exception_fp_ieee_div_zero 0
		.amdhsa_exception_fp_ieee_overflow 0
		.amdhsa_exception_fp_ieee_underflow 0
		.amdhsa_exception_fp_ieee_inexact 0
		.amdhsa_exception_int_div_zero 0
	.end_amdhsa_kernel
	.section	.text._ZN9rocsolver6v33100L8copy_matI19rocblas_complex_numIfEPS3_NS0_7no_maskEEEvNS0_17copymat_directionEiiT0_iilPT_T1_13rocblas_fill_17rocblas_diagonal_,"axG",@progbits,_ZN9rocsolver6v33100L8copy_matI19rocblas_complex_numIfEPS3_NS0_7no_maskEEEvNS0_17copymat_directionEiiT0_iilPT_T1_13rocblas_fill_17rocblas_diagonal_,comdat
.Lfunc_end133:
	.size	_ZN9rocsolver6v33100L8copy_matI19rocblas_complex_numIfEPS3_NS0_7no_maskEEEvNS0_17copymat_directionEiiT0_iilPT_T1_13rocblas_fill_17rocblas_diagonal_, .Lfunc_end133-_ZN9rocsolver6v33100L8copy_matI19rocblas_complex_numIfEPS3_NS0_7no_maskEEEvNS0_17copymat_directionEiiT0_iilPT_T1_13rocblas_fill_17rocblas_diagonal_
                                        ; -- End function
	.section	.AMDGPU.csdata,"",@progbits
; Kernel info:
; codeLenInByte = 572
; NumSgprs: 20
; NumVgprs: 8
; ScratchSize: 0
; MemoryBound: 0
; FloatMode: 240
; IeeeMode: 1
; LDSByteSize: 0 bytes/workgroup (compile time only)
; SGPRBlocks: 2
; VGPRBlocks: 0
; NumSGPRsForWavesPerEU: 20
; NumVGPRsForWavesPerEU: 8
; Occupancy: 16
; WaveLimiterHint : 0
; COMPUTE_PGM_RSRC2:SCRATCH_EN: 0
; COMPUTE_PGM_RSRC2:USER_SGPR: 13
; COMPUTE_PGM_RSRC2:TRAP_HANDLER: 0
; COMPUTE_PGM_RSRC2:TGID_X_EN: 1
; COMPUTE_PGM_RSRC2:TGID_Y_EN: 1
; COMPUTE_PGM_RSRC2:TGID_Z_EN: 1
; COMPUTE_PGM_RSRC2:TIDIG_COMP_CNT: 1
	.section	.text._ZN9rocsolver6v33100L26latrd_lower_updateA_kernelI19rocblas_complex_numIfEPS3_EEviiT0_iilPT_iil,"axG",@progbits,_ZN9rocsolver6v33100L26latrd_lower_updateA_kernelI19rocblas_complex_numIfEPS3_EEviiT0_iilPT_iil,comdat
	.globl	_ZN9rocsolver6v33100L26latrd_lower_updateA_kernelI19rocblas_complex_numIfEPS3_EEviiT0_iilPT_iil ; -- Begin function _ZN9rocsolver6v33100L26latrd_lower_updateA_kernelI19rocblas_complex_numIfEPS3_EEviiT0_iilPT_iil
	.p2align	8
	.type	_ZN9rocsolver6v33100L26latrd_lower_updateA_kernelI19rocblas_complex_numIfEPS3_EEviiT0_iilPT_iil,@function
_ZN9rocsolver6v33100L26latrd_lower_updateA_kernelI19rocblas_complex_numIfEPS3_EEviiT0_iilPT_iil: ; @_ZN9rocsolver6v33100L26latrd_lower_updateA_kernelI19rocblas_complex_numIfEPS3_EEviiT0_iilPT_iil
; %bb.0:
	s_clause 0x2
	s_load_b32 s2, s[0:1], 0x44
	s_load_b64 s[22:23], s[0:1], 0x38
	s_load_b64 s[20:21], s[0:1], 0x0
	s_mov_b32 s25, 0
	s_waitcnt lgkmcnt(0)
	s_and_b32 s12, s2, 0xffff
	s_sub_i32 s20, s20, s21
	v_cvt_f32_u32_e32 v1, s12
	s_sub_i32 s4, 0, s12
	s_add_i32 s5, s20, -1
	s_delay_alu instid0(SALU_CYCLE_1) | instskip(NEXT) | instid1(VALU_DEP_1)
	s_abs_i32 s6, s5
	v_rcp_iflag_f32_e32 v1, v1
	s_ashr_i32 s5, s5, 31
	s_waitcnt_depctr 0xfff
	v_mul_f32_e32 v1, 0x4f7ffffe, v1
	s_delay_alu instid0(VALU_DEP_1) | instskip(NEXT) | instid1(VALU_DEP_1)
	v_cvt_u32_f32_e32 v1, v1
	v_readfirstlane_b32 s3, v1
	s_delay_alu instid0(VALU_DEP_1) | instskip(NEXT) | instid1(SALU_CYCLE_1)
	s_mul_i32 s4, s4, s3
	s_mul_hi_u32 s4, s3, s4
	s_delay_alu instid0(SALU_CYCLE_1) | instskip(NEXT) | instid1(SALU_CYCLE_1)
	s_add_i32 s3, s3, s4
	s_mul_hi_u32 s3, s6, s3
	s_delay_alu instid0(SALU_CYCLE_1) | instskip(NEXT) | instid1(SALU_CYCLE_1)
	s_mul_i32 s4, s3, s12
	s_sub_i32 s4, s6, s4
	s_add_i32 s6, s3, 1
	s_sub_i32 s7, s4, s12
	s_cmp_ge_u32 s4, s12
	s_cselect_b32 s3, s6, s3
	s_cselect_b32 s4, s7, s4
	s_add_i32 s6, s3, 1
	s_cmp_ge_u32 s4, s12
	s_cselect_b32 s3, s6, s3
	s_abs_i32 s4, s22
	s_xor_b32 s3, s3, s5
	v_cvt_f32_u32_e32 v1, s4
	s_sub_i32 s7, 0, s4
	s_sub_i32 s3, s3, s5
	s_delay_alu instid0(VALU_DEP_1) | instskip(SKIP_2) | instid1(VALU_DEP_1)
	v_rcp_iflag_f32_e32 v1, v1
	s_waitcnt_depctr 0xfff
	v_mul_f32_e32 v1, 0x4f7ffffe, v1
	v_cvt_u32_f32_e32 v1, v1
	s_delay_alu instid0(VALU_DEP_1) | instskip(NEXT) | instid1(VALU_DEP_1)
	v_readfirstlane_b32 s6, v1
	s_mul_i32 s7, s7, s6
	s_delay_alu instid0(SALU_CYCLE_1)
	s_mul_hi_u32 s5, s6, s7
	s_abs_i32 s7, s3
	s_add_i32 s6, s6, s5
	s_xor_b32 s3, s3, s22
	s_mul_hi_u32 s5, s7, s6
	s_ashr_i32 s3, s3, 31
	s_mul_i32 s6, s5, s4
	s_delay_alu instid0(SALU_CYCLE_1)
	s_sub_i32 s6, s7, s6
	s_add_i32 s7, s5, 1
	s_sub_i32 s8, s6, s4
	s_cmp_ge_u32 s6, s4
	s_cselect_b32 s5, s7, s5
	s_cselect_b32 s6, s8, s6
	s_add_i32 s7, s5, 1
	s_cmp_ge_u32 s6, s4
	s_cselect_b32 s4, s7, s5
	s_delay_alu instid0(SALU_CYCLE_1) | instskip(NEXT) | instid1(SALU_CYCLE_1)
	s_xor_b32 s4, s4, s3
	s_sub_i32 s24, s4, s3
	s_delay_alu instid0(SALU_CYCLE_1)
	s_cmp_lt_i32 s24, 0
	s_cbranch_scc1 .LBB134_20
; %bb.1:
	s_clause 0x1
	s_load_b256 s[4:11], s[0:1], 0x8
	s_load_b128 s[16:19], s[0:1], 0x28
	s_lshr_b32 s26, s2, 16
	s_ashr_i32 s27, s15, 31
	v_cvt_f32_u32_e32 v1, s26
	s_delay_alu instid0(VALU_DEP_1)
	v_rcp_iflag_f32_e32 v1, v1
	s_waitcnt_depctr 0xfff
	v_mul_f32_e32 v1, 0x4f7ffffe, v1
	s_waitcnt lgkmcnt(0)
	s_mul_i32 s2, s15, s9
	s_mul_hi_u32 s3, s15, s8
	s_ashr_i32 s1, s6, 31
	s_mov_b32 s0, s6
	s_mul_i32 s6, s27, s8
	s_add_i32 s3, s3, s2
	s_mul_i32 s2, s15, s8
	s_add_i32 s3, s3, s6
	s_mul_i32 s6, s15, s19
	s_lshl_b64 s[2:3], s[2:3], 3
	s_mul_hi_u32 s8, s15, s18
	s_add_u32 s2, s4, s2
	s_addc_u32 s3, s5, s3
	s_lshl_b64 s[0:1], s[0:1], 3
	s_mul_i32 s27, s27, s18
	s_add_u32 s9, s2, s0
	s_addc_u32 s19, s3, s1
	s_add_i32 s1, s8, s6
	s_mul_i32 s0, s15, s18
	s_add_i32 s1, s1, s27
	s_mov_b32 s2, s16
	s_lshl_b64 s[0:1], s[0:1], 3
	s_ashr_i32 s3, s16, 31
	s_add_u32 s4, s10, s0
	s_addc_u32 s5, s11, s1
	s_lshl_b64 s[0:1], s[2:3], 3
	v_cvt_u32_f32_e32 v1, v1
	s_add_u32 s10, s4, s0
	s_addc_u32 s11, s5, s1
	s_ashr_i32 s1, s21, 31
	s_ashr_i32 s0, s7, 31
	s_add_u32 s2, s7, 1
	s_addc_u32 s0, s0, 0
	s_mul_i32 s3, s2, s1
	s_mul_hi_u32 s4, s2, s21
	s_mul_i32 s0, s0, s21
	s_add_i32 s3, s4, s3
	s_mul_i32 s2, s2, s21
	s_add_i32 s3, s3, s0
	s_mov_b32 s0, s21
	s_lshl_b64 s[2:3], s[2:3], 3
	s_mul_i32 s18, s22, s12
	s_add_u32 s4, s9, s2
	s_addc_u32 s5, s19, s3
	s_lshl_b64 s[0:1], s[0:1], 3
	v_readfirstlane_b32 s2, v1
	s_add_u32 s6, s9, s0
	s_addc_u32 s8, s19, s1
	s_add_u32 s9, s10, s0
	s_addc_u32 s10, s11, s1
	s_sub_i32 s0, 0, s26
	s_add_i32 s1, s21, -1
	s_mul_i32 s0, s0, s2
	s_abs_i32 s3, s1
	s_mul_hi_u32 s0, s2, s0
	s_ashr_i32 s1, s1, 31
	s_add_i32 s2, s2, s0
	s_delay_alu instid0(SALU_CYCLE_1) | instskip(NEXT) | instid1(SALU_CYCLE_1)
	s_mul_hi_u32 s0, s3, s2
	s_mul_i32 s2, s0, s26
	s_delay_alu instid0(SALU_CYCLE_1)
	s_sub_i32 s2, s3, s2
	s_add_i32 s3, s0, 1
	s_sub_i32 s11, s2, s26
	s_cmp_ge_u32 s2, s26
	s_cselect_b32 s0, s3, s0
	s_cselect_b32 s2, s11, s2
	s_add_i32 s3, s0, 1
	s_cmp_ge_u32 s2, s26
	s_mul_i32 s11, s23, s26
	s_cselect_b32 s0, s3, s0
	s_abs_i32 s2, s23
	s_xor_b32 s0, s0, s1
	v_cvt_f32_u32_e32 v1, s2
	s_sub_i32 s0, s0, s1
	s_delay_alu instid0(VALU_DEP_1) | instskip(SKIP_2) | instid1(VALU_DEP_1)
	v_rcp_iflag_f32_e32 v1, v1
	s_waitcnt_depctr 0xfff
	v_mul_f32_e32 v1, 0x4f7ffffe, v1
	v_cvt_u32_f32_e32 v2, v1
	v_bfe_u32 v1, v0, 10, 10
	v_and_b32_e32 v0, 0x3ff, v0
	s_delay_alu instid0(VALU_DEP_3) | instskip(NEXT) | instid1(VALU_DEP_3)
	v_readfirstlane_b32 s3, v2
	v_mad_u64_u32 v[2:3], null, s14, s26, v[1:2]
	s_sub_i32 s14, 0, s2
	v_mul_u32_u24_e32 v5, s12, v1
	s_delay_alu instid0(VALU_DEP_3)
	s_mul_i32 s14, s14, s3
	v_lshl_add_u32 v15, v0, 3, 0
	s_mul_hi_u32 s1, s3, s14
	s_abs_i32 s14, s0
	s_add_i32 s3, s3, s1
	s_xor_b32 s0, s0, s23
	s_mul_hi_u32 s1, s14, s3
	s_ashr_i32 s15, s0, 31
	s_mul_i32 s3, s1, s2
	v_mad_u64_u32 v[3:4], null, s13, s12, v[0:1]
	s_sub_i32 s3, s14, s3
	s_add_i32 s14, s1, 1
	s_sub_i32 s16, s3, s2
	s_cmp_ge_u32 s3, s2
	v_mul_lo_u32 v17, s7, v2
	s_cselect_b32 s1, s14, s1
	s_cselect_b32 s3, s16, s3
	s_add_i32 s14, s1, 1
	s_cmp_ge_u32 s3, s2
	v_mul_lo_u32 v18, s17, v2
	s_cselect_b32 s1, s14, s1
	v_cmp_eq_u32_e64 s0, 0, v1
	s_xor_b32 s2, s1, s15
	v_lshl_add_u32 v16, v5, 3, v15
	s_sub_i32 s15, s2, s15
	v_cmp_eq_u32_e64 s1, 0, v2
	v_cmp_gt_u16_e64 s16, s26, 1
	s_cmp_gt_i32 s15, -1
	s_mul_i32 s7, s11, s7
	s_cselect_b32 s14, -1, 0
	s_add_i32 s15, s15, 1
	s_mul_i32 s17, s11, s17
	s_branch .LBB134_3
.LBB134_2:                              ;   in Loop: Header=BB134_3 Depth=1
	s_or_b32 exec_lo, exec_lo, s2
	v_add_nc_u32_e32 v3, s18, v3
	s_add_i32 s2, s25, 1
	s_cmp_eq_u32 s25, s24
	s_mov_b32 s25, s2
	s_cbranch_scc1 .LBB134_20
.LBB134_3:                              ; =>This Loop Header: Depth=1
                                        ;     Child Loop BB134_12 Depth 2
                                        ;     Child Loop BB134_9 Depth 2
	s_mul_i32 s2, s25, s22
	v_dual_mov_b32 v6, 0 :: v_dual_mov_b32 v7, 0
	s_add_i32 s2, s2, s13
	s_delay_alu instid0(SALU_CYCLE_1) | instskip(NEXT) | instid1(VALU_DEP_1)
	v_mad_u64_u32 v[4:5], null, s2, s12, v[0:1]
	v_cmp_gt_i32_e64 s2, s20, v4
	v_ashrrev_i32_e32 v5, 31, v4
	s_delay_alu instid0(VALU_DEP_2) | instskip(NEXT) | instid1(SALU_CYCLE_1)
	s_and_b32 s19, s1, s2
	s_and_saveexec_b32 s3, s19
	s_cbranch_execz .LBB134_5
; %bb.4:                                ;   in Loop: Header=BB134_3 Depth=1
	s_delay_alu instid0(VALU_DEP_1) | instskip(NEXT) | instid1(VALU_DEP_1)
	v_lshlrev_b64 v[6:7], 3, v[4:5]
	v_add_co_u32 v6, vcc_lo, s4, v6
	s_delay_alu instid0(VALU_DEP_2)
	v_add_co_ci_u32_e32 v7, vcc_lo, s5, v7, vcc_lo
	global_load_b64 v[6:7], v[6:7], off
.LBB134_5:                              ;   in Loop: Header=BB134_3 Depth=1
	s_or_b32 exec_lo, exec_lo, s3
	v_dual_mov_b32 v19, v2 :: v_dual_mov_b32 v10, v17
	v_mov_b32_e32 v8, v18
	s_and_not1_b32 vcc_lo, exec_lo, s14
	s_mov_b32 s19, s15
	s_cbranch_vccz .LBB134_12
.LBB134_6:                              ;   in Loop: Header=BB134_3 Depth=1
	s_and_not1_b32 vcc_lo, exec_lo, s16
	s_mov_b32 s3, s26
	s_waitcnt vmcnt(0)
	ds_store_b64 v16, v[6:7]
	s_waitcnt lgkmcnt(0)
	s_waitcnt_vscnt null, 0x0
	s_barrier
	buffer_gl0_inv
	s_cbranch_vccnz .LBB134_18
	.p2align	6
; %bb.7:                                ;   in Loop: Header=BB134_3 Depth=1
	s_lshr_b32 s19, s3, 1
	s_mov_b32 s23, exec_lo
	v_cmpx_gt_u32_e64 s19, v1
	s_cbranch_execz .LBB134_9
.LBB134_8:                              ;   in Loop: Header=BB134_3 Depth=1
	v_add_nc_u32_e32 v8, s19, v1
	s_delay_alu instid0(VALU_DEP_1) | instskip(NEXT) | instid1(VALU_DEP_1)
	v_mul_u32_u24_e32 v8, s12, v8
	v_lshl_add_u32 v8, v8, 3, v15
	ds_load_b64 v[8:9], v8
	s_waitcnt lgkmcnt(0)
	v_dual_add_f32 v6, v6, v8 :: v_dual_add_f32 v7, v7, v9
	ds_store_b64 v16, v[6:7]
.LBB134_9:                              ;   Parent Loop BB134_3 Depth=1
                                        ; =>  This Inner Loop Header: Depth=2
	s_or_b32 exec_lo, exec_lo, s23
	s_cmp_lt_u32 s3, 4
	s_waitcnt lgkmcnt(0)
	s_barrier
	buffer_gl0_inv
	s_cbranch_scc1 .LBB134_18
; %bb.10:                               ;   in Loop: Header=BB134_9 Depth=2
	s_mov_b32 s3, s19
	s_delay_alu instid0(SALU_CYCLE_1)
	s_lshr_b32 s19, s3, 1
	s_mov_b32 s23, exec_lo
	v_cmpx_gt_u32_e64 s19, v1
	s_cbranch_execnz .LBB134_8
	s_branch .LBB134_9
.LBB134_11:                             ;   in Loop: Header=BB134_12 Depth=2
	s_or_b32 exec_lo, exec_lo, s3
	v_add_nc_u32_e32 v10, s7, v10
	v_add_nc_u32_e32 v8, s17, v8
	v_add_nc_u32_e32 v19, s11, v19
	s_add_i32 s19, s19, -1
	s_delay_alu instid0(SALU_CYCLE_1)
	s_cmp_eq_u32 s19, 0
	s_cbranch_scc1 .LBB134_6
.LBB134_12:                             ;   Parent Loop BB134_3 Depth=1
                                        ; =>  This Inner Loop Header: Depth=2
	s_delay_alu instid0(VALU_DEP_1)
	v_cmp_gt_i32_e32 vcc_lo, s21, v19
	v_dual_mov_b32 v11, 0 :: v_dual_mov_b32 v12, 0
	v_mov_b32_e32 v9, 0
	s_and_saveexec_b32 s23, vcc_lo
	s_cbranch_execnz .LBB134_15
; %bb.13:                               ;   in Loop: Header=BB134_12 Depth=2
	s_or_b32 exec_lo, exec_lo, s23
	v_mov_b32_e32 v13, 0
	s_and_saveexec_b32 s23, vcc_lo
	s_cbranch_execnz .LBB134_16
.LBB134_14:                             ;   in Loop: Header=BB134_12 Depth=2
	s_or_b32 exec_lo, exec_lo, s23
	s_and_b32 s23, s2, vcc_lo
	s_delay_alu instid0(SALU_CYCLE_1)
	s_and_saveexec_b32 s3, s23
	s_cbranch_execz .LBB134_11
	s_branch .LBB134_17
.LBB134_15:                             ;   in Loop: Header=BB134_12 Depth=2
	v_ashrrev_i32_e32 v9, 31, v8
	s_delay_alu instid0(VALU_DEP_1) | instskip(NEXT) | instid1(VALU_DEP_1)
	v_lshlrev_b64 v[12:13], 3, v[8:9]
	v_add_co_u32 v12, s3, s9, v12
	s_delay_alu instid0(VALU_DEP_1)
	v_add_co_ci_u32_e64 v13, s3, s10, v13, s3
	global_load_b64 v[12:13], v[12:13], off
	s_waitcnt vmcnt(0)
	v_xor_b32_e32 v9, 0x80000000, v13
	s_or_b32 exec_lo, exec_lo, s23
	v_mov_b32_e32 v13, 0
	s_and_saveexec_b32 s23, vcc_lo
	s_cbranch_execz .LBB134_14
.LBB134_16:                             ;   in Loop: Header=BB134_12 Depth=2
	v_ashrrev_i32_e32 v11, 31, v10
	s_delay_alu instid0(VALU_DEP_1) | instskip(NEXT) | instid1(VALU_DEP_1)
	v_lshlrev_b64 v[13:14], 3, v[10:11]
	v_add_co_u32 v13, s3, s6, v13
	s_delay_alu instid0(VALU_DEP_1)
	v_add_co_ci_u32_e64 v14, s3, s8, v14, s3
	global_load_b64 v[13:14], v[13:14], off
	s_waitcnt vmcnt(0)
	v_xor_b32_e32 v11, 0x80000000, v14
	s_or_b32 exec_lo, exec_lo, s23
	s_and_b32 s23, s2, vcc_lo
	s_delay_alu instid0(SALU_CYCLE_1)
	s_and_saveexec_b32 s3, s23
	s_cbranch_execz .LBB134_11
.LBB134_17:                             ;   in Loop: Header=BB134_12 Depth=2
	v_add_nc_u32_e32 v20, v3, v10
	v_add_nc_u32_e32 v22, v3, v8
	s_delay_alu instid0(VALU_DEP_2) | instskip(NEXT) | instid1(VALU_DEP_2)
	v_ashrrev_i32_e32 v21, 31, v20
	v_ashrrev_i32_e32 v23, 31, v22
	s_delay_alu instid0(VALU_DEP_2) | instskip(NEXT) | instid1(VALU_DEP_2)
	v_lshlrev_b64 v[20:21], 3, v[20:21]
	v_lshlrev_b64 v[22:23], 3, v[22:23]
	s_delay_alu instid0(VALU_DEP_2) | instskip(NEXT) | instid1(VALU_DEP_3)
	v_add_co_u32 v20, vcc_lo, s6, v20
	v_add_co_ci_u32_e32 v21, vcc_lo, s8, v21, vcc_lo
	s_delay_alu instid0(VALU_DEP_3) | instskip(NEXT) | instid1(VALU_DEP_4)
	v_add_co_u32 v22, vcc_lo, s9, v22
	v_add_co_ci_u32_e32 v23, vcc_lo, s10, v23, vcc_lo
	global_load_b64 v[20:21], v[20:21], off
	global_load_b64 v[22:23], v[22:23], off
	s_waitcnt vmcnt(0)
	v_mul_f32_e32 v24, v11, v23
	v_mul_f32_e32 v23, v13, v23
	;; [unrolled: 1-line block ×4, first 2 shown]
	s_delay_alu instid0(VALU_DEP_3) | instskip(NEXT) | instid1(VALU_DEP_3)
	v_fmac_f32_e32 v23, v11, v22
	v_fma_f32 v12, v12, v20, -v14
	s_delay_alu instid0(VALU_DEP_3) | instskip(SKIP_1) | instid1(VALU_DEP_1)
	v_fmac_f32_e32 v21, v9, v20
	v_fma_f32 v9, v13, v22, -v24
	v_add_f32_e32 v9, v12, v9
	s_delay_alu instid0(VALU_DEP_1) | instskip(NEXT) | instid1(VALU_DEP_1)
	v_dual_add_f32 v11, v21, v23 :: v_dual_sub_f32 v6, v6, v9
	v_sub_f32_e32 v7, v7, v11
	s_branch .LBB134_11
.LBB134_18:                             ;   in Loop: Header=BB134_3 Depth=1
	s_and_b32 s3, s0, s2
	s_delay_alu instid0(SALU_CYCLE_1)
	s_and_saveexec_b32 s2, s3
	s_cbranch_execz .LBB134_2
; %bb.19:                               ;   in Loop: Header=BB134_3 Depth=1
	v_lshlrev_b64 v[4:5], 3, v[4:5]
	s_delay_alu instid0(VALU_DEP_1) | instskip(NEXT) | instid1(VALU_DEP_2)
	v_add_co_u32 v4, vcc_lo, s4, v4
	v_add_co_ci_u32_e32 v5, vcc_lo, s5, v5, vcc_lo
	global_store_b64 v[4:5], v[6:7], off
	s_branch .LBB134_2
.LBB134_20:
	s_nop 0
	s_sendmsg sendmsg(MSG_DEALLOC_VGPRS)
	s_endpgm
	.section	.rodata,"a",@progbits
	.p2align	6, 0x0
	.amdhsa_kernel _ZN9rocsolver6v33100L26latrd_lower_updateA_kernelI19rocblas_complex_numIfEPS3_EEviiT0_iilPT_iil
		.amdhsa_group_segment_fixed_size 0
		.amdhsa_private_segment_fixed_size 0
		.amdhsa_kernarg_size 312
		.amdhsa_user_sgpr_count 13
		.amdhsa_user_sgpr_dispatch_ptr 0
		.amdhsa_user_sgpr_queue_ptr 0
		.amdhsa_user_sgpr_kernarg_segment_ptr 1
		.amdhsa_user_sgpr_dispatch_id 0
		.amdhsa_user_sgpr_private_segment_size 0
		.amdhsa_wavefront_size32 1
		.amdhsa_uses_dynamic_stack 0
		.amdhsa_enable_private_segment 0
		.amdhsa_system_sgpr_workgroup_id_x 1
		.amdhsa_system_sgpr_workgroup_id_y 1
		.amdhsa_system_sgpr_workgroup_id_z 1
		.amdhsa_system_sgpr_workgroup_info 0
		.amdhsa_system_vgpr_workitem_id 1
		.amdhsa_next_free_vgpr 25
		.amdhsa_next_free_sgpr 28
		.amdhsa_reserve_vcc 1
		.amdhsa_float_round_mode_32 0
		.amdhsa_float_round_mode_16_64 0
		.amdhsa_float_denorm_mode_32 3
		.amdhsa_float_denorm_mode_16_64 3
		.amdhsa_dx10_clamp 1
		.amdhsa_ieee_mode 1
		.amdhsa_fp16_overflow 0
		.amdhsa_workgroup_processor_mode 1
		.amdhsa_memory_ordered 1
		.amdhsa_forward_progress 0
		.amdhsa_shared_vgpr_count 0
		.amdhsa_exception_fp_ieee_invalid_op 0
		.amdhsa_exception_fp_denorm_src 0
		.amdhsa_exception_fp_ieee_div_zero 0
		.amdhsa_exception_fp_ieee_overflow 0
		.amdhsa_exception_fp_ieee_underflow 0
		.amdhsa_exception_fp_ieee_inexact 0
		.amdhsa_exception_int_div_zero 0
	.end_amdhsa_kernel
	.section	.text._ZN9rocsolver6v33100L26latrd_lower_updateA_kernelI19rocblas_complex_numIfEPS3_EEviiT0_iilPT_iil,"axG",@progbits,_ZN9rocsolver6v33100L26latrd_lower_updateA_kernelI19rocblas_complex_numIfEPS3_EEviiT0_iilPT_iil,comdat
.Lfunc_end134:
	.size	_ZN9rocsolver6v33100L26latrd_lower_updateA_kernelI19rocblas_complex_numIfEPS3_EEviiT0_iilPT_iil, .Lfunc_end134-_ZN9rocsolver6v33100L26latrd_lower_updateA_kernelI19rocblas_complex_numIfEPS3_EEviiT0_iilPT_iil
                                        ; -- End function
	.section	.AMDGPU.csdata,"",@progbits
; Kernel info:
; codeLenInByte = 1700
; NumSgprs: 30
; NumVgprs: 25
; ScratchSize: 0
; MemoryBound: 0
; FloatMode: 240
; IeeeMode: 1
; LDSByteSize: 0 bytes/workgroup (compile time only)
; SGPRBlocks: 3
; VGPRBlocks: 3
; NumSGPRsForWavesPerEU: 30
; NumVGPRsForWavesPerEU: 25
; Occupancy: 16
; WaveLimiterHint : 0
; COMPUTE_PGM_RSRC2:SCRATCH_EN: 0
; COMPUTE_PGM_RSRC2:USER_SGPR: 13
; COMPUTE_PGM_RSRC2:TRAP_HANDLER: 0
; COMPUTE_PGM_RSRC2:TGID_X_EN: 1
; COMPUTE_PGM_RSRC2:TGID_Y_EN: 1
; COMPUTE_PGM_RSRC2:TGID_Z_EN: 1
; COMPUTE_PGM_RSRC2:TIDIG_COMP_CNT: 1
	.section	.text._ZN9rocsolver6v33100L33latrd_lower_computeW_gemvt_kernelILi256E19rocblas_complex_numIfEPS3_EEviiT1_iilPT0_iilS7_iilS7_l,"axG",@progbits,_ZN9rocsolver6v33100L33latrd_lower_computeW_gemvt_kernelILi256E19rocblas_complex_numIfEPS3_EEviiT1_iilPT0_iilS7_iilS7_l,comdat
	.globl	_ZN9rocsolver6v33100L33latrd_lower_computeW_gemvt_kernelILi256E19rocblas_complex_numIfEPS3_EEviiT1_iilPT0_iilS7_iilS7_l ; -- Begin function _ZN9rocsolver6v33100L33latrd_lower_computeW_gemvt_kernelILi256E19rocblas_complex_numIfEPS3_EEviiT1_iilPT0_iilS7_iilS7_l
	.p2align	8
	.type	_ZN9rocsolver6v33100L33latrd_lower_computeW_gemvt_kernelILi256E19rocblas_complex_numIfEPS3_EEviiT1_iilPT0_iilS7_iilS7_l,@function
_ZN9rocsolver6v33100L33latrd_lower_computeW_gemvt_kernelILi256E19rocblas_complex_numIfEPS3_EEviiT1_iilPT0_iilS7_iilS7_l: ; @_ZN9rocsolver6v33100L33latrd_lower_computeW_gemvt_kernelILi256E19rocblas_complex_numIfEPS3_EEviiT1_iilPT0_iilS7_iilS7_l
; %bb.0:
	s_clause 0x1
	s_load_b64 s[20:21], s[0:1], 0x0
	s_load_b128 s[16:19], s[0:1], 0x30
	s_ashr_i32 s27, s15, 31
	v_dual_mov_b32 v2, 0 :: v_dual_mov_b32 v1, 0
	s_mov_b32 s4, -1
	s_waitcnt lgkmcnt(0)
	s_cmp_lt_i32 s14, s21
	s_cselect_b32 s26, -1, 0
	s_delay_alu instid0(SALU_CYCLE_1) | instskip(SKIP_1) | instid1(SALU_CYCLE_1)
	s_and_b32 s2, s26, exec_lo
	s_cselect_b32 s2, 0, s21
	s_sub_i32 s2, s14, s2
	s_delay_alu instid0(SALU_CYCLE_1)
	s_ashr_i32 s3, s2, 31
	s_cmp_eq_u32 s2, s21
	s_cbranch_scc1 .LBB135_11
; %bb.1:
	s_clause 0x1
	s_load_b256 s[4:11], s[0:1], 0x8
	s_load_b64 s[28:29], s[0:1], 0x28
	s_mul_i32 s30, s15, s17
	s_mul_hi_u32 s31, s15, s16
	v_dual_mov_b32 v3, 0 :: v_dual_mov_b32 v4, 0
	s_waitcnt lgkmcnt(0)
	s_mul_i32 s9, s15, s9
	s_mul_hi_u32 s12, s15, s8
	s_mul_i32 s13, s27, s8
	s_add_i32 s9, s12, s9
	s_mul_i32 s8, s15, s8
	s_add_i32 s9, s9, s13
	s_ashr_i32 s13, s6, 31
	s_lshl_b64 s[22:23], s[8:9], 3
	s_mov_b32 s12, s6
	s_add_u32 s6, s4, s22
	s_addc_u32 s8, s5, s23
	s_lshl_b64 s[24:25], s[12:13], 3
	s_mul_i32 s9, s27, s16
	s_add_u32 s14, s6, s24
	s_addc_u32 s17, s8, s25
	s_add_i32 s6, s31, s30
	s_mul_i32 s8, s15, s16
	s_add_i32 s9, s6, s9
	s_mov_b32 s12, s28
	s_lshl_b64 s[8:9], s[8:9], 3
	s_ashr_i32 s13, s28, 31
	s_add_u32 s6, s10, s8
	s_addc_u32 s11, s11, s9
	s_lshl_b64 s[8:9], s[12:13], 3
	s_mov_b32 s10, s21
	s_add_u32 s6, s6, s8
	s_addc_u32 s8, s11, s9
	s_not_b32 s16, s21
	s_ashr_i32 s13, s7, 31
	s_add_i32 s16, s16, s20
	s_ashr_i32 s11, s21, 31
	s_and_b32 s9, s26, exec_lo
	v_cmp_gt_i32_e32 vcc_lo, s16, v0
	s_cselect_b32 s12, s8, s17
	s_cselect_b32 s6, s6, s14
	s_lshl_b64 s[8:9], s[10:11], 3
	s_delay_alu instid0(SALU_CYCLE_1) | instskip(SKIP_4) | instid1(SALU_CYCLE_1)
	s_add_u32 s6, s6, s8
	s_addc_u32 s12, s12, s9
	s_and_b32 s20, s26, exec_lo
	v_cndmask_b32_e32 v1, 0, v0, vcc_lo
	s_cselect_b32 s20, s29, s7
	s_mul_hi_i32 s21, s20, s2
	s_mul_i32 s20, s20, s2
	s_delay_alu instid0(VALU_DEP_1) | instskip(SKIP_1) | instid1(SALU_CYCLE_1)
	v_lshlrev_b32_e32 v1, 3, v1
	s_lshl_b64 s[20:21], s[20:21], 3
	s_add_u32 s6, s20, s6
	s_addc_u32 s12, s21, s12
	s_ashr_i32 s20, s16, 31
	v_add_co_u32 v5, s6, s6, v1
	s_lshr_b32 s20, s20, 24
	v_add_co_ci_u32_e64 v6, null, s12, 0, s6
	s_add_i32 s6, s16, s20
	s_mov_b32 s12, s7
	s_and_b32 s6, s6, 0xffffff00
	s_cmpk_lt_i32 s16, 0x100
	s_cbranch_scc1 .LBB135_4
; %bb.2:
	s_lshl_b64 s[20:21], s[12:13], 3
	v_dual_mov_b32 v4, 0 :: v_dual_lshlrev_b32 v1, 3, v0
	s_add_u32 s7, s20, 8
	s_addc_u32 s13, s21, 0
	s_mul_i32 s11, s7, s11
	s_mul_hi_u32 s20, s7, s10
	s_mul_i32 s13, s13, s10
	s_add_i32 s11, s20, s11
	s_mul_i32 s7, s7, s10
	s_add_i32 s11, s11, s13
	s_add_u32 s7, s22, s7
	s_addc_u32 s11, s23, s11
	s_add_u32 s7, s7, s24
	s_addc_u32 s11, s11, s25
	;; [unrolled: 2-line block ×3, first 2 shown]
	v_add_co_u32 v1, s4, s4, v1
	s_delay_alu instid0(VALU_DEP_1)
	v_add_co_ci_u32_e64 v2, null, s5, 0, s4
	v_mov_b32_e32 v3, 0
	s_mov_b32 s7, 0
	s_mov_b64 s[4:5], 0
	.p2align	6
.LBB135_3:                              ; =>This Inner Loop Header: Depth=1
	s_delay_alu instid0(SALU_CYCLE_1)
	v_add_co_u32 v7, vcc_lo, v5, s4
	v_add_co_ci_u32_e32 v8, vcc_lo, s5, v6, vcc_lo
	v_add_co_u32 v9, vcc_lo, v1, s4
	v_add_co_ci_u32_e32 v10, vcc_lo, s5, v2, vcc_lo
	s_addk_i32 s7, 0x100
	global_load_b64 v[7:8], v[7:8], off offset:8
	global_load_b64 v[9:10], v[9:10], off offset:8
	s_add_u32 s4, s4, 0x800
	s_addc_u32 s5, s5, 0
	s_cmp_ge_i32 s7, s6
	s_waitcnt vmcnt(0)
	v_mul_f32_e32 v11, v8, v10
	v_mul_f32_e32 v8, v8, v9
	s_delay_alu instid0(VALU_DEP_2) | instskip(NEXT) | instid1(VALU_DEP_2)
	v_fmac_f32_e32 v11, v7, v9
	v_fma_f32 v7, v7, v10, -v8
	s_delay_alu instid0(VALU_DEP_2) | instskip(NEXT) | instid1(VALU_DEP_2)
	v_add_f32_e32 v4, v4, v11
	v_add_f32_e32 v3, v3, v7
	s_cbranch_scc0 .LBB135_3
.LBB135_4:
	v_add_nc_u32_e32 v1, s6, v0
	s_mov_b32 s4, exec_lo
	s_delay_alu instid0(VALU_DEP_1)
	v_cmpx_gt_i32_e64 s16, v1
	s_cbranch_execz .LBB135_6
; %bb.5:
	s_mul_hi_i32 s11, s12, s10
	s_mul_i32 s10, s12, s10
	v_ashrrev_i32_e32 v2, 31, v1
	s_lshl_b64 s[10:11], s[10:11], 3
	s_delay_alu instid0(SALU_CYCLE_1)
	s_add_u32 s5, s14, s10
	s_addc_u32 s7, s17, s11
	s_add_u32 s5, s5, s8
	s_addc_u32 s8, s7, s9
	s_ashr_i32 s7, s6, 31
	v_lshlrev_b64 v[1:2], 3, v[1:2]
	s_lshl_b64 s[6:7], s[6:7], 3
	s_delay_alu instid0(SALU_CYCLE_1) | instskip(SKIP_1) | instid1(VALU_DEP_3)
	v_add_co_u32 v5, vcc_lo, v5, s6
	v_add_co_ci_u32_e32 v6, vcc_lo, s7, v6, vcc_lo
	v_add_co_u32 v1, vcc_lo, s5, v1
	s_delay_alu instid0(VALU_DEP_4)
	v_add_co_ci_u32_e32 v2, vcc_lo, s8, v2, vcc_lo
	global_load_b64 v[5:6], v[5:6], off offset:8
	global_load_b64 v[1:2], v[1:2], off offset:8
	s_waitcnt vmcnt(0)
	v_mul_f32_e32 v7, v6, v2
	v_mul_f32_e32 v6, v6, v1
	s_delay_alu instid0(VALU_DEP_2) | instskip(NEXT) | instid1(VALU_DEP_2)
	v_fmac_f32_e32 v7, v5, v1
	v_fma_f32 v1, v5, v2, -v6
	s_delay_alu instid0(VALU_DEP_1)
	v_dual_add_f32 v4, v4, v7 :: v_dual_add_f32 v3, v3, v1
.LBB135_6:
	s_or_b32 exec_lo, exec_lo, s4
	v_mbcnt_lo_u32_b32 v1, -1, 0
	s_mov_b32 s4, 0
	s_mov_b32 s5, exec_lo
	s_delay_alu instid0(VALU_DEP_1) | instskip(SKIP_2) | instid1(VALU_DEP_2)
	v_cmp_ne_u32_e32 vcc_lo, 31, v1
	v_add_co_ci_u32_e32 v2, vcc_lo, 0, v1, vcc_lo
	v_cmp_gt_u32_e32 vcc_lo, 30, v1
	v_lshlrev_b32_e32 v2, 2, v2
	v_cndmask_b32_e64 v6, 0, 1, vcc_lo
	v_cmp_gt_u32_e32 vcc_lo, 28, v1
	ds_bpermute_b32 v5, v2, v4
	ds_bpermute_b32 v2, v2, v3
	v_lshlrev_b32_e32 v6, 1, v6
	s_delay_alu instid0(VALU_DEP_1)
	v_add_lshl_u32 v6, v6, v1, 2
	s_waitcnt lgkmcnt(1)
	v_add_f32_e32 v4, v4, v5
	s_waitcnt lgkmcnt(0)
	v_add_f32_e32 v2, v3, v2
	ds_bpermute_b32 v3, v6, v4
	ds_bpermute_b32 v5, v6, v2
	v_cndmask_b32_e64 v6, 0, 1, vcc_lo
	v_cmp_gt_u32_e32 vcc_lo, 24, v1
	s_delay_alu instid0(VALU_DEP_2) | instskip(NEXT) | instid1(VALU_DEP_1)
	v_lshlrev_b32_e32 v6, 2, v6
	v_add_lshl_u32 v6, v6, v1, 2
	s_waitcnt lgkmcnt(0)
	v_dual_add_f32 v3, v4, v3 :: v_dual_add_f32 v2, v2, v5
	ds_bpermute_b32 v4, v6, v3
	ds_bpermute_b32 v5, v6, v2
	v_cndmask_b32_e64 v6, 0, 1, vcc_lo
	v_cmp_gt_u32_e32 vcc_lo, 16, v1
	s_delay_alu instid0(VALU_DEP_2) | instskip(NEXT) | instid1(VALU_DEP_1)
	v_lshlrev_b32_e32 v6, 3, v6
	v_add_lshl_u32 v6, v6, v1, 2
	s_waitcnt lgkmcnt(0)
	v_dual_add_f32 v3, v3, v4 :: v_dual_add_f32 v2, v2, v5
	ds_bpermute_b32 v4, v6, v3
	ds_bpermute_b32 v5, v6, v2
	v_cndmask_b32_e64 v6, 0, 1, vcc_lo
	s_delay_alu instid0(VALU_DEP_1) | instskip(NEXT) | instid1(VALU_DEP_1)
	v_lshlrev_b32_e32 v6, 4, v6
	v_add_lshl_u32 v1, v6, v1, 2
	s_waitcnt lgkmcnt(0)
	v_dual_add_f32 v3, v3, v4 :: v_dual_add_f32 v2, v2, v5
	v_and_b32_e32 v5, 31, v0
	ds_bpermute_b32 v4, v1, v3
	ds_bpermute_b32 v1, v1, v2
	s_waitcnt lgkmcnt(0)
	v_dual_add_f32 v3, v3, v4 :: v_dual_add_f32 v4, v2, v1
	v_cmpx_eq_u32_e32 0, v5
	s_cbranch_execz .LBB135_8
; %bb.7:
	v_lshrrev_b32_e32 v1, 2, v0
	ds_store_b64 v1, v[3:4]
.LBB135_8:
	s_or_b32 exec_lo, exec_lo, s5
	v_dual_mov_b32 v2, 0 :: v_dual_mov_b32 v1, 0
	s_mov_b32 s5, exec_lo
	s_waitcnt lgkmcnt(0)
	s_barrier
	buffer_gl0_inv
	v_cmpx_eq_u32_e32 0, v0
	s_cbranch_execz .LBB135_10
; %bb.9:
	v_mov_b32_e32 v1, 0
	s_mov_b32 s4, exec_lo
	ds_load_2addr_b64 v[5:8], v1 offset0:1 offset1:2
	ds_load_2addr_b64 v[9:12], v1 offset0:3 offset1:4
	s_waitcnt lgkmcnt(1)
	v_add_f32_e32 v2, v3, v5
	ds_load_2addr_b64 v[13:16], v1 offset0:5 offset1:6
	v_dual_add_f32 v3, v4, v6 :: v_dual_add_f32 v4, v2, v7
	ds_load_b64 v[1:2], v1 offset:56
	s_waitcnt lgkmcnt(2)
	v_dual_add_f32 v3, v3, v8 :: v_dual_add_f32 v4, v4, v9
	s_delay_alu instid0(VALU_DEP_1) | instskip(SKIP_1) | instid1(VALU_DEP_1)
	v_dual_add_f32 v3, v3, v10 :: v_dual_add_f32 v4, v4, v11
	s_waitcnt lgkmcnt(1)
	v_dual_add_f32 v3, v3, v12 :: v_dual_add_f32 v4, v4, v13
	s_delay_alu instid0(VALU_DEP_1) | instskip(NEXT) | instid1(VALU_DEP_1)
	v_dual_add_f32 v3, v3, v14 :: v_dual_add_f32 v4, v4, v15
	v_add_f32_e32 v3, v3, v16
	s_waitcnt lgkmcnt(0)
	s_delay_alu instid0(VALU_DEP_1)
	v_dual_add_f32 v1, v4, v1 :: v_dual_add_f32 v2, v3, v2
.LBB135_10:
	s_or_b32 exec_lo, exec_lo, s5
.LBB135_11:
	s_and_saveexec_b32 s5, s4
	s_cbranch_execz .LBB135_14
; %bb.12:
	v_cmp_eq_u32_e32 vcc_lo, 0, v0
	s_and_b32 exec_lo, exec_lo, vcc_lo
	s_cbranch_execz .LBB135_14
; %bb.13:
	s_clause 0x2
	s_load_b32 s8, s[0:1], 0x40
	s_load_b64 s[10:11], s[0:1], 0x58
	s_load_b128 s[4:7], s[0:1], 0x48
	v_mov_b32_e32 v0, 0
	s_waitcnt lgkmcnt(0)
	s_ashr_i32 s9, s8, 31
	s_mul_i32 s1, s15, s11
	s_mul_hi_u32 s11, s15, s10
	s_mul_i32 s12, s27, s10
	s_add_i32 s1, s11, s1
	s_mul_i32 s0, s15, s10
	s_add_i32 s1, s1, s12
	s_mul_i32 s5, s15, s5
	s_lshl_b64 s[0:1], s[0:1], 3
	s_mul_hi_u32 s10, s15, s4
	s_add_u32 s6, s6, s0
	s_mul_i32 s11, s27, s4
	s_addc_u32 s7, s7, s1
	s_add_i32 s1, s10, s5
	s_mul_i32 s0, s15, s4
	s_add_i32 s1, s1, s11
	s_delay_alu instid0(SALU_CYCLE_1) | instskip(NEXT) | instid1(SALU_CYCLE_1)
	s_lshl_b64 s[0:1], s[0:1], 3
	s_add_u32 s4, s18, s0
	s_addc_u32 s5, s19, s1
	s_lshl_b64 s[0:1], s[8:9], 3
	s_delay_alu instid0(SALU_CYCLE_1)
	s_add_u32 s0, s4, s0
	s_addc_u32 s1, s5, s1
	s_and_b32 s4, s26, exec_lo
	s_cselect_b32 s4, s7, s1
	s_cselect_b32 s5, s6, s0
	s_lshl_b64 s[0:1], s[2:3], 3
	s_delay_alu instid0(SALU_CYCLE_1)
	s_add_u32 s0, s5, s0
	s_addc_u32 s1, s4, s1
	global_store_b64 v0, v[1:2], s[0:1]
.LBB135_14:
	s_nop 0
	s_sendmsg sendmsg(MSG_DEALLOC_VGPRS)
	s_endpgm
	.section	.rodata,"a",@progbits
	.p2align	6, 0x0
	.amdhsa_kernel _ZN9rocsolver6v33100L33latrd_lower_computeW_gemvt_kernelILi256E19rocblas_complex_numIfEPS3_EEviiT1_iilPT0_iilS7_iilS7_l
		.amdhsa_group_segment_fixed_size 2048
		.amdhsa_private_segment_fixed_size 0
		.amdhsa_kernarg_size 96
		.amdhsa_user_sgpr_count 14
		.amdhsa_user_sgpr_dispatch_ptr 0
		.amdhsa_user_sgpr_queue_ptr 0
		.amdhsa_user_sgpr_kernarg_segment_ptr 1
		.amdhsa_user_sgpr_dispatch_id 0
		.amdhsa_user_sgpr_private_segment_size 0
		.amdhsa_wavefront_size32 1
		.amdhsa_uses_dynamic_stack 0
		.amdhsa_enable_private_segment 0
		.amdhsa_system_sgpr_workgroup_id_x 1
		.amdhsa_system_sgpr_workgroup_id_y 0
		.amdhsa_system_sgpr_workgroup_id_z 1
		.amdhsa_system_sgpr_workgroup_info 0
		.amdhsa_system_vgpr_workitem_id 0
		.amdhsa_next_free_vgpr 17
		.amdhsa_next_free_sgpr 32
		.amdhsa_reserve_vcc 1
		.amdhsa_float_round_mode_32 0
		.amdhsa_float_round_mode_16_64 0
		.amdhsa_float_denorm_mode_32 3
		.amdhsa_float_denorm_mode_16_64 3
		.amdhsa_dx10_clamp 1
		.amdhsa_ieee_mode 1
		.amdhsa_fp16_overflow 0
		.amdhsa_workgroup_processor_mode 1
		.amdhsa_memory_ordered 1
		.amdhsa_forward_progress 0
		.amdhsa_shared_vgpr_count 0
		.amdhsa_exception_fp_ieee_invalid_op 0
		.amdhsa_exception_fp_denorm_src 0
		.amdhsa_exception_fp_ieee_div_zero 0
		.amdhsa_exception_fp_ieee_overflow 0
		.amdhsa_exception_fp_ieee_underflow 0
		.amdhsa_exception_fp_ieee_inexact 0
		.amdhsa_exception_int_div_zero 0
	.end_amdhsa_kernel
	.section	.text._ZN9rocsolver6v33100L33latrd_lower_computeW_gemvt_kernelILi256E19rocblas_complex_numIfEPS3_EEviiT1_iilPT0_iilS7_iilS7_l,"axG",@progbits,_ZN9rocsolver6v33100L33latrd_lower_computeW_gemvt_kernelILi256E19rocblas_complex_numIfEPS3_EEviiT1_iilPT0_iilS7_iilS7_l,comdat
.Lfunc_end135:
	.size	_ZN9rocsolver6v33100L33latrd_lower_computeW_gemvt_kernelILi256E19rocblas_complex_numIfEPS3_EEviiT1_iilPT0_iilS7_iilS7_l, .Lfunc_end135-_ZN9rocsolver6v33100L33latrd_lower_computeW_gemvt_kernelILi256E19rocblas_complex_numIfEPS3_EEviiT1_iilPT0_iilS7_iilS7_l
                                        ; -- End function
	.section	.AMDGPU.csdata,"",@progbits
; Kernel info:
; codeLenInByte = 1420
; NumSgprs: 34
; NumVgprs: 17
; ScratchSize: 0
; MemoryBound: 0
; FloatMode: 240
; IeeeMode: 1
; LDSByteSize: 2048 bytes/workgroup (compile time only)
; SGPRBlocks: 4
; VGPRBlocks: 2
; NumSGPRsForWavesPerEU: 34
; NumVGPRsForWavesPerEU: 17
; Occupancy: 16
; WaveLimiterHint : 0
; COMPUTE_PGM_RSRC2:SCRATCH_EN: 0
; COMPUTE_PGM_RSRC2:USER_SGPR: 14
; COMPUTE_PGM_RSRC2:TRAP_HANDLER: 0
; COMPUTE_PGM_RSRC2:TGID_X_EN: 1
; COMPUTE_PGM_RSRC2:TGID_Y_EN: 0
; COMPUTE_PGM_RSRC2:TGID_Z_EN: 1
; COMPUTE_PGM_RSRC2:TIDIG_COMP_CNT: 0
	.section	.text._ZN9rocsolver6v33100L26latrd_lower_updateW_kernelI19rocblas_complex_numIfEPS3_EEviiT0_iilPT_iilS7_lS7_l,"axG",@progbits,_ZN9rocsolver6v33100L26latrd_lower_updateW_kernelI19rocblas_complex_numIfEPS3_EEviiT0_iilPT_iilS7_lS7_l,comdat
	.globl	_ZN9rocsolver6v33100L26latrd_lower_updateW_kernelI19rocblas_complex_numIfEPS3_EEviiT0_iilPT_iilS7_lS7_l ; -- Begin function _ZN9rocsolver6v33100L26latrd_lower_updateW_kernelI19rocblas_complex_numIfEPS3_EEviiT0_iilPT_iilS7_lS7_l
	.p2align	8
	.type	_ZN9rocsolver6v33100L26latrd_lower_updateW_kernelI19rocblas_complex_numIfEPS3_EEviiT0_iilPT_iilS7_lS7_l,@function
_ZN9rocsolver6v33100L26latrd_lower_updateW_kernelI19rocblas_complex_numIfEPS3_EEviiT0_iilPT_iilS7_lS7_l: ; @_ZN9rocsolver6v33100L26latrd_lower_updateW_kernelI19rocblas_complex_numIfEPS3_EEviiT0_iilPT_iilS7_lS7_l
; %bb.0:
	s_clause 0x2
	s_load_b32 s30, s[0:1], 0x64
	s_load_b64 s[26:27], s[0:1], 0x58
	s_load_b64 s[24:25], s[0:1], 0x0
	s_mov_b32 s29, 0
	s_waitcnt lgkmcnt(0)
	s_and_b32 s12, s30, 0xffff
	s_not_b32 s3, s25
	v_cvt_f32_u32_e32 v1, s12
	s_sub_i32 s4, 0, s12
	s_add_i32 s24, s3, s24
	s_delay_alu instid0(SALU_CYCLE_1) | instskip(NEXT) | instid1(VALU_DEP_1)
	s_add_i32 s3, s24, -1
	v_rcp_iflag_f32_e32 v1, v1
	s_abs_i32 s5, s3
	s_ashr_i32 s3, s3, 31
	s_waitcnt_depctr 0xfff
	v_mul_f32_e32 v1, 0x4f7ffffe, v1
	s_delay_alu instid0(VALU_DEP_1) | instskip(NEXT) | instid1(VALU_DEP_1)
	v_cvt_u32_f32_e32 v1, v1
	v_readfirstlane_b32 s2, v1
	s_delay_alu instid0(VALU_DEP_1) | instskip(NEXT) | instid1(SALU_CYCLE_1)
	s_mul_i32 s4, s4, s2
	s_mul_hi_u32 s4, s2, s4
	s_delay_alu instid0(SALU_CYCLE_1) | instskip(NEXT) | instid1(SALU_CYCLE_1)
	s_add_i32 s2, s2, s4
	s_mul_hi_u32 s2, s5, s2
	s_delay_alu instid0(SALU_CYCLE_1) | instskip(NEXT) | instid1(SALU_CYCLE_1)
	s_mul_i32 s4, s2, s12
	s_sub_i32 s4, s5, s4
	s_add_i32 s5, s2, 1
	s_sub_i32 s6, s4, s12
	s_cmp_ge_u32 s4, s12
	s_cselect_b32 s2, s5, s2
	s_cselect_b32 s4, s6, s4
	s_add_i32 s5, s2, 1
	s_cmp_ge_u32 s4, s12
	s_cselect_b32 s2, s5, s2
	s_abs_i32 s4, s26
	s_xor_b32 s2, s2, s3
	v_cvt_f32_u32_e32 v1, s4
	s_sub_i32 s6, 0, s4
	s_sub_i32 s2, s2, s3
	s_delay_alu instid0(VALU_DEP_1) | instskip(SKIP_2) | instid1(VALU_DEP_1)
	v_rcp_iflag_f32_e32 v1, v1
	s_waitcnt_depctr 0xfff
	v_mul_f32_e32 v1, 0x4f7ffffe, v1
	v_cvt_u32_f32_e32 v1, v1
	s_delay_alu instid0(VALU_DEP_1) | instskip(NEXT) | instid1(VALU_DEP_1)
	v_readfirstlane_b32 s5, v1
	s_mul_i32 s6, s6, s5
	s_delay_alu instid0(SALU_CYCLE_1)
	s_mul_hi_u32 s3, s5, s6
	s_abs_i32 s6, s2
	s_add_i32 s5, s5, s3
	s_xor_b32 s2, s2, s26
	s_mul_hi_u32 s3, s6, s5
	s_ashr_i32 s2, s2, 31
	s_mul_i32 s5, s3, s4
	s_delay_alu instid0(SALU_CYCLE_1)
	s_sub_i32 s5, s6, s5
	s_add_i32 s6, s3, 1
	s_sub_i32 s7, s5, s4
	s_cmp_ge_u32 s5, s4
	s_cselect_b32 s3, s6, s3
	s_cselect_b32 s5, s7, s5
	s_add_i32 s6, s3, 1
	s_cmp_ge_u32 s5, s4
	s_cselect_b32 s3, s6, s3
	s_delay_alu instid0(SALU_CYCLE_1) | instskip(NEXT) | instid1(SALU_CYCLE_1)
	s_xor_b32 s3, s3, s2
	s_sub_i32 s28, s3, s2
	s_delay_alu instid0(SALU_CYCLE_1)
	s_cmp_lt_i32 s28, 0
	s_cbranch_scc1 .LBB136_20
; %bb.1:
	s_clause 0x2
	s_load_b256 s[4:11], s[0:1], 0x8
	s_load_b64 s[2:3], s[0:1], 0x28
	s_load_b256 s[16:23], s[0:1], 0x30
	s_ashr_i32 s31, s15, 31
	s_lshr_b32 s30, s30, 16
	s_load_b64 s[0:1], s[0:1], 0x50
	v_cvt_f32_u32_e32 v1, s30
	v_mov_b32_e32 v17, 0
	s_delay_alu instid0(VALU_DEP_2)
	v_rcp_iflag_f32_e32 v1, v1
	s_waitcnt lgkmcnt(0)
	s_ashr_i32 s35, s6, 31
	s_mov_b32 s34, s6
	s_mul_i32 s6, s15, s9
	s_mul_hi_u32 s9, s15, s8
	s_mul_i32 s33, s31, s8
	s_add_i32 s6, s9, s6
	s_mul_i32 s8, s15, s8
	s_add_i32 s9, s6, s33
	s_mul_i32 s17, s15, s17
	s_lshl_b64 s[8:9], s[8:9], 3
	s_mul_hi_u32 s37, s15, s16
	s_add_u32 s8, s4, s8
	s_addc_u32 s9, s5, s9
	s_lshl_b64 s[4:5], s[34:35], 3
	s_mul_i32 s6, s31, s16
	s_add_u32 s33, s8, s4
	s_addc_u32 s34, s9, s5
	s_add_i32 s4, s37, s17
	s_mul_i32 s16, s15, s16
	s_add_i32 s17, s4, s6
	s_mov_b32 s36, s2
	s_lshl_b64 s[4:5], s[16:17], 3
	s_ashr_i32 s37, s2, 31
	s_add_u32 s2, s10, s4
	s_addc_u32 s10, s11, s5
	s_lshl_b64 s[4:5], s[36:37], 3
	s_mul_i32 s21, s15, s21
	s_mul_hi_u32 s9, s15, s20
	s_add_u32 s2, s2, s4
	s_mul_i32 s6, s31, s20
	s_addc_u32 s11, s10, s5
	s_add_i32 s4, s9, s21
	s_mul_i32 s8, s15, s20
	s_add_i32 s9, s4, s6
	s_mul_i32 s1, s15, s1
	s_lshl_b64 s[4:5], s[8:9], 3
	s_mul_hi_u32 s10, s15, s0
	s_add_u32 s6, s18, s4
	s_mul_i32 s31, s31, s0
	s_addc_u32 s8, s19, s5
	s_add_i32 s1, s10, s1
	s_mul_i32 s0, s15, s0
	s_add_i32 s1, s1, s31
	s_mul_hi_i32 s5, s3, s25
	s_lshl_b64 s[0:1], s[0:1], 3
	s_mul_i32 s4, s3, s25
	s_add_u32 s15, s22, s0
	s_addc_u32 s16, s23, s1
	s_lshl_b64 s[4:5], s[4:5], 3
	s_waitcnt_depctr 0xfff
	v_mul_f32_e32 v1, 0x4f7ffffe, v1
	s_ashr_i32 s1, s25, 31
	s_mov_b32 s0, s25
	s_add_u32 s9, s2, s4
	s_addc_u32 s10, s11, s5
	s_lshl_b64 s[0:1], s[0:1], 3
	v_cvt_u32_f32_e32 v1, v1
	s_add_u32 s17, s9, s0
	s_addc_u32 s18, s10, s1
	s_add_u32 s19, s33, s0
	s_addc_u32 s20, s34, s1
	;; [unrolled: 2-line block ×3, first 2 shown]
	v_readfirstlane_b32 s11, v1
	s_add_u32 s4, s15, s0
	s_addc_u32 s5, s16, s1
	s_sub_i32 s0, 0, s30
	s_add_i32 s1, s25, -1
	s_mul_i32 s0, s0, s11
	s_abs_i32 s15, s1
	s_mul_hi_u32 s0, s11, s0
	s_ashr_i32 s1, s1, 31
	s_add_i32 s11, s11, s0
	s_mul_i32 s31, s13, s12
	s_mul_hi_u32 s0, s15, s11
	s_delay_alu instid0(SALU_CYCLE_1) | instskip(NEXT) | instid1(SALU_CYCLE_1)
	s_mul_i32 s11, s0, s30
	s_sub_i32 s11, s15, s11
	s_add_i32 s15, s0, 1
	s_sub_i32 s16, s11, s30
	s_cmp_ge_u32 s11, s30
	s_cselect_b32 s0, s15, s0
	s_cselect_b32 s11, s16, s11
	s_add_i32 s15, s0, 1
	s_cmp_ge_u32 s11, s30
	v_cmp_gt_u16_e64 s16, s30, 1
	s_cselect_b32 s21, s15, s0
	s_abs_i32 s23, s27
	s_xor_b32 s21, s21, s1
	v_cvt_f32_u32_e32 v1, s23
	s_sub_i32 s33, 0, s23
	s_sub_i32 s1, s21, s1
	s_mul_i32 s15, s27, s30
	s_mul_i32 s11, s26, s12
	v_rcp_iflag_f32_e32 v2, v1
	v_and_b32_e32 v1, 0x3ff, v0
	v_bfe_u32 v0, v0, 10, 10
	s_delay_alu instid0(VALU_DEP_2) | instskip(NEXT) | instid1(VALU_DEP_2)
	v_lshl_add_u32 v18, v1, 3, 0
	v_cmp_eq_u32_e64 s0, 0, v0
	s_waitcnt_depctr 0xfff
	v_mul_f32_e32 v2, 0x4f7ffffe, v2
	s_delay_alu instid0(VALU_DEP_1) | instskip(SKIP_2) | instid1(VALU_DEP_3)
	v_cvt_u32_f32_e32 v4, v2
	v_mad_u64_u32 v[2:3], null, s14, s30, v[0:1]
	v_mul_u32_u24_e32 v3, s12, v0
	v_readfirstlane_b32 s14, v4
	s_delay_alu instid0(VALU_DEP_2) | instskip(NEXT) | instid1(VALU_DEP_4)
	v_lshl_add_u32 v19, v3, 3, v18
	v_mul_lo_u32 v3, s7, v2
	s_delay_alu instid0(VALU_DEP_3)
	s_mul_i32 s33, s33, s14
	v_mul_lo_u32 v4, s3, v2
	s_mul_hi_u32 s21, s14, s33
	s_abs_i32 s33, s1
	s_add_i32 s14, s14, s21
	s_xor_b32 s1, s1, s27
	s_mul_hi_u32 s14, s33, s14
	s_ashr_i32 s27, s1, 31
	s_mul_i32 s21, s14, s23
	v_add3_u32 v20, v1, v3, s31
	s_sub_i32 s1, s33, s21
	s_add_i32 s21, s14, 1
	s_sub_i32 s33, s1, s23
	s_cmp_ge_u32 s1, s23
	v_add3_u32 v21, v1, v4, s31
	s_cselect_b32 s14, s21, s14
	s_cselect_b32 s1, s33, s1
	s_add_i32 s21, s14, 1
	s_cmp_ge_u32 s1, s23
	v_cmp_eq_u32_e64 s1, 0, v2
	s_cselect_b32 s14, s21, s14
	s_mul_i32 s7, s15, s7
	s_xor_b32 s14, s14, s27
	s_delay_alu instid0(SALU_CYCLE_1)
	s_sub_i32 s23, s14, s27
	s_mul_i32 s27, s15, s3
	s_cmp_gt_i32 s23, -1
	s_cselect_b32 s14, -1, 0
	s_add_u32 s17, s17, 8
	s_addc_u32 s18, s18, 0
	s_add_u32 s19, s19, 8
	s_addc_u32 s20, s20, 0
	;; [unrolled: 2-line block ×3, first 2 shown]
	s_add_i32 s23, s23, 1
	s_branch .LBB136_3
.LBB136_2:                              ;   in Loop: Header=BB136_3 Depth=1
	s_or_b32 exec_lo, exec_lo, s2
	v_add_nc_u32_e32 v20, s11, v20
	v_add_nc_u32_e32 v21, s11, v21
	s_add_i32 s2, s29, 1
	s_cmp_eq_u32 s29, s28
	s_mov_b32 s29, s2
	s_cbranch_scc1 .LBB136_20
.LBB136_3:                              ; =>This Loop Header: Depth=1
                                        ;     Child Loop BB136_12 Depth 2
                                        ;     Child Loop BB136_9 Depth 2
	s_mul_i32 s2, s29, s26
	v_dual_mov_b32 v5, 0 :: v_dual_mov_b32 v6, 0
	s_add_i32 s2, s2, s13
	s_delay_alu instid0(SALU_CYCLE_1) | instskip(NEXT) | instid1(VALU_DEP_1)
	v_mad_u64_u32 v[3:4], null, s2, s12, v[1:2]
	v_cmp_gt_i32_e64 s2, s24, v3
	v_ashrrev_i32_e32 v4, 31, v3
	s_delay_alu instid0(VALU_DEP_2) | instskip(NEXT) | instid1(SALU_CYCLE_1)
	s_and_b32 s31, s1, s2
	s_and_saveexec_b32 s3, s31
	s_cbranch_execz .LBB136_5
; %bb.4:                                ;   in Loop: Header=BB136_3 Depth=1
	s_delay_alu instid0(VALU_DEP_1) | instskip(NEXT) | instid1(VALU_DEP_1)
	v_lshlrev_b64 v[5:6], 3, v[3:4]
	v_add_co_u32 v5, vcc_lo, s17, v5
	s_delay_alu instid0(VALU_DEP_2)
	v_add_co_ci_u32_e32 v6, vcc_lo, s18, v6, vcc_lo
	global_load_b64 v[5:6], v[5:6], off
.LBB136_5:                              ;   in Loop: Header=BB136_3 Depth=1
	s_or_b32 exec_lo, exec_lo, s3
	v_mov_b32_e32 v7, v2
	v_mov_b32_e32 v9, v21
	;; [unrolled: 1-line block ×3, first 2 shown]
	s_and_not1_b32 vcc_lo, exec_lo, s14
	s_mov_b32 s31, s23
	s_cbranch_vccz .LBB136_12
.LBB136_6:                              ;   in Loop: Header=BB136_3 Depth=1
	s_and_not1_b32 vcc_lo, exec_lo, s16
	s_mov_b32 s3, s30
	s_waitcnt vmcnt(0)
	ds_store_b64 v19, v[5:6]
	s_waitcnt lgkmcnt(0)
	s_waitcnt_vscnt null, 0x0
	s_barrier
	buffer_gl0_inv
	s_cbranch_vccnz .LBB136_18
	.p2align	6
; %bb.7:                                ;   in Loop: Header=BB136_3 Depth=1
	s_lshr_b32 s31, s3, 1
	s_mov_b32 s33, exec_lo
	v_cmpx_gt_u32_e64 s31, v0
	s_cbranch_execz .LBB136_9
.LBB136_8:                              ;   in Loop: Header=BB136_3 Depth=1
	v_add_nc_u32_e32 v7, s31, v0
	s_delay_alu instid0(VALU_DEP_1) | instskip(NEXT) | instid1(VALU_DEP_1)
	v_mul_u32_u24_e32 v7, s12, v7
	v_lshl_add_u32 v7, v7, 3, v18
	ds_load_b64 v[7:8], v7
	s_waitcnt lgkmcnt(0)
	v_dual_add_f32 v5, v5, v7 :: v_dual_add_f32 v6, v6, v8
	ds_store_b64 v19, v[5:6]
.LBB136_9:                              ;   Parent Loop BB136_3 Depth=1
                                        ; =>  This Inner Loop Header: Depth=2
	s_or_b32 exec_lo, exec_lo, s33
	s_cmp_lt_u32 s3, 4
	s_waitcnt lgkmcnt(0)
	s_barrier
	buffer_gl0_inv
	s_cbranch_scc1 .LBB136_18
; %bb.10:                               ;   in Loop: Header=BB136_9 Depth=2
	s_mov_b32 s3, s31
	s_delay_alu instid0(SALU_CYCLE_1)
	s_lshr_b32 s31, s3, 1
	s_mov_b32 s33, exec_lo
	v_cmpx_gt_u32_e64 s31, v0
	s_cbranch_execnz .LBB136_8
	s_branch .LBB136_9
.LBB136_11:                             ;   in Loop: Header=BB136_12 Depth=2
	s_or_b32 exec_lo, exec_lo, s3
	v_add_nc_u32_e32 v11, s7, v11
	v_add_nc_u32_e32 v9, s27, v9
	;; [unrolled: 1-line block ×3, first 2 shown]
	s_add_i32 s31, s31, -1
	s_delay_alu instid0(SALU_CYCLE_1)
	s_cmp_eq_u32 s31, 0
	s_cbranch_scc1 .LBB136_6
.LBB136_12:                             ;   Parent Loop BB136_3 Depth=1
                                        ; =>  This Inner Loop Header: Depth=2
	s_delay_alu instid0(VALU_DEP_1)
	v_cmp_gt_i32_e32 vcc_lo, s25, v7
	s_waitcnt vmcnt(0)
	v_dual_mov_b32 v14, 0 :: v_dual_mov_b32 v15, 0
	v_ashrrev_i32_e32 v8, 31, v7
	v_mov_b32_e32 v16, 0
	s_and_saveexec_b32 s33, vcc_lo
	s_cbranch_execnz .LBB136_15
; %bb.13:                               ;   in Loop: Header=BB136_12 Depth=2
	s_or_b32 exec_lo, exec_lo, s33
	v_mov_b32_e32 v13, 0
	s_and_saveexec_b32 s33, vcc_lo
	s_cbranch_execnz .LBB136_16
.LBB136_14:                             ;   in Loop: Header=BB136_12 Depth=2
	s_or_b32 exec_lo, exec_lo, s33
	s_and_b32 s33, s2, vcc_lo
	s_delay_alu instid0(SALU_CYCLE_1)
	s_and_saveexec_b32 s3, s33
	s_cbranch_execz .LBB136_11
	s_branch .LBB136_17
.LBB136_15:                             ;   in Loop: Header=BB136_12 Depth=2
	s_delay_alu instid0(VALU_DEP_2) | instskip(NEXT) | instid1(VALU_DEP_1)
	v_lshlrev_b64 v[12:13], 3, v[7:8]
	v_add_co_u32 v12, s3, s6, v12
	s_delay_alu instid0(VALU_DEP_1)
	v_add_co_ci_u32_e64 v13, s3, s8, v13, s3
	global_load_b64 v[15:16], v[12:13], off
	s_or_b32 exec_lo, exec_lo, s33
	v_mov_b32_e32 v13, 0
	s_and_saveexec_b32 s33, vcc_lo
	s_cbranch_execz .LBB136_14
.LBB136_16:                             ;   in Loop: Header=BB136_12 Depth=2
	v_lshlrev_b64 v[12:13], 3, v[7:8]
	s_delay_alu instid0(VALU_DEP_1) | instskip(NEXT) | instid1(VALU_DEP_1)
	v_add_co_u32 v12, s3, s9, v12
	v_add_co_ci_u32_e64 v13, s3, s10, v13, s3
	global_load_b64 v[13:14], v[12:13], off
	s_or_b32 exec_lo, exec_lo, s33
	s_and_b32 s33, s2, vcc_lo
	s_delay_alu instid0(SALU_CYCLE_1)
	s_and_saveexec_b32 s3, s33
	s_cbranch_execz .LBB136_11
.LBB136_17:                             ;   in Loop: Header=BB136_12 Depth=2
	v_ashrrev_i32_e32 v12, 31, v11
	v_ashrrev_i32_e32 v10, 31, v9
	s_delay_alu instid0(VALU_DEP_2) | instskip(NEXT) | instid1(VALU_DEP_2)
	v_lshlrev_b64 v[22:23], 3, v[11:12]
	v_lshlrev_b64 v[24:25], 3, v[9:10]
	s_delay_alu instid0(VALU_DEP_2) | instskip(NEXT) | instid1(VALU_DEP_3)
	v_add_co_u32 v22, vcc_lo, s19, v22
	v_add_co_ci_u32_e32 v23, vcc_lo, s20, v23, vcc_lo
	s_delay_alu instid0(VALU_DEP_3) | instskip(NEXT) | instid1(VALU_DEP_4)
	v_add_co_u32 v24, vcc_lo, s21, v24
	v_add_co_ci_u32_e32 v25, vcc_lo, s22, v25, vcc_lo
	global_load_b64 v[22:23], v[22:23], off
	global_load_b64 v[24:25], v[24:25], off
	s_waitcnt vmcnt(1)
	v_mul_f32_e32 v8, v16, v23
	v_mul_f32_e32 v10, v15, v23
	s_waitcnt vmcnt(0)
	v_mul_f32_e32 v12, v14, v25
	v_mul_f32_e32 v23, v13, v25
	v_fma_f32 v8, v15, v22, -v8
	s_delay_alu instid0(VALU_DEP_3) | instskip(NEXT) | instid1(VALU_DEP_3)
	v_fma_f32 v12, v13, v24, -v12
	v_dual_fmac_f32 v23, v14, v24 :: v_dual_fmac_f32 v10, v16, v22
	s_delay_alu instid0(VALU_DEP_2) | instskip(NEXT) | instid1(VALU_DEP_1)
	v_add_f32_e32 v8, v8, v12
	v_dual_add_f32 v10, v10, v23 :: v_dual_sub_f32 v5, v5, v8
	s_delay_alu instid0(VALU_DEP_1)
	v_sub_f32_e32 v6, v6, v10
	s_branch .LBB136_11
.LBB136_18:                             ;   in Loop: Header=BB136_3 Depth=1
	s_and_b32 s3, s0, s2
	s_delay_alu instid0(SALU_CYCLE_1)
	s_and_saveexec_b32 s2, s3
	s_cbranch_execz .LBB136_2
; %bb.19:                               ;   in Loop: Header=BB136_3 Depth=1
	global_load_b64 v[7:8], v17, s[4:5]
	v_lshlrev_b64 v[3:4], 3, v[3:4]
	s_delay_alu instid0(VALU_DEP_1) | instskip(NEXT) | instid1(VALU_DEP_2)
	v_add_co_u32 v3, vcc_lo, s17, v3
	v_add_co_ci_u32_e32 v4, vcc_lo, s18, v4, vcc_lo
	s_waitcnt vmcnt(0)
	v_mul_f32_e32 v10, v6, v8
	v_mul_f32_e32 v9, v5, v8
	s_delay_alu instid0(VALU_DEP_2) | instskip(NEXT) | instid1(VALU_DEP_2)
	v_fma_f32 v8, v5, v7, -v10
	v_fmac_f32_e32 v9, v6, v7
	global_store_b64 v[3:4], v[8:9], off
	s_branch .LBB136_2
.LBB136_20:
	s_nop 0
	s_sendmsg sendmsg(MSG_DEALLOC_VGPRS)
	s_endpgm
	.section	.rodata,"a",@progbits
	.p2align	6, 0x0
	.amdhsa_kernel _ZN9rocsolver6v33100L26latrd_lower_updateW_kernelI19rocblas_complex_numIfEPS3_EEviiT0_iilPT_iilS7_lS7_l
		.amdhsa_group_segment_fixed_size 0
		.amdhsa_private_segment_fixed_size 0
		.amdhsa_kernarg_size 344
		.amdhsa_user_sgpr_count 13
		.amdhsa_user_sgpr_dispatch_ptr 0
		.amdhsa_user_sgpr_queue_ptr 0
		.amdhsa_user_sgpr_kernarg_segment_ptr 1
		.amdhsa_user_sgpr_dispatch_id 0
		.amdhsa_user_sgpr_private_segment_size 0
		.amdhsa_wavefront_size32 1
		.amdhsa_uses_dynamic_stack 0
		.amdhsa_enable_private_segment 0
		.amdhsa_system_sgpr_workgroup_id_x 1
		.amdhsa_system_sgpr_workgroup_id_y 1
		.amdhsa_system_sgpr_workgroup_id_z 1
		.amdhsa_system_sgpr_workgroup_info 0
		.amdhsa_system_vgpr_workitem_id 1
		.amdhsa_next_free_vgpr 26
		.amdhsa_next_free_sgpr 38
		.amdhsa_reserve_vcc 1
		.amdhsa_float_round_mode_32 0
		.amdhsa_float_round_mode_16_64 0
		.amdhsa_float_denorm_mode_32 3
		.amdhsa_float_denorm_mode_16_64 3
		.amdhsa_dx10_clamp 1
		.amdhsa_ieee_mode 1
		.amdhsa_fp16_overflow 0
		.amdhsa_workgroup_processor_mode 1
		.amdhsa_memory_ordered 1
		.amdhsa_forward_progress 0
		.amdhsa_shared_vgpr_count 0
		.amdhsa_exception_fp_ieee_invalid_op 0
		.amdhsa_exception_fp_denorm_src 0
		.amdhsa_exception_fp_ieee_div_zero 0
		.amdhsa_exception_fp_ieee_overflow 0
		.amdhsa_exception_fp_ieee_underflow 0
		.amdhsa_exception_fp_ieee_inexact 0
		.amdhsa_exception_int_div_zero 0
	.end_amdhsa_kernel
	.section	.text._ZN9rocsolver6v33100L26latrd_lower_updateW_kernelI19rocblas_complex_numIfEPS3_EEviiT0_iilPT_iilS7_lS7_l,"axG",@progbits,_ZN9rocsolver6v33100L26latrd_lower_updateW_kernelI19rocblas_complex_numIfEPS3_EEviiT0_iilPT_iilS7_lS7_l,comdat
.Lfunc_end136:
	.size	_ZN9rocsolver6v33100L26latrd_lower_updateW_kernelI19rocblas_complex_numIfEPS3_EEviiT0_iilPT_iilS7_lS7_l, .Lfunc_end136-_ZN9rocsolver6v33100L26latrd_lower_updateW_kernelI19rocblas_complex_numIfEPS3_EEviiT0_iilPT_iilS7_lS7_l
                                        ; -- End function
	.section	.AMDGPU.csdata,"",@progbits
; Kernel info:
; codeLenInByte = 1828
; NumSgprs: 40
; NumVgprs: 26
; ScratchSize: 0
; MemoryBound: 0
; FloatMode: 240
; IeeeMode: 1
; LDSByteSize: 0 bytes/workgroup (compile time only)
; SGPRBlocks: 4
; VGPRBlocks: 3
; NumSGPRsForWavesPerEU: 40
; NumVGPRsForWavesPerEU: 26
; Occupancy: 16
; WaveLimiterHint : 0
; COMPUTE_PGM_RSRC2:SCRATCH_EN: 0
; COMPUTE_PGM_RSRC2:USER_SGPR: 13
; COMPUTE_PGM_RSRC2:TRAP_HANDLER: 0
; COMPUTE_PGM_RSRC2:TGID_X_EN: 1
; COMPUTE_PGM_RSRC2:TGID_Y_EN: 1
; COMPUTE_PGM_RSRC2:TGID_Z_EN: 1
; COMPUTE_PGM_RSRC2:TIDIG_COMP_CNT: 1
	.section	.text._ZN9rocsolver6v33100L20latrd_dot_scale_axpyILi1024E19rocblas_complex_numIfEiPS3_EEvT1_T2_llPT0_llS8_l,"axG",@progbits,_ZN9rocsolver6v33100L20latrd_dot_scale_axpyILi1024E19rocblas_complex_numIfEiPS3_EEvT1_T2_llPT0_llS8_l,comdat
	.globl	_ZN9rocsolver6v33100L20latrd_dot_scale_axpyILi1024E19rocblas_complex_numIfEiPS3_EEvT1_T2_llPT0_llS8_l ; -- Begin function _ZN9rocsolver6v33100L20latrd_dot_scale_axpyILi1024E19rocblas_complex_numIfEiPS3_EEvT1_T2_llPT0_llS8_l
	.p2align	8
	.type	_ZN9rocsolver6v33100L20latrd_dot_scale_axpyILi1024E19rocblas_complex_numIfEiPS3_EEvT1_T2_llPT0_llS8_l,@function
_ZN9rocsolver6v33100L20latrd_dot_scale_axpyILi1024E19rocblas_complex_numIfEiPS3_EEvT1_T2_llPT0_llS8_l: ; @_ZN9rocsolver6v33100L20latrd_dot_scale_axpyILi1024E19rocblas_complex_numIfEiPS3_EEvT1_T2_llPT0_llS8_l
; %bb.0:
	s_clause 0x1
	s_load_b512 s[16:31], s[0:1], 0x8
	s_load_b32 s14, s[0:1], 0x0
	s_ashr_i32 s33, s15, 31
	v_dual_mov_b32 v7, 0 :: v_dual_mov_b32 v8, 0
	v_lshlrev_b32_e32 v5, 3, v0
	v_or_b32_e32 v6, 0x400, v0
	s_waitcnt lgkmcnt(0)
	s_mul_i32 s0, s15, s21
	s_mul_hi_u32 s1, s15, s20
	s_mul_i32 s2, s33, s20
	s_add_i32 s1, s1, s0
	s_mul_i32 s0, s15, s20
	s_add_i32 s1, s1, s2
	s_mul_i32 s4, s15, s27
	s_lshl_b64 s[6:7], s[0:1], 3
	s_mul_hi_u32 s0, s15, s26
	s_add_u32 s1, s16, s6
	s_addc_u32 s3, s17, s7
	s_lshl_b64 s[10:11], s[18:19], 3
	s_mul_i32 s5, s33, s26
	s_add_u32 s2, s1, s10
	s_addc_u32 s3, s3, s11
	s_add_i32 s1, s0, s4
	s_mul_i32 s0, s15, s26
	s_add_i32 s1, s1, s5
	v_cmp_gt_i32_e32 vcc_lo, s14, v0
	s_lshl_b64 s[8:9], s[0:1], 3
	s_delay_alu instid0(SALU_CYCLE_1) | instskip(SKIP_2) | instid1(SALU_CYCLE_1)
	s_add_u32 s0, s22, s8
	s_addc_u32 s1, s23, s9
	s_lshl_b64 s[12:13], s[24:25], 3
	s_add_u32 s4, s0, s12
	s_addc_u32 s5, s1, s13
	s_and_saveexec_b32 s18, vcc_lo
	s_cbranch_execz .LBB137_6
; %bb.1:
	s_clause 0x1
	global_load_b64 v[1:2], v5, s[2:3]
	global_load_b64 v[3:4], v5, s[4:5]
	v_or_b32_e32 v9, 0x400, v0
	s_mov_b32 s19, exec_lo
	s_waitcnt vmcnt(0)
	v_dual_mul_f32 v7, v4, v2 :: v_dual_mul_f32 v8, v1, v4
	ds_store_2addr_stride64_b64 v5, v[1:2], v[3:4] offset1:16
	v_fma_f32 v8, v3, v2, -v8
	s_delay_alu instid0(VALU_DEP_1) | instskip(NEXT) | instid1(VALU_DEP_1)
	v_dual_fmac_f32 v7, v1, v3 :: v_dual_add_f32 v8, 0, v8
	v_add_f32_e32 v7, 0, v7
	v_cmpx_gt_u32_e64 s14, v9
	s_cbranch_execz .LBB137_5
; %bb.2:
	s_add_u32 s0, s6, s10
	s_addc_u32 s1, s7, s11
	s_add_u32 s0, s16, s0
	s_addc_u32 s1, s17, s1
	v_add_co_u32 v1, s0, s0, v5
	s_delay_alu instid0(VALU_DEP_1)
	v_add_co_ci_u32_e64 v2, null, s1, 0, s0
	s_add_u32 s0, s8, s12
	s_addc_u32 s1, s9, s13
	s_add_u32 s0, s22, s0
	s_addc_u32 s1, s23, s1
	v_add_co_u32 v3, s0, s0, v5
	s_delay_alu instid0(VALU_DEP_1) | instskip(SKIP_1) | instid1(VALU_DEP_1)
	v_add_co_ci_u32_e64 v4, null, s1, 0, s0
	v_add_co_u32 v1, s0, 0x2000, v1
	v_add_co_ci_u32_e64 v2, s0, 0, v2, s0
	s_delay_alu instid0(VALU_DEP_4) | instskip(NEXT) | instid1(VALU_DEP_1)
	v_add_co_u32 v3, s0, 0x2000, v3
	v_add_co_ci_u32_e64 v4, s0, 0, v4, s0
	s_mov_b32 s6, 0
	.p2align	6
.LBB137_3:                              ; =>This Inner Loop Header: Depth=1
	global_load_b64 v[10:11], v[3:4], off
	global_load_b64 v[12:13], v[1:2], off
	v_add_co_u32 v1, s0, 0x2000, v1
	s_delay_alu instid0(VALU_DEP_1) | instskip(SKIP_1) | instid1(VALU_DEP_1)
	v_add_co_ci_u32_e64 v2, s0, 0, v2, s0
	v_add_co_u32 v3, s0, 0x2000, v3
	v_add_co_ci_u32_e64 v4, s0, 0, v4, s0
	s_waitcnt vmcnt(0)
	v_mul_f32_e32 v14, v11, v13
	v_mul_f32_e32 v11, v11, v12
	s_delay_alu instid0(VALU_DEP_2) | instskip(NEXT) | instid1(VALU_DEP_2)
	v_dual_fmac_f32 v14, v10, v12 :: v_dual_add_nc_u32 v9, 0x400, v9
	v_fma_f32 v10, v10, v13, -v11
	s_delay_alu instid0(VALU_DEP_2) | instskip(NEXT) | instid1(VALU_DEP_3)
	v_cmp_le_i32_e64 s1, s14, v9
	v_add_f32_e32 v7, v7, v14
	s_delay_alu instid0(VALU_DEP_3) | instskip(NEXT) | instid1(VALU_DEP_3)
	v_add_f32_e32 v8, v8, v10
	s_or_b32 s6, s1, s6
	s_delay_alu instid0(SALU_CYCLE_1)
	s_and_not1_b32 exec_lo, exec_lo, s6
	s_cbranch_execnz .LBB137_3
; %bb.4:
	s_or_b32 exec_lo, exec_lo, s6
.LBB137_5:
	s_delay_alu instid0(SALU_CYCLE_1)
	s_or_b32 exec_lo, exec_lo, s19
.LBB137_6:
	s_delay_alu instid0(SALU_CYCLE_1) | instskip(SKIP_2) | instid1(VALU_DEP_1)
	s_or_b32 exec_lo, exec_lo, s18
	v_mbcnt_lo_u32_b32 v1, -1, 0
	s_mov_b32 s1, exec_lo
	v_cmp_ne_u32_e64 s0, 31, v1
	s_delay_alu instid0(VALU_DEP_1) | instskip(SKIP_1) | instid1(VALU_DEP_2)
	v_add_co_ci_u32_e64 v2, s0, 0, v1, s0
	v_cmp_gt_u32_e64 s0, 30, v1
	v_lshlrev_b32_e32 v2, 2, v2
	s_delay_alu instid0(VALU_DEP_2)
	v_cndmask_b32_e64 v4, 0, 1, s0
	v_cmp_gt_u32_e64 s0, 28, v1
	ds_bpermute_b32 v3, v2, v7
	s_waitcnt lgkmcnt(0)
	v_dual_add_f32 v3, v7, v3 :: v_dual_lshlrev_b32 v4, 1, v4
	ds_bpermute_b32 v2, v2, v8
	v_add_lshl_u32 v4, v4, v1, 2
	ds_bpermute_b32 v7, v4, v3
	s_waitcnt lgkmcnt(0)
	v_dual_add_f32 v3, v3, v7 :: v_dual_add_f32 v2, v8, v2
	v_cndmask_b32_e64 v8, 0, 1, s0
	v_cmp_gt_u32_e64 s0, 24, v1
	ds_bpermute_b32 v4, v4, v2
	v_lshlrev_b32_e32 v8, 2, v8
	s_delay_alu instid0(VALU_DEP_1)
	v_add_lshl_u32 v8, v8, v1, 2
	s_waitcnt lgkmcnt(0)
	v_add_f32_e32 v2, v2, v4
	ds_bpermute_b32 v4, v8, v3
	ds_bpermute_b32 v7, v8, v2
	v_cndmask_b32_e64 v8, 0, 1, s0
	v_cmp_gt_u32_e64 s0, 16, v1
	s_delay_alu instid0(VALU_DEP_2) | instskip(NEXT) | instid1(VALU_DEP_1)
	v_lshlrev_b32_e32 v8, 3, v8
	v_add_lshl_u32 v8, v8, v1, 2
	s_waitcnt lgkmcnt(1)
	v_add_f32_e32 v3, v3, v4
	ds_bpermute_b32 v4, v8, v3
	s_waitcnt lgkmcnt(0)
	v_dual_add_f32 v2, v2, v7 :: v_dual_add_f32 v3, v3, v4
	ds_bpermute_b32 v7, v8, v2
	v_cndmask_b32_e64 v8, 0, 1, s0
	s_delay_alu instid0(VALU_DEP_1) | instskip(NEXT) | instid1(VALU_DEP_1)
	v_lshlrev_b32_e32 v8, 4, v8
	v_add_lshl_u32 v1, v8, v1, 2
	v_and_b32_e32 v8, 31, v0
	ds_bpermute_b32 v4, v1, v3
	s_waitcnt lgkmcnt(1)
	v_add_f32_e32 v2, v2, v7
	ds_bpermute_b32 v7, v1, v2
	s_waitcnt lgkmcnt(0)
	v_dual_add_f32 v1, v3, v4 :: v_dual_add_f32 v2, v2, v7
	v_cmpx_eq_u32_e32 0, v8
	s_cbranch_execz .LBB137_8
; %bb.7:
	v_lshrrev_b32_e32 v3, 2, v0
	ds_store_b64 v3, v[1:2] offset:16384
.LBB137_8:
	s_or_b32 exec_lo, exec_lo, s1
	s_delay_alu instid0(SALU_CYCLE_1)
	s_mov_b32 s1, exec_lo
	s_waitcnt lgkmcnt(0)
	s_barrier
	buffer_gl0_inv
	v_cmpx_eq_u32_e32 0, v0
	s_cbranch_execz .LBB137_10
; %bb.9:
	v_mov_b32_e32 v0, 0x4008
	s_mul_i32 s0, s15, s31
	s_mul_hi_u32 s6, s15, s30
	s_mul_i32 s7, s33, s30
	s_add_i32 s0, s6, s0
	ds_load_2addr_b64 v[7:10], v0 offset1:1
	v_mov_b32_e32 v0, 0x4018
	s_mul_i32 s6, s15, s30
	s_add_i32 s7, s0, s7
	s_delay_alu instid0(SALU_CYCLE_1)
	s_lshl_b64 s[6:7], s[6:7], 3
	ds_load_2addr_b64 v[11:14], v0 offset1:1
	v_mov_b32_e32 v0, 0x4028
	s_add_u32 s6, s28, s6
	s_addc_u32 s7, s29, s7
	s_load_b64 s[6:7], s[6:7], 0x0
	ds_load_2addr_b64 v[15:18], v0 offset1:1
	s_waitcnt lgkmcnt(0)
	v_add_f32_e32 v2, v2, v8
	v_add_f32_e32 v0, v1, v7
	s_delay_alu instid0(VALU_DEP_2) | instskip(NEXT) | instid1(VALU_DEP_1)
	v_dual_mov_b32 v8, 0x4048 :: v_dual_add_f32 v1, v2, v10
	v_dual_add_f32 v4, v0, v9 :: v_dual_add_f32 v7, v1, v12
	s_delay_alu instid0(VALU_DEP_1) | instskip(NEXT) | instid1(VALU_DEP_1)
	v_dual_add_f32 v4, v4, v11 :: v_dual_add_f32 v7, v7, v14
	v_add_f32_e32 v11, v7, v16
	ds_load_2addr_b64 v[7:10], v8 offset1:1
	v_dual_add_f32 v11, v11, v18 :: v_dual_mov_b32 v2, 0x4038
	ds_load_2addr_b64 v[0:3], v2 offset1:1
	s_waitcnt lgkmcnt(0)
	v_add_f32_e32 v1, v11, v1
	s_delay_alu instid0(VALU_DEP_1) | instskip(SKIP_1) | instid1(VALU_DEP_2)
	v_add_f32_e32 v1, v1, v3
	v_dual_mov_b32 v3, 0x4068 :: v_dual_add_f32 v4, v4, v13
	v_add_f32_e32 v8, v1, v8
	v_mov_b32_e32 v12, 0x4058
	s_delay_alu instid0(VALU_DEP_3) | instskip(NEXT) | instid1(VALU_DEP_1)
	v_add_f32_e32 v4, v4, v15
	v_add_f32_e32 v4, v4, v17
	s_delay_alu instid0(VALU_DEP_1) | instskip(NEXT) | instid1(VALU_DEP_1)
	v_add_f32_e32 v0, v4, v0
	v_add_f32_e32 v4, v0, v2
	ds_load_2addr_b64 v[0:3], v3 offset1:1
	v_add_f32_e32 v4, v4, v7
	v_add_f32_e32 v7, v8, v10
	ds_load_2addr_b64 v[11:14], v12 offset1:1
	v_mov_b32_e32 v8, 0x4078
	v_add_f32_e32 v4, v4, v9
	s_waitcnt lgkmcnt(0)
	v_add_f32_e32 v12, v7, v12
	ds_load_2addr_b64 v[7:10], v8 offset1:1
	v_add_f32_e32 v4, v4, v11
	v_dual_add_f32 v11, v12, v14 :: v_dual_mov_b32 v12, 0x4088
	s_delay_alu instid0(VALU_DEP_2) | instskip(NEXT) | instid1(VALU_DEP_2)
	v_add_f32_e32 v4, v4, v13
	v_add_f32_e32 v1, v11, v1
	ds_load_2addr_b64 v[11:14], v12 offset1:1
	v_dual_add_f32 v0, v4, v0 :: v_dual_add_f32 v1, v1, v3
	s_delay_alu instid0(VALU_DEP_1) | instskip(SKIP_1) | instid1(VALU_DEP_2)
	v_dual_mov_b32 v3, 0x4098 :: v_dual_add_f32 v4, v0, v2
	s_waitcnt lgkmcnt(1)
	v_add_f32_e32 v8, v1, v8
	ds_load_2addr_b64 v[0:3], v3 offset1:1
	v_add_f32_e32 v4, v4, v7
	v_dual_add_f32 v7, v8, v10 :: v_dual_mov_b32 v8, 0x40a8
	s_delay_alu instid0(VALU_DEP_2) | instskip(SKIP_1) | instid1(VALU_DEP_2)
	v_add_f32_e32 v4, v4, v9
	s_waitcnt lgkmcnt(1)
	v_add_f32_e32 v12, v7, v12
	ds_load_2addr_b64 v[7:10], v8 offset1:1
	v_add_f32_e32 v4, v4, v11
	v_dual_add_f32 v11, v12, v14 :: v_dual_mov_b32 v12, 0x40b8
	s_delay_alu instid0(VALU_DEP_2) | instskip(SKIP_1) | instid1(VALU_DEP_2)
	v_add_f32_e32 v4, v4, v13
	s_waitcnt lgkmcnt(1)
	v_add_f32_e32 v1, v11, v1
	ds_load_2addr_b64 v[11:14], v12 offset1:1
	v_dual_add_f32 v0, v4, v0 :: v_dual_add_f32 v1, v1, v3
	s_delay_alu instid0(VALU_DEP_1) | instskip(SKIP_1) | instid1(VALU_DEP_2)
	v_dual_mov_b32 v3, 0x40c8 :: v_dual_add_f32 v4, v0, v2
	s_waitcnt lgkmcnt(1)
	v_add_f32_e32 v8, v1, v8
	ds_load_2addr_b64 v[0:3], v3 offset1:1
	v_add_f32_e32 v4, v4, v7
	v_dual_add_f32 v7, v8, v10 :: v_dual_mov_b32 v8, 0x40d8
	s_delay_alu instid0(VALU_DEP_2) | instskip(SKIP_1) | instid1(VALU_DEP_2)
	v_add_f32_e32 v4, v4, v9
	s_waitcnt lgkmcnt(1)
	v_add_f32_e32 v12, v7, v12
	ds_load_2addr_b64 v[7:10], v8 offset1:1
	v_dual_add_f32 v4, v4, v11 :: v_dual_mov_b32 v11, 0x40e8
	v_add_f32_e32 v12, v12, v14
	s_delay_alu instid0(VALU_DEP_2) | instskip(SKIP_1) | instid1(VALU_DEP_2)
	v_add_f32_e32 v4, v4, v13
	s_waitcnt lgkmcnt(1)
	v_add_f32_e32 v1, v12, v1
	ds_load_2addr_b64 v[11:14], v11 offset1:1
	v_add_f32_e32 v0, v4, v0
	v_dual_mov_b32 v4, 0 :: v_dual_add_f32 v3, v1, v3
	s_delay_alu instid0(VALU_DEP_2) | instskip(SKIP_4) | instid1(VALU_DEP_2)
	v_add_f32_e32 v2, v0, v2
	ds_load_b64 v[0:1], v4 offset:16632
	s_waitcnt lgkmcnt(2)
	v_dual_add_f32 v3, v3, v8 :: v_dual_add_f32 v2, v2, v7
	v_mul_f32_e64 v7, s7, -0.5
	v_dual_add_f32 v3, v3, v10 :: v_dual_add_f32 v2, v2, v9
	s_waitcnt lgkmcnt(1)
	s_delay_alu instid0(VALU_DEP_1) | instskip(NEXT) | instid1(VALU_DEP_1)
	v_dual_add_f32 v3, v3, v12 :: v_dual_add_f32 v2, v2, v11
	v_dual_add_f32 v3, v3, v14 :: v_dual_add_f32 v2, v2, v13
	s_waitcnt lgkmcnt(0)
	s_delay_alu instid0(VALU_DEP_1) | instskip(SKIP_1) | instid1(VALU_DEP_2)
	v_dual_add_f32 v3, v3, v1 :: v_dual_add_f32 v0, v2, v0
	v_mul_f32_e64 v2, s6, -0.5
	v_mul_f32_e32 v8, v3, v7
	s_delay_alu instid0(VALU_DEP_3) | instskip(NEXT) | instid1(VALU_DEP_2)
	v_mul_f32_e32 v1, v0, v7
	v_fma_f32 v0, v0, v2, -v8
	s_delay_alu instid0(VALU_DEP_2)
	v_fmac_f32_e32 v1, v3, v2
	ds_store_b64 v4, v[0:1] offset:16384
.LBB137_10:
	s_or_b32 exec_lo, exec_lo, s1
	s_waitcnt lgkmcnt(0)
	s_barrier
	buffer_gl0_inv
	s_and_saveexec_b32 s0, vcc_lo
	s_cbranch_execz .LBB137_14
; %bb.11:
	v_mov_b32_e32 v0, 0
	v_cmp_gt_i32_e32 vcc_lo, s14, v6
	ds_load_2addr_stride64_b64 v[7:10], v5 offset1:16
	ds_load_b64 v[0:1], v0 offset:16384
	s_waitcnt lgkmcnt(0)
	v_mul_f32_e32 v3, v7, v1
	s_delay_alu instid0(VALU_DEP_1) | instskip(NEXT) | instid1(VALU_DEP_1)
	v_fmac_f32_e32 v3, v8, v0
	v_dual_mul_f32 v2, v8, v1 :: v_dual_add_f32 v3, v3, v10
	s_delay_alu instid0(VALU_DEP_1) | instskip(NEXT) | instid1(VALU_DEP_1)
	v_fma_f32 v2, v7, v0, -v2
	v_add_f32_e32 v2, v2, v9
	global_store_b64 v5, v[2:3], s[4:5]
	s_and_b32 exec_lo, exec_lo, vcc_lo
	s_cbranch_execz .LBB137_14
; %bb.12:
	s_mov_b32 s0, 0
	s_set_inst_prefetch_distance 0x1
	.p2align	6
.LBB137_13:                             ; =>This Inner Loop Header: Depth=1
	s_add_u32 s4, s4, 0x2000
	s_addc_u32 s5, s5, 0
	s_add_u32 s2, s2, 0x2000
	s_addc_u32 s3, s3, 0
	v_add_co_u32 v2, s1, s2, v5
	s_delay_alu instid0(VALU_DEP_1) | instskip(SKIP_1) | instid1(VALU_DEP_1)
	v_add_co_ci_u32_e64 v3, null, s3, 0, s1
	v_add_co_u32 v7, s1, s4, v5
	v_add_co_ci_u32_e64 v8, null, s5, 0, s1
	global_load_b64 v[2:3], v[2:3], off
	v_add_nc_u32_e32 v6, 0x400, v6
	global_load_b64 v[9:10], v[7:8], off
	v_cmp_le_i32_e32 vcc_lo, s14, v6
	s_or_b32 s0, vcc_lo, s0
	s_waitcnt vmcnt(1)
	v_mul_f32_e32 v4, v3, v1
	v_mul_f32_e32 v11, v2, v1
	s_delay_alu instid0(VALU_DEP_2) | instskip(SKIP_1) | instid1(VALU_DEP_1)
	v_fma_f32 v2, v2, v0, -v4
	s_waitcnt vmcnt(0)
	v_dual_fmac_f32 v11, v3, v0 :: v_dual_add_f32 v2, v2, v9
	s_delay_alu instid0(VALU_DEP_1)
	v_add_f32_e32 v3, v11, v10
	global_store_b64 v[7:8], v[2:3], off
	s_and_not1_b32 exec_lo, exec_lo, s0
	s_cbranch_execnz .LBB137_13
.LBB137_14:
	s_set_inst_prefetch_distance 0x2
	s_nop 0
	s_sendmsg sendmsg(MSG_DEALLOC_VGPRS)
	s_endpgm
	.section	.rodata,"a",@progbits
	.p2align	6, 0x0
	.amdhsa_kernel _ZN9rocsolver6v33100L20latrd_dot_scale_axpyILi1024E19rocblas_complex_numIfEiPS3_EEvT1_T2_llPT0_llS8_l
		.amdhsa_group_segment_fixed_size 16640
		.amdhsa_private_segment_fixed_size 0
		.amdhsa_kernarg_size 72
		.amdhsa_user_sgpr_count 14
		.amdhsa_user_sgpr_dispatch_ptr 0
		.amdhsa_user_sgpr_queue_ptr 0
		.amdhsa_user_sgpr_kernarg_segment_ptr 1
		.amdhsa_user_sgpr_dispatch_id 0
		.amdhsa_user_sgpr_private_segment_size 0
		.amdhsa_wavefront_size32 1
		.amdhsa_uses_dynamic_stack 0
		.amdhsa_enable_private_segment 0
		.amdhsa_system_sgpr_workgroup_id_x 1
		.amdhsa_system_sgpr_workgroup_id_y 0
		.amdhsa_system_sgpr_workgroup_id_z 1
		.amdhsa_system_sgpr_workgroup_info 0
		.amdhsa_system_vgpr_workitem_id 0
		.amdhsa_next_free_vgpr 19
		.amdhsa_next_free_sgpr 34
		.amdhsa_reserve_vcc 1
		.amdhsa_float_round_mode_32 0
		.amdhsa_float_round_mode_16_64 0
		.amdhsa_float_denorm_mode_32 3
		.amdhsa_float_denorm_mode_16_64 3
		.amdhsa_dx10_clamp 1
		.amdhsa_ieee_mode 1
		.amdhsa_fp16_overflow 0
		.amdhsa_workgroup_processor_mode 1
		.amdhsa_memory_ordered 1
		.amdhsa_forward_progress 0
		.amdhsa_shared_vgpr_count 0
		.amdhsa_exception_fp_ieee_invalid_op 0
		.amdhsa_exception_fp_denorm_src 0
		.amdhsa_exception_fp_ieee_div_zero 0
		.amdhsa_exception_fp_ieee_overflow 0
		.amdhsa_exception_fp_ieee_underflow 0
		.amdhsa_exception_fp_ieee_inexact 0
		.amdhsa_exception_int_div_zero 0
	.end_amdhsa_kernel
	.section	.text._ZN9rocsolver6v33100L20latrd_dot_scale_axpyILi1024E19rocblas_complex_numIfEiPS3_EEvT1_T2_llPT0_llS8_l,"axG",@progbits,_ZN9rocsolver6v33100L20latrd_dot_scale_axpyILi1024E19rocblas_complex_numIfEiPS3_EEvT1_T2_llPT0_llS8_l,comdat
.Lfunc_end137:
	.size	_ZN9rocsolver6v33100L20latrd_dot_scale_axpyILi1024E19rocblas_complex_numIfEiPS3_EEvT1_T2_llPT0_llS8_l, .Lfunc_end137-_ZN9rocsolver6v33100L20latrd_dot_scale_axpyILi1024E19rocblas_complex_numIfEiPS3_EEvT1_T2_llPT0_llS8_l
                                        ; -- End function
	.section	.AMDGPU.csdata,"",@progbits
; Kernel info:
; codeLenInByte = 1888
; NumSgprs: 36
; NumVgprs: 19
; ScratchSize: 0
; MemoryBound: 0
; FloatMode: 240
; IeeeMode: 1
; LDSByteSize: 16640 bytes/workgroup (compile time only)
; SGPRBlocks: 4
; VGPRBlocks: 2
; NumSGPRsForWavesPerEU: 36
; NumVGPRsForWavesPerEU: 19
; Occupancy: 16
; WaveLimiterHint : 0
; COMPUTE_PGM_RSRC2:SCRATCH_EN: 0
; COMPUTE_PGM_RSRC2:USER_SGPR: 14
; COMPUTE_PGM_RSRC2:TRAP_HANDLER: 0
; COMPUTE_PGM_RSRC2:TGID_X_EN: 1
; COMPUTE_PGM_RSRC2:TGID_Y_EN: 0
; COMPUTE_PGM_RSRC2:TGID_Z_EN: 1
; COMPUTE_PGM_RSRC2:TIDIG_COMP_CNT: 0
	.section	.text._ZN9rocsolver6v33100L26latrd_upper_updateA_kernelI19rocblas_complex_numIfEPS3_EEviiiT0_iilPT_iil,"axG",@progbits,_ZN9rocsolver6v33100L26latrd_upper_updateA_kernelI19rocblas_complex_numIfEPS3_EEviiiT0_iilPT_iil,comdat
	.globl	_ZN9rocsolver6v33100L26latrd_upper_updateA_kernelI19rocblas_complex_numIfEPS3_EEviiiT0_iilPT_iil ; -- Begin function _ZN9rocsolver6v33100L26latrd_upper_updateA_kernelI19rocblas_complex_numIfEPS3_EEviiiT0_iilPT_iil
	.p2align	8
	.type	_ZN9rocsolver6v33100L26latrd_upper_updateA_kernelI19rocblas_complex_numIfEPS3_EEviiiT0_iilPT_iil,@function
_ZN9rocsolver6v33100L26latrd_upper_updateA_kernelI19rocblas_complex_numIfEPS3_EEviiiT0_iilPT_iil: ; @_ZN9rocsolver6v33100L26latrd_upper_updateA_kernelI19rocblas_complex_numIfEPS3_EEviiiT0_iilPT_iil
; %bb.0:
	s_clause 0x2
	s_load_b32 s2, s[0:1], 0x4c
	s_load_b128 s[16:19], s[0:1], 0x0
	s_load_b64 s[24:25], s[0:1], 0x40
	s_mov_b32 s27, 0
	s_waitcnt lgkmcnt(0)
	s_and_b32 s12, s2, 0xffff
	s_abs_i32 s5, s18
	v_cvt_f32_u32_e32 v1, s12
	s_sub_i32 s4, 0, s12
	s_ashr_i32 s19, s18, 31
	s_delay_alu instid0(VALU_DEP_1) | instskip(SKIP_2) | instid1(VALU_DEP_1)
	v_rcp_iflag_f32_e32 v1, v1
	s_waitcnt_depctr 0xfff
	v_mul_f32_e32 v1, 0x4f7ffffe, v1
	v_cvt_u32_f32_e32 v1, v1
	s_delay_alu instid0(VALU_DEP_1) | instskip(NEXT) | instid1(VALU_DEP_1)
	v_readfirstlane_b32 s3, v1
	s_mul_i32 s4, s4, s3
	s_delay_alu instid0(SALU_CYCLE_1) | instskip(NEXT) | instid1(SALU_CYCLE_1)
	s_mul_hi_u32 s4, s3, s4
	s_add_i32 s3, s3, s4
	s_delay_alu instid0(SALU_CYCLE_1) | instskip(NEXT) | instid1(SALU_CYCLE_1)
	s_mul_hi_u32 s3, s5, s3
	s_mul_i32 s4, s3, s12
	s_delay_alu instid0(SALU_CYCLE_1)
	s_sub_i32 s4, s5, s4
	s_add_i32 s5, s3, 1
	s_sub_i32 s6, s4, s12
	s_cmp_ge_u32 s4, s12
	s_cselect_b32 s3, s5, s3
	s_cselect_b32 s4, s6, s4
	s_add_i32 s5, s3, 1
	s_cmp_ge_u32 s4, s12
	s_cselect_b32 s3, s5, s3
	s_abs_i32 s4, s24
	s_xor_b32 s3, s3, s19
	v_cvt_f32_u32_e32 v1, s4
	s_sub_i32 s6, 0, s4
	s_sub_i32 s3, s3, s19
	s_delay_alu instid0(SALU_CYCLE_1) | instskip(NEXT) | instid1(VALU_DEP_1)
	s_abs_i32 s7, s3
	v_rcp_iflag_f32_e32 v1, v1
	s_xor_b32 s3, s3, s24
	s_delay_alu instid0(SALU_CYCLE_1) | instskip(SKIP_2) | instid1(VALU_DEP_1)
	s_ashr_i32 s3, s3, 31
	s_waitcnt_depctr 0xfff
	v_mul_f32_e32 v1, 0x4f7ffffe, v1
	v_cvt_u32_f32_e32 v1, v1
	s_delay_alu instid0(VALU_DEP_1) | instskip(NEXT) | instid1(VALU_DEP_1)
	v_readfirstlane_b32 s5, v1
	s_mul_i32 s6, s6, s5
	s_delay_alu instid0(SALU_CYCLE_1) | instskip(NEXT) | instid1(SALU_CYCLE_1)
	s_mul_hi_u32 s6, s5, s6
	s_add_i32 s5, s5, s6
	s_delay_alu instid0(SALU_CYCLE_1) | instskip(NEXT) | instid1(SALU_CYCLE_1)
	s_mul_hi_u32 s5, s7, s5
	s_mul_i32 s6, s5, s4
	s_delay_alu instid0(SALU_CYCLE_1)
	s_sub_i32 s6, s7, s6
	s_add_i32 s7, s5, 1
	s_sub_i32 s8, s6, s4
	s_cmp_ge_u32 s6, s4
	s_cselect_b32 s5, s7, s5
	s_cselect_b32 s6, s8, s6
	s_add_i32 s7, s5, 1
	s_cmp_ge_u32 s6, s4
	s_cselect_b32 s4, s7, s5
	s_delay_alu instid0(SALU_CYCLE_1) | instskip(NEXT) | instid1(SALU_CYCLE_1)
	s_xor_b32 s4, s4, s3
	s_sub_i32 s26, s4, s3
	s_delay_alu instid0(SALU_CYCLE_1)
	s_cmp_lt_i32 s26, 0
	s_cbranch_scc1 .LBB138_20
; %bb.1:
	s_clause 0x1
	s_load_b256 s[4:11], s[0:1], 0x10
	s_load_b128 s[20:23], s[0:1], 0x30
	s_ashr_i32 s29, s15, 31
	s_lshr_b32 s28, s2, 16
	s_delay_alu instid0(SALU_CYCLE_1) | instskip(NEXT) | instid1(VALU_DEP_1)
	v_cvt_f32_u32_e32 v1, s28
	v_rcp_iflag_f32_e32 v1, v1
	s_waitcnt_depctr 0xfff
	v_mul_f32_e32 v1, 0x4f7ffffe, v1
	s_waitcnt lgkmcnt(0)
	s_ashr_i32 s1, s6, 31
	s_mov_b32 s0, s6
	s_mul_i32 s3, s15, s9
	s_mul_hi_u32 s6, s15, s8
	s_mul_i32 s9, s29, s8
	s_add_i32 s3, s6, s3
	s_mul_i32 s2, s15, s8
	s_add_i32 s3, s3, s9
	s_mul_i32 s6, s15, s23
	s_lshl_b64 s[2:3], s[2:3], 3
	s_mul_hi_u32 s9, s15, s22
	s_add_u32 s2, s4, s2
	s_addc_u32 s3, s5, s3
	s_lshl_b64 s[0:1], s[0:1], 3
	s_mul_i32 s29, s29, s22
	s_add_u32 s4, s2, s0
	s_addc_u32 s23, s3, s1
	s_add_i32 s1, s9, s6
	s_mul_i32 s0, s15, s22
	s_add_i32 s1, s1, s29
	s_mov_b32 s8, s20
	s_lshl_b64 s[0:1], s[0:1], 3
	s_ashr_i32 s9, s20, 31
	s_add_u32 s5, s10, s0
	s_addc_u32 s6, s11, s1
	s_lshl_b64 s[0:1], s[8:9], 3
	s_mul_hi_i32 s3, s7, s18
	s_mul_i32 s2, s7, s18
	s_add_u32 s11, s5, s0
	s_addc_u32 s15, s6, s1
	s_not_b32 s5, s18
	s_add_i32 s20, s18, 1
	s_lshl_b64 s[0:1], s[2:3], 3
	s_add_i32 s5, s5, s16
	s_mul_hi_i32 s3, s7, s20
	s_mul_i32 s2, s7, s20
	s_add_u32 s6, s4, s0
	s_addc_u32 s8, s23, s1
	s_lshl_b64 s[0:1], s[2:3], 3
	v_cvt_u32_f32_e32 v1, v1
	s_add_u32 s9, s4, s0
	s_addc_u32 s10, s23, s1
	s_sub_i32 s0, s17, s16
	s_mul_i32 s22, s25, s28
	s_add_i32 s20, s20, s0
	v_readfirstlane_b32 s2, v1
	s_mul_hi_i32 s1, s21, s20
	s_mul_i32 s0, s21, s20
	s_mul_i32 s29, s24, s12
	s_lshl_b64 s[0:1], s[0:1], 3
	s_delay_alu instid0(SALU_CYCLE_1) | instskip(SKIP_2) | instid1(SALU_CYCLE_1)
	s_add_u32 s11, s11, s0
	s_addc_u32 s15, s15, s1
	s_lshl_b64 s[0:1], s[18:19], 3
	s_add_u32 s16, s11, s0
	s_addc_u32 s17, s15, s1
	s_add_u32 s19, s9, s0
	s_addc_u32 s20, s10, s1
	s_sub_i32 s0, 0, s28
	s_add_i32 s1, s5, -1
	s_mul_i32 s0, s0, s2
	s_abs_i32 s3, s1
	s_mul_hi_u32 s0, s2, s0
	s_ashr_i32 s1, s1, 31
	s_add_i32 s2, s2, s0
	s_delay_alu instid0(SALU_CYCLE_1) | instskip(NEXT) | instid1(SALU_CYCLE_1)
	s_mul_hi_u32 s0, s3, s2
	s_mul_i32 s2, s0, s28
	s_delay_alu instid0(SALU_CYCLE_1)
	s_sub_i32 s2, s3, s2
	s_add_i32 s3, s0, 1
	s_sub_i32 s4, s2, s28
	s_cmp_ge_u32 s2, s28
	s_cselect_b32 s0, s3, s0
	s_cselect_b32 s2, s4, s2
	s_add_i32 s3, s0, 1
	s_cmp_ge_u32 s2, s28
	s_cselect_b32 s0, s3, s0
	s_abs_i32 s2, s25
	s_xor_b32 s0, s0, s1
	v_cvt_f32_u32_e32 v1, s2
	s_sub_i32 s4, 0, s2
	s_sub_i32 s0, s0, s1
	s_delay_alu instid0(VALU_DEP_1) | instskip(SKIP_2) | instid1(VALU_DEP_1)
	v_rcp_iflag_f32_e32 v1, v1
	s_waitcnt_depctr 0xfff
	v_mul_f32_e32 v1, 0x4f7ffffe, v1
	v_cvt_u32_f32_e32 v2, v1
	v_bfe_u32 v1, v0, 10, 10
	v_and_b32_e32 v0, 0x3ff, v0
	s_delay_alu instid0(VALU_DEP_3) | instskip(NEXT) | instid1(VALU_DEP_3)
	v_readfirstlane_b32 s3, v2
	v_mad_u64_u32 v[2:3], null, s14, s28, v[1:2]
	v_mul_u32_u24_e32 v5, s12, v1
	s_delay_alu instid0(VALU_DEP_4) | instskip(NEXT) | instid1(VALU_DEP_4)
	v_lshl_add_u32 v15, v0, 3, 0
	s_mul_i32 s4, s4, s3
	v_mad_u64_u32 v[3:4], null, s13, s12, v[0:1]
	s_mul_hi_u32 s1, s3, s4
	s_abs_i32 s4, s0
	s_add_i32 s3, s3, s1
	s_xor_b32 s0, s0, s25
	s_mul_hi_u32 s1, s4, s3
	s_ashr_i32 s14, s0, 31
	s_mul_i32 s3, s1, s2
	v_mul_lo_u32 v17, s7, v2
	s_sub_i32 s3, s4, s3
	s_add_i32 s4, s1, 1
	s_sub_i32 s23, s3, s2
	s_cmp_ge_u32 s3, s2
	v_mul_lo_u32 v18, s21, v2
	s_cselect_b32 s1, s4, s1
	s_cselect_b32 s3, s23, s3
	s_add_i32 s4, s1, 1
	s_cmp_ge_u32 s3, s2
	v_cmp_ne_u32_e64 s0, 0, v1
	s_cselect_b32 s1, s4, s1
	v_lshl_add_u32 v16, v5, 3, v15
	s_xor_b32 s2, s1, s14
	v_cmp_ne_u32_e64 s1, 0, v2
	s_sub_i32 s23, s2, s14
	v_cmp_gt_u16_e64 s25, s28, 1
	s_cmp_gt_i32 s23, -1
	s_mul_i32 s7, s22, s7
	s_cselect_b32 s14, -1, 0
	s_add_i32 s23, s23, 1
	s_mul_i32 s21, s22, s21
	s_branch .LBB138_3
.LBB138_2:                              ;   in Loop: Header=BB138_3 Depth=1
	s_or_b32 exec_lo, exec_lo, s2
	v_add_nc_u32_e32 v3, s29, v3
	s_add_i32 s2, s27, 1
	s_cmp_eq_u32 s27, s26
	s_mov_b32 s27, s2
	s_cbranch_scc1 .LBB138_20
.LBB138_3:                              ; =>This Loop Header: Depth=1
                                        ;     Child Loop BB138_12 Depth 2
                                        ;     Child Loop BB138_9 Depth 2
	s_mul_i32 s2, s27, s24
	v_dual_mov_b32 v6, 0 :: v_dual_mov_b32 v7, 0
	s_add_i32 s2, s2, s13
	s_delay_alu instid0(SALU_CYCLE_1) | instskip(NEXT) | instid1(VALU_DEP_1)
	v_mad_u64_u32 v[4:5], null, s2, s12, v[0:1]
	v_cmp_lt_i32_e64 s2, s18, v4
	v_ashrrev_i32_e32 v5, 31, v4
	s_delay_alu instid0(VALU_DEP_2) | instskip(NEXT) | instid1(SALU_CYCLE_1)
	s_or_b32 s3, s1, s2
	s_xor_b32 s4, s3, -1
	s_delay_alu instid0(SALU_CYCLE_1)
	s_and_saveexec_b32 s3, s4
	s_cbranch_execz .LBB138_5
; %bb.4:                                ;   in Loop: Header=BB138_3 Depth=1
	v_lshlrev_b64 v[6:7], 3, v[4:5]
	s_delay_alu instid0(VALU_DEP_1) | instskip(NEXT) | instid1(VALU_DEP_2)
	v_add_co_u32 v6, vcc_lo, s6, v6
	v_add_co_ci_u32_e32 v7, vcc_lo, s8, v7, vcc_lo
	global_load_b64 v[6:7], v[6:7], off
.LBB138_5:                              ;   in Loop: Header=BB138_3 Depth=1
	s_or_b32 exec_lo, exec_lo, s3
	v_dual_mov_b32 v19, v2 :: v_dual_mov_b32 v10, v17
	v_mov_b32_e32 v8, v18
	s_and_not1_b32 vcc_lo, exec_lo, s14
	s_mov_b32 s30, s23
	s_cbranch_vccz .LBB138_12
.LBB138_6:                              ;   in Loop: Header=BB138_3 Depth=1
	s_and_not1_b32 vcc_lo, exec_lo, s25
	s_mov_b32 s3, s28
	s_waitcnt vmcnt(0)
	ds_store_b64 v16, v[6:7]
	s_waitcnt lgkmcnt(0)
	s_waitcnt_vscnt null, 0x0
	s_barrier
	buffer_gl0_inv
	s_cbranch_vccnz .LBB138_18
	.p2align	6
; %bb.7:                                ;   in Loop: Header=BB138_3 Depth=1
	s_lshr_b32 s4, s3, 1
	s_mov_b32 s30, exec_lo
	v_cmpx_gt_u32_e64 s4, v1
	s_cbranch_execz .LBB138_9
.LBB138_8:                              ;   in Loop: Header=BB138_3 Depth=1
	v_add_nc_u32_e32 v8, s4, v1
	s_delay_alu instid0(VALU_DEP_1) | instskip(NEXT) | instid1(VALU_DEP_1)
	v_mul_u32_u24_e32 v8, s12, v8
	v_lshl_add_u32 v8, v8, 3, v15
	ds_load_b64 v[8:9], v8
	s_waitcnt lgkmcnt(0)
	v_dual_add_f32 v6, v6, v8 :: v_dual_add_f32 v7, v7, v9
	ds_store_b64 v16, v[6:7]
.LBB138_9:                              ;   Parent Loop BB138_3 Depth=1
                                        ; =>  This Inner Loop Header: Depth=2
	s_or_b32 exec_lo, exec_lo, s30
	s_cmp_lt_u32 s3, 4
	s_waitcnt lgkmcnt(0)
	s_barrier
	buffer_gl0_inv
	s_cbranch_scc1 .LBB138_18
; %bb.10:                               ;   in Loop: Header=BB138_9 Depth=2
	s_mov_b32 s3, s4
	s_delay_alu instid0(SALU_CYCLE_1)
	s_lshr_b32 s4, s3, 1
	s_mov_b32 s30, exec_lo
	v_cmpx_gt_u32_e64 s4, v1
	s_cbranch_execnz .LBB138_8
	s_branch .LBB138_9
.LBB138_11:                             ;   in Loop: Header=BB138_12 Depth=2
	s_or_b32 exec_lo, exec_lo, s3
	v_add_nc_u32_e32 v10, s7, v10
	v_add_nc_u32_e32 v8, s21, v8
	;; [unrolled: 1-line block ×3, first 2 shown]
	s_add_i32 s30, s30, -1
	s_delay_alu instid0(SALU_CYCLE_1)
	s_cmp_eq_u32 s30, 0
	s_cbranch_scc1 .LBB138_6
.LBB138_12:                             ;   Parent Loop BB138_3 Depth=1
                                        ; =>  This Inner Loop Header: Depth=2
	s_delay_alu instid0(VALU_DEP_1) | instskip(SKIP_3) | instid1(VALU_DEP_3)
	v_cmp_le_i32_e32 vcc_lo, s5, v19
	v_cmp_gt_i32_e64 s3, s5, v19
	v_dual_mov_b32 v11, 0 :: v_dual_mov_b32 v12, 0
	v_mov_b32_e32 v9, 0
	s_and_saveexec_b32 s31, s3
	s_cbranch_execz .LBB138_14
; %bb.13:                               ;   in Loop: Header=BB138_12 Depth=2
	v_ashrrev_i32_e32 v9, 31, v8
	s_delay_alu instid0(VALU_DEP_1) | instskip(NEXT) | instid1(VALU_DEP_1)
	v_lshlrev_b64 v[12:13], 3, v[8:9]
	v_add_co_u32 v12, s4, s16, v12
	s_delay_alu instid0(VALU_DEP_1)
	v_add_co_ci_u32_e64 v13, s4, s17, v13, s4
	global_load_b64 v[12:13], v[12:13], off
	s_waitcnt vmcnt(0)
	v_xor_b32_e32 v9, 0x80000000, v13
.LBB138_14:                             ;   in Loop: Header=BB138_12 Depth=2
	s_or_b32 exec_lo, exec_lo, s31
	v_mov_b32_e32 v13, 0
	s_and_saveexec_b32 s4, s3
	s_cbranch_execz .LBB138_16
; %bb.15:                               ;   in Loop: Header=BB138_12 Depth=2
	v_ashrrev_i32_e32 v11, 31, v10
	s_delay_alu instid0(VALU_DEP_1) | instskip(NEXT) | instid1(VALU_DEP_1)
	v_lshlrev_b64 v[13:14], 3, v[10:11]
	v_add_co_u32 v13, s3, s19, v13
	s_delay_alu instid0(VALU_DEP_1)
	v_add_co_ci_u32_e64 v14, s3, s20, v14, s3
	global_load_b64 v[13:14], v[13:14], off
	s_waitcnt vmcnt(0)
	v_xor_b32_e32 v11, 0x80000000, v14
.LBB138_16:                             ;   in Loop: Header=BB138_12 Depth=2
	s_or_b32 exec_lo, exec_lo, s4
	s_or_b32 s3, s2, vcc_lo
	s_delay_alu instid0(SALU_CYCLE_1) | instskip(NEXT) | instid1(SALU_CYCLE_1)
	s_xor_b32 s4, s3, -1
	s_and_saveexec_b32 s3, s4
	s_cbranch_execz .LBB138_11
; %bb.17:                               ;   in Loop: Header=BB138_12 Depth=2
	v_add_nc_u32_e32 v20, v3, v10
	v_add_nc_u32_e32 v22, v3, v8
	s_delay_alu instid0(VALU_DEP_2) | instskip(NEXT) | instid1(VALU_DEP_2)
	v_ashrrev_i32_e32 v21, 31, v20
	v_ashrrev_i32_e32 v23, 31, v22
	s_delay_alu instid0(VALU_DEP_2) | instskip(NEXT) | instid1(VALU_DEP_2)
	v_lshlrev_b64 v[20:21], 3, v[20:21]
	v_lshlrev_b64 v[22:23], 3, v[22:23]
	s_delay_alu instid0(VALU_DEP_2) | instskip(NEXT) | instid1(VALU_DEP_3)
	v_add_co_u32 v20, vcc_lo, s9, v20
	v_add_co_ci_u32_e32 v21, vcc_lo, s10, v21, vcc_lo
	s_delay_alu instid0(VALU_DEP_3) | instskip(NEXT) | instid1(VALU_DEP_4)
	v_add_co_u32 v22, vcc_lo, s11, v22
	v_add_co_ci_u32_e32 v23, vcc_lo, s15, v23, vcc_lo
	global_load_b64 v[20:21], v[20:21], off
	global_load_b64 v[22:23], v[22:23], off
	s_waitcnt vmcnt(0)
	v_mul_f32_e32 v24, v11, v23
	v_mul_f32_e32 v23, v13, v23
	v_mul_f32_e32 v14, v9, v21
	v_mul_f32_e32 v21, v12, v21
	s_delay_alu instid0(VALU_DEP_3) | instskip(NEXT) | instid1(VALU_DEP_3)
	v_fmac_f32_e32 v23, v11, v22
	v_fma_f32 v12, v12, v20, -v14
	s_delay_alu instid0(VALU_DEP_3) | instskip(SKIP_1) | instid1(VALU_DEP_1)
	v_fmac_f32_e32 v21, v9, v20
	v_fma_f32 v9, v13, v22, -v24
	v_add_f32_e32 v9, v12, v9
	s_delay_alu instid0(VALU_DEP_1) | instskip(NEXT) | instid1(VALU_DEP_1)
	v_dual_add_f32 v11, v21, v23 :: v_dual_sub_f32 v6, v6, v9
	v_sub_f32_e32 v7, v7, v11
	s_branch .LBB138_11
.LBB138_18:                             ;   in Loop: Header=BB138_3 Depth=1
	s_or_b32 s2, s0, s2
	s_delay_alu instid0(SALU_CYCLE_1) | instskip(NEXT) | instid1(SALU_CYCLE_1)
	s_xor_b32 s3, s2, -1
	s_and_saveexec_b32 s2, s3
	s_cbranch_execz .LBB138_2
; %bb.19:                               ;   in Loop: Header=BB138_3 Depth=1
	v_lshlrev_b64 v[4:5], 3, v[4:5]
	s_delay_alu instid0(VALU_DEP_1) | instskip(NEXT) | instid1(VALU_DEP_2)
	v_add_co_u32 v4, vcc_lo, s6, v4
	v_add_co_ci_u32_e32 v5, vcc_lo, s8, v5, vcc_lo
	global_store_b64 v[4:5], v[6:7], off
	s_branch .LBB138_2
.LBB138_20:
	s_nop 0
	s_sendmsg sendmsg(MSG_DEALLOC_VGPRS)
	s_endpgm
	.section	.rodata,"a",@progbits
	.p2align	6, 0x0
	.amdhsa_kernel _ZN9rocsolver6v33100L26latrd_upper_updateA_kernelI19rocblas_complex_numIfEPS3_EEviiiT0_iilPT_iil
		.amdhsa_group_segment_fixed_size 0
		.amdhsa_private_segment_fixed_size 0
		.amdhsa_kernarg_size 320
		.amdhsa_user_sgpr_count 13
		.amdhsa_user_sgpr_dispatch_ptr 0
		.amdhsa_user_sgpr_queue_ptr 0
		.amdhsa_user_sgpr_kernarg_segment_ptr 1
		.amdhsa_user_sgpr_dispatch_id 0
		.amdhsa_user_sgpr_private_segment_size 0
		.amdhsa_wavefront_size32 1
		.amdhsa_uses_dynamic_stack 0
		.amdhsa_enable_private_segment 0
		.amdhsa_system_sgpr_workgroup_id_x 1
		.amdhsa_system_sgpr_workgroup_id_y 1
		.amdhsa_system_sgpr_workgroup_id_z 1
		.amdhsa_system_sgpr_workgroup_info 0
		.amdhsa_system_vgpr_workitem_id 1
		.amdhsa_next_free_vgpr 25
		.amdhsa_next_free_sgpr 32
		.amdhsa_reserve_vcc 1
		.amdhsa_float_round_mode_32 0
		.amdhsa_float_round_mode_16_64 0
		.amdhsa_float_denorm_mode_32 3
		.amdhsa_float_denorm_mode_16_64 3
		.amdhsa_dx10_clamp 1
		.amdhsa_ieee_mode 1
		.amdhsa_fp16_overflow 0
		.amdhsa_workgroup_processor_mode 1
		.amdhsa_memory_ordered 1
		.amdhsa_forward_progress 0
		.amdhsa_shared_vgpr_count 0
		.amdhsa_exception_fp_ieee_invalid_op 0
		.amdhsa_exception_fp_denorm_src 0
		.amdhsa_exception_fp_ieee_div_zero 0
		.amdhsa_exception_fp_ieee_overflow 0
		.amdhsa_exception_fp_ieee_underflow 0
		.amdhsa_exception_fp_ieee_inexact 0
		.amdhsa_exception_int_div_zero 0
	.end_amdhsa_kernel
	.section	.text._ZN9rocsolver6v33100L26latrd_upper_updateA_kernelI19rocblas_complex_numIfEPS3_EEviiiT0_iilPT_iil,"axG",@progbits,_ZN9rocsolver6v33100L26latrd_upper_updateA_kernelI19rocblas_complex_numIfEPS3_EEviiiT0_iilPT_iil,comdat
.Lfunc_end138:
	.size	_ZN9rocsolver6v33100L26latrd_upper_updateA_kernelI19rocblas_complex_numIfEPS3_EEviiiT0_iilPT_iil, .Lfunc_end138-_ZN9rocsolver6v33100L26latrd_upper_updateA_kernelI19rocblas_complex_numIfEPS3_EEviiiT0_iilPT_iil
                                        ; -- End function
	.section	.AMDGPU.csdata,"",@progbits
; Kernel info:
; codeLenInByte = 1708
; NumSgprs: 34
; NumVgprs: 25
; ScratchSize: 0
; MemoryBound: 0
; FloatMode: 240
; IeeeMode: 1
; LDSByteSize: 0 bytes/workgroup (compile time only)
; SGPRBlocks: 4
; VGPRBlocks: 3
; NumSGPRsForWavesPerEU: 34
; NumVGPRsForWavesPerEU: 25
; Occupancy: 16
; WaveLimiterHint : 0
; COMPUTE_PGM_RSRC2:SCRATCH_EN: 0
; COMPUTE_PGM_RSRC2:USER_SGPR: 13
; COMPUTE_PGM_RSRC2:TRAP_HANDLER: 0
; COMPUTE_PGM_RSRC2:TGID_X_EN: 1
; COMPUTE_PGM_RSRC2:TGID_Y_EN: 1
; COMPUTE_PGM_RSRC2:TGID_Z_EN: 1
; COMPUTE_PGM_RSRC2:TIDIG_COMP_CNT: 1
	.section	.text._ZN9rocsolver6v33100L33latrd_upper_computeW_gemvt_kernelILi256E19rocblas_complex_numIfEPS3_EEviiiT1_iilPT0_iilS7_iilS7_l,"axG",@progbits,_ZN9rocsolver6v33100L33latrd_upper_computeW_gemvt_kernelILi256E19rocblas_complex_numIfEPS3_EEviiiT1_iilPT0_iilS7_iilS7_l,comdat
	.globl	_ZN9rocsolver6v33100L33latrd_upper_computeW_gemvt_kernelILi256E19rocblas_complex_numIfEPS3_EEviiiT1_iilPT0_iilS7_iilS7_l ; -- Begin function _ZN9rocsolver6v33100L33latrd_upper_computeW_gemvt_kernelILi256E19rocblas_complex_numIfEPS3_EEviiiT1_iilPT0_iilS7_iilS7_l
	.p2align	8
	.type	_ZN9rocsolver6v33100L33latrd_upper_computeW_gemvt_kernelILi256E19rocblas_complex_numIfEPS3_EEviiiT1_iilPT0_iilS7_iilS7_l,@function
_ZN9rocsolver6v33100L33latrd_upper_computeW_gemvt_kernelILi256E19rocblas_complex_numIfEPS3_EEviiiT1_iilPT0_iilS7_iilS7_l: ; @_ZN9rocsolver6v33100L33latrd_upper_computeW_gemvt_kernelILi256E19rocblas_complex_numIfEPS3_EEviiiT1_iilPT0_iilS7_iilS7_l
; %bb.0:
	s_clause 0x1
	s_load_b128 s[20:23], s[0:1], 0x0
	s_load_b128 s[16:19], s[0:1], 0x38
	s_ashr_i32 s26, s15, 31
	v_dual_mov_b32 v2, 0 :: v_dual_mov_b32 v1, 0
	s_mov_b32 s4, -1
	s_waitcnt lgkmcnt(0)
	s_cmp_lt_i32 s14, s20
	s_cselect_b32 s23, -1, 0
	s_delay_alu instid0(SALU_CYCLE_1) | instskip(SKIP_1) | instid1(SALU_CYCLE_1)
	s_and_b32 s2, s23, exec_lo
	s_cselect_b32 s2, 0, s20
	s_sub_i32 s2, s14, s2
	s_delay_alu instid0(SALU_CYCLE_1)
	s_ashr_i32 s3, s2, 31
	s_cmp_eq_u32 s2, s22
	s_cbranch_scc1 .LBB139_11
; %bb.1:
	s_clause 0x1
	s_load_b256 s[4:11], s[0:1], 0x10
	s_load_b64 s[28:29], s[0:1], 0x30
	s_mul_i32 s17, s15, s17
	s_mul_hi_u32 s27, s15, s16
	s_mul_i32 s30, s26, s16
	s_mul_i32 s16, s15, s16
	v_cmp_gt_i32_e32 vcc_lo, s22, v0
	v_mov_b32_e32 v7, 0
	v_cndmask_b32_e32 v1, 0, v0, vcc_lo
	s_delay_alu instid0(VALU_DEP_1)
	v_dual_mov_b32 v5, 0 :: v_dual_lshlrev_b32 v6, 3, v1
	s_waitcnt lgkmcnt(0)
	s_mul_i32 s9, s15, s9
	s_mul_hi_u32 s12, s15, s8
	s_mul_i32 s13, s26, s8
	s_add_i32 s9, s12, s9
	s_mul_i32 s8, s15, s8
	s_add_i32 s9, s9, s13
	s_ashr_i32 s25, s6, 31
	s_lshl_b64 s[12:13], s[8:9], 3
	s_mov_b32 s24, s6
	s_add_u32 s6, s4, s12
	s_addc_u32 s8, s5, s13
	s_lshl_b64 s[24:25], s[24:25], 3
	s_delay_alu instid0(SALU_CYCLE_1)
	s_add_u32 s9, s6, s24
	s_addc_u32 s14, s8, s25
	s_add_i32 s6, s27, s17
	s_ashr_i32 s31, s28, 31
	s_add_i32 s17, s6, s30
	s_mov_b32 s30, s28
	s_lshl_b64 s[16:17], s[16:17], 3
	s_delay_alu instid0(SALU_CYCLE_1) | instskip(SKIP_2) | instid1(SALU_CYCLE_1)
	s_add_u32 s6, s10, s16
	s_addc_u32 s8, s11, s17
	s_lshl_b64 s[10:11], s[30:31], 3
	s_add_u32 s6, s6, s10
	s_addc_u32 s8, s8, s11
	s_sub_i32 s10, s21, s20
	s_delay_alu instid0(SALU_CYCLE_1) | instskip(NEXT) | instid1(SALU_CYCLE_1)
	s_add_i32 s10, s10, s22
	s_add_i32 s10, s10, 1
	s_delay_alu instid0(SALU_CYCLE_1) | instskip(SKIP_1) | instid1(SALU_CYCLE_1)
	s_mul_hi_i32 s11, s29, s10
	s_mul_i32 s10, s29, s10
	s_lshl_b64 s[16:17], s[10:11], 3
	s_mul_hi_i32 s11, s7, s22
	s_add_u32 s6, s6, s16
	s_addc_u32 s8, s8, s17
	s_and_b32 s10, s23, exec_lo
	s_cselect_b32 s16, s14, s8
	s_cselect_b32 s17, s9, s6
	;; [unrolled: 1-line block ×3, first 2 shown]
	s_ashr_i32 s8, s22, 31
	s_mul_i32 s10, s7, s22
	s_lshr_b32 s8, s8, 24
	s_mul_hi_i32 s7, s6, s2
	s_add_i32 s8, s22, s8
	s_mul_i32 s6, s6, s2
	s_and_b32 s8, s8, 0xffffff00
	s_cmpk_lt_i32 s22, 0x100
	s_cbranch_scc1 .LBB139_4
; %bb.2:
	s_lshl_b64 s[20:21], s[6:7], 3
	v_lshlrev_b32_e32 v3, 3, v0
	s_add_u32 s27, s17, s20
	s_addc_u32 s28, s16, s21
	s_lshl_b64 s[20:21], s[10:11], 3
	v_add_co_u32 v1, s27, s27, v6
	s_add_u32 s12, s12, s20
	s_addc_u32 s13, s13, s21
	s_add_u32 s12, s12, s24
	s_addc_u32 s13, s13, s25
	s_add_u32 s4, s4, s12
	v_add_co_ci_u32_e64 v2, null, s28, 0, s27
	s_addc_u32 s5, s5, s13
	v_add_co_u32 v3, s4, s4, v3
	s_delay_alu instid0(VALU_DEP_1) | instskip(SKIP_2) | instid1(VALU_DEP_4)
	v_add_co_ci_u32_e64 v4, null, s5, 0, s4
	v_add_co_u32 v1, vcc_lo, v1, 4
	v_add_co_ci_u32_e32 v2, vcc_lo, 0, v2, vcc_lo
	v_add_co_u32 v3, vcc_lo, v3, 4
	s_delay_alu instid0(VALU_DEP_4)
	v_add_co_ci_u32_e32 v4, vcc_lo, 0, v4, vcc_lo
	v_mov_b32_e32 v5, 0
	v_mov_b32_e32 v7, 0
	s_mov_b32 s4, 0
	.p2align	6
.LBB139_3:                              ; =>This Inner Loop Header: Depth=1
	global_load_b64 v[8:9], v[1:2], off offset:-4
	global_load_b64 v[10:11], v[3:4], off offset:-4
	v_add_co_u32 v1, vcc_lo, 0x800, v1
	v_add_co_ci_u32_e32 v2, vcc_lo, 0, v2, vcc_lo
	v_add_co_u32 v3, vcc_lo, 0x800, v3
	v_add_co_ci_u32_e32 v4, vcc_lo, 0, v4, vcc_lo
	s_addk_i32 s4, 0x100
	s_delay_alu instid0(SALU_CYCLE_1) | instskip(SKIP_3) | instid1(VALU_DEP_2)
	s_cmp_ge_i32 s4, s8
	s_waitcnt vmcnt(0)
	v_mul_f32_e32 v12, v9, v11
	v_mul_f32_e32 v9, v9, v10
	v_fmac_f32_e32 v12, v8, v10
	s_delay_alu instid0(VALU_DEP_2) | instskip(NEXT) | instid1(VALU_DEP_1)
	v_fma_f32 v8, v8, v11, -v9
	v_add_f32_e32 v5, v5, v8
	s_delay_alu instid0(VALU_DEP_3)
	v_add_f32_e32 v7, v7, v12
	s_cbranch_scc0 .LBB139_3
.LBB139_4:
	v_add_nc_u32_e32 v1, s8, v0
	s_mov_b32 s4, exec_lo
	s_delay_alu instid0(VALU_DEP_1)
	v_cmpx_gt_i32_e64 s22, v1
	s_cbranch_execz .LBB139_6
; %bb.5:
	v_ashrrev_i32_e32 v2, 31, v1
	s_lshl_b64 s[10:11], s[10:11], 3
	s_delay_alu instid0(SALU_CYCLE_1) | instskip(SKIP_1) | instid1(VALU_DEP_1)
	s_add_u32 s5, s9, s10
	s_addc_u32 s10, s14, s11
	v_lshlrev_b64 v[1:2], 3, v[1:2]
	s_ashr_i32 s9, s8, 31
	s_lshl_b64 s[6:7], s[6:7], 3
	s_lshl_b64 s[8:9], s[8:9], 3
	s_delay_alu instid0(SALU_CYCLE_1) | instskip(NEXT) | instid1(VALU_DEP_1)
	s_add_u32 s6, s8, s6
	v_add_co_u32 v1, vcc_lo, s5, v1
	s_addc_u32 s7, s9, s7
	v_add_co_ci_u32_e32 v2, vcc_lo, s10, v2, vcc_lo
	s_add_u32 s6, s6, s17
	s_addc_u32 s7, s7, s16
	global_load_b64 v[3:4], v6, s[6:7]
	global_load_b64 v[1:2], v[1:2], off
	s_waitcnt vmcnt(0)
	v_mul_f32_e32 v6, v4, v2
	s_delay_alu instid0(VALU_DEP_1) | instskip(NEXT) | instid1(VALU_DEP_1)
	v_fmac_f32_e32 v6, v3, v1
	v_dual_mul_f32 v4, v4, v1 :: v_dual_add_f32 v7, v7, v6
	s_delay_alu instid0(VALU_DEP_1) | instskip(NEXT) | instid1(VALU_DEP_1)
	v_fma_f32 v1, v3, v2, -v4
	v_add_f32_e32 v5, v5, v1
.LBB139_6:
	s_or_b32 exec_lo, exec_lo, s4
	v_mbcnt_lo_u32_b32 v1, -1, 0
	s_mov_b32 s4, 0
	s_mov_b32 s5, exec_lo
	s_delay_alu instid0(VALU_DEP_1) | instskip(SKIP_2) | instid1(VALU_DEP_2)
	v_cmp_ne_u32_e32 vcc_lo, 31, v1
	v_add_co_ci_u32_e32 v2, vcc_lo, 0, v1, vcc_lo
	v_cmp_gt_u32_e32 vcc_lo, 30, v1
	v_lshlrev_b32_e32 v2, 2, v2
	v_cndmask_b32_e64 v4, 0, 1, vcc_lo
	v_cmp_gt_u32_e32 vcc_lo, 28, v1
	ds_bpermute_b32 v3, v2, v7
	v_cndmask_b32_e64 v6, 0, 1, vcc_lo
	v_cmp_gt_u32_e32 vcc_lo, 24, v1
	s_delay_alu instid0(VALU_DEP_2) | instskip(NEXT) | instid1(VALU_DEP_1)
	v_lshlrev_b32_e32 v6, 2, v6
	v_add_lshl_u32 v6, v6, v1, 2
	s_waitcnt lgkmcnt(0)
	v_add_f32_e32 v3, v7, v3
	ds_bpermute_b32 v2, v2, v5
	v_lshlrev_b32_e32 v4, 1, v4
	s_delay_alu instid0(VALU_DEP_1)
	v_add_lshl_u32 v4, v4, v1, 2
	s_waitcnt lgkmcnt(0)
	v_add_f32_e32 v2, v5, v2
	ds_bpermute_b32 v5, v4, v3
	ds_bpermute_b32 v4, v4, v2
	s_waitcnt lgkmcnt(0)
	v_dual_add_f32 v3, v3, v5 :: v_dual_add_f32 v2, v2, v4
	ds_bpermute_b32 v4, v6, v3
	ds_bpermute_b32 v5, v6, v2
	v_cndmask_b32_e64 v6, 0, 1, vcc_lo
	v_cmp_gt_u32_e32 vcc_lo, 16, v1
	s_delay_alu instid0(VALU_DEP_2) | instskip(NEXT) | instid1(VALU_DEP_1)
	v_lshlrev_b32_e32 v6, 3, v6
	v_add_lshl_u32 v6, v6, v1, 2
	s_waitcnt lgkmcnt(0)
	v_dual_add_f32 v3, v3, v4 :: v_dual_add_f32 v2, v2, v5
	ds_bpermute_b32 v4, v6, v3
	ds_bpermute_b32 v5, v6, v2
	v_cndmask_b32_e64 v6, 0, 1, vcc_lo
	s_delay_alu instid0(VALU_DEP_1) | instskip(NEXT) | instid1(VALU_DEP_1)
	v_lshlrev_b32_e32 v6, 4, v6
	v_add_lshl_u32 v1, v6, v1, 2
	s_waitcnt lgkmcnt(0)
	v_dual_add_f32 v3, v3, v4 :: v_dual_add_f32 v2, v2, v5
	v_and_b32_e32 v5, 31, v0
	ds_bpermute_b32 v4, v1, v3
	ds_bpermute_b32 v1, v1, v2
	s_waitcnt lgkmcnt(0)
	v_dual_add_f32 v3, v3, v4 :: v_dual_add_f32 v4, v2, v1
	v_cmpx_eq_u32_e32 0, v5
	s_cbranch_execz .LBB139_8
; %bb.7:
	v_lshrrev_b32_e32 v1, 2, v0
	ds_store_b64 v1, v[3:4]
.LBB139_8:
	s_or_b32 exec_lo, exec_lo, s5
	v_dual_mov_b32 v2, 0 :: v_dual_mov_b32 v1, 0
	s_mov_b32 s5, exec_lo
	s_waitcnt lgkmcnt(0)
	s_barrier
	buffer_gl0_inv
	v_cmpx_eq_u32_e32 0, v0
	s_cbranch_execz .LBB139_10
; %bb.9:
	v_mov_b32_e32 v1, 0
	s_mov_b32 s4, exec_lo
	ds_load_2addr_b64 v[5:8], v1 offset0:1 offset1:2
	ds_load_2addr_b64 v[9:12], v1 offset0:3 offset1:4
	s_waitcnt lgkmcnt(1)
	v_add_f32_e32 v2, v3, v5
	ds_load_2addr_b64 v[13:16], v1 offset0:5 offset1:6
	v_dual_add_f32 v3, v4, v6 :: v_dual_add_f32 v4, v2, v7
	ds_load_b64 v[1:2], v1 offset:56
	s_waitcnt lgkmcnt(2)
	v_dual_add_f32 v3, v3, v8 :: v_dual_add_f32 v4, v4, v9
	s_delay_alu instid0(VALU_DEP_1) | instskip(SKIP_1) | instid1(VALU_DEP_1)
	v_dual_add_f32 v3, v3, v10 :: v_dual_add_f32 v4, v4, v11
	s_waitcnt lgkmcnt(1)
	v_dual_add_f32 v3, v3, v12 :: v_dual_add_f32 v4, v4, v13
	s_delay_alu instid0(VALU_DEP_1) | instskip(NEXT) | instid1(VALU_DEP_1)
	v_dual_add_f32 v3, v3, v14 :: v_dual_add_f32 v4, v4, v15
	v_add_f32_e32 v3, v3, v16
	s_waitcnt lgkmcnt(0)
	s_delay_alu instid0(VALU_DEP_1)
	v_dual_add_f32 v1, v4, v1 :: v_dual_add_f32 v2, v3, v2
.LBB139_10:
	s_or_b32 exec_lo, exec_lo, s5
.LBB139_11:
	s_and_saveexec_b32 s5, s4
	s_cbranch_execz .LBB139_14
; %bb.12:
	v_cmp_eq_u32_e32 vcc_lo, 0, v0
	s_and_b32 exec_lo, exec_lo, vcc_lo
	s_cbranch_execz .LBB139_14
; %bb.13:
	s_clause 0x2
	s_load_b32 s8, s[0:1], 0x48
	s_load_b128 s[4:7], s[0:1], 0x50
	s_load_b64 s[0:1], s[0:1], 0x60
	v_mov_b32_e32 v0, 0
	s_waitcnt lgkmcnt(0)
	s_ashr_i32 s9, s8, 31
	s_mul_i32 s5, s15, s5
	s_mul_hi_u32 s10, s15, s4
	s_mul_i32 s11, s26, s4
	s_add_i32 s5, s10, s5
	s_mul_i32 s4, s15, s4
	s_add_i32 s5, s5, s11
	s_mul_i32 s1, s15, s1
	s_lshl_b64 s[4:5], s[4:5], 3
	s_mul_hi_u32 s10, s15, s0
	s_add_u32 s11, s18, s4
	s_addc_u32 s12, s19, s5
	s_lshl_b64 s[4:5], s[8:9], 3
	s_mul_i32 s8, s26, s0
	s_add_u32 s4, s11, s4
	s_addc_u32 s5, s12, s5
	s_add_i32 s1, s10, s1
	s_mul_i32 s0, s15, s0
	s_add_i32 s1, s1, s8
	s_delay_alu instid0(SALU_CYCLE_1) | instskip(NEXT) | instid1(SALU_CYCLE_1)
	s_lshl_b64 s[0:1], s[0:1], 3
	s_add_u32 s0, s6, s0
	s_addc_u32 s1, s7, s1
	s_and_b32 s6, s23, exec_lo
	s_cselect_b32 s5, s5, s1
	s_cselect_b32 s4, s4, s0
	s_lshl_b64 s[0:1], s[2:3], 3
	s_delay_alu instid0(SALU_CYCLE_1)
	s_add_u32 s0, s4, s0
	s_addc_u32 s1, s5, s1
	global_store_b64 v0, v[1:2], s[0:1]
.LBB139_14:
	s_nop 0
	s_sendmsg sendmsg(MSG_DEALLOC_VGPRS)
	s_endpgm
	.section	.rodata,"a",@progbits
	.p2align	6, 0x0
	.amdhsa_kernel _ZN9rocsolver6v33100L33latrd_upper_computeW_gemvt_kernelILi256E19rocblas_complex_numIfEPS3_EEviiiT1_iilPT0_iilS7_iilS7_l
		.amdhsa_group_segment_fixed_size 2048
		.amdhsa_private_segment_fixed_size 0
		.amdhsa_kernarg_size 104
		.amdhsa_user_sgpr_count 14
		.amdhsa_user_sgpr_dispatch_ptr 0
		.amdhsa_user_sgpr_queue_ptr 0
		.amdhsa_user_sgpr_kernarg_segment_ptr 1
		.amdhsa_user_sgpr_dispatch_id 0
		.amdhsa_user_sgpr_private_segment_size 0
		.amdhsa_wavefront_size32 1
		.amdhsa_uses_dynamic_stack 0
		.amdhsa_enable_private_segment 0
		.amdhsa_system_sgpr_workgroup_id_x 1
		.amdhsa_system_sgpr_workgroup_id_y 0
		.amdhsa_system_sgpr_workgroup_id_z 1
		.amdhsa_system_sgpr_workgroup_info 0
		.amdhsa_system_vgpr_workitem_id 0
		.amdhsa_next_free_vgpr 17
		.amdhsa_next_free_sgpr 32
		.amdhsa_reserve_vcc 1
		.amdhsa_float_round_mode_32 0
		.amdhsa_float_round_mode_16_64 0
		.amdhsa_float_denorm_mode_32 3
		.amdhsa_float_denorm_mode_16_64 3
		.amdhsa_dx10_clamp 1
		.amdhsa_ieee_mode 1
		.amdhsa_fp16_overflow 0
		.amdhsa_workgroup_processor_mode 1
		.amdhsa_memory_ordered 1
		.amdhsa_forward_progress 0
		.amdhsa_shared_vgpr_count 0
		.amdhsa_exception_fp_ieee_invalid_op 0
		.amdhsa_exception_fp_denorm_src 0
		.amdhsa_exception_fp_ieee_div_zero 0
		.amdhsa_exception_fp_ieee_overflow 0
		.amdhsa_exception_fp_ieee_underflow 0
		.amdhsa_exception_fp_ieee_inexact 0
		.amdhsa_exception_int_div_zero 0
	.end_amdhsa_kernel
	.section	.text._ZN9rocsolver6v33100L33latrd_upper_computeW_gemvt_kernelILi256E19rocblas_complex_numIfEPS3_EEviiiT1_iilPT0_iilS7_iilS7_l,"axG",@progbits,_ZN9rocsolver6v33100L33latrd_upper_computeW_gemvt_kernelILi256E19rocblas_complex_numIfEPS3_EEviiiT1_iilPT0_iilS7_iilS7_l,comdat
.Lfunc_end139:
	.size	_ZN9rocsolver6v33100L33latrd_upper_computeW_gemvt_kernelILi256E19rocblas_complex_numIfEPS3_EEviiiT1_iilPT0_iilS7_iilS7_l, .Lfunc_end139-_ZN9rocsolver6v33100L33latrd_upper_computeW_gemvt_kernelILi256E19rocblas_complex_numIfEPS3_EEviiiT1_iilPT0_iilS7_iilS7_l
                                        ; -- End function
	.section	.AMDGPU.csdata,"",@progbits
; Kernel info:
; codeLenInByte = 1404
; NumSgprs: 34
; NumVgprs: 17
; ScratchSize: 0
; MemoryBound: 0
; FloatMode: 240
; IeeeMode: 1
; LDSByteSize: 2048 bytes/workgroup (compile time only)
; SGPRBlocks: 4
; VGPRBlocks: 2
; NumSGPRsForWavesPerEU: 34
; NumVGPRsForWavesPerEU: 17
; Occupancy: 16
; WaveLimiterHint : 0
; COMPUTE_PGM_RSRC2:SCRATCH_EN: 0
; COMPUTE_PGM_RSRC2:USER_SGPR: 14
; COMPUTE_PGM_RSRC2:TRAP_HANDLER: 0
; COMPUTE_PGM_RSRC2:TGID_X_EN: 1
; COMPUTE_PGM_RSRC2:TGID_Y_EN: 0
; COMPUTE_PGM_RSRC2:TGID_Z_EN: 1
; COMPUTE_PGM_RSRC2:TIDIG_COMP_CNT: 0
	.section	.text._ZN9rocsolver6v33100L26latrd_upper_updateW_kernelI19rocblas_complex_numIfEPS3_EEviiiT0_iilPT_iilS7_lS7_l,"axG",@progbits,_ZN9rocsolver6v33100L26latrd_upper_updateW_kernelI19rocblas_complex_numIfEPS3_EEviiiT0_iilPT_iilS7_lS7_l,comdat
	.globl	_ZN9rocsolver6v33100L26latrd_upper_updateW_kernelI19rocblas_complex_numIfEPS3_EEviiiT0_iilPT_iilS7_lS7_l ; -- Begin function _ZN9rocsolver6v33100L26latrd_upper_updateW_kernelI19rocblas_complex_numIfEPS3_EEviiiT0_iilPT_iilS7_lS7_l
	.p2align	8
	.type	_ZN9rocsolver6v33100L26latrd_upper_updateW_kernelI19rocblas_complex_numIfEPS3_EEviiiT0_iilPT_iilS7_lS7_l,@function
_ZN9rocsolver6v33100L26latrd_upper_updateW_kernelI19rocblas_complex_numIfEPS3_EEviiiT0_iilPT_iilS7_lS7_l: ; @_ZN9rocsolver6v33100L26latrd_upper_updateW_kernelI19rocblas_complex_numIfEPS3_EEviiiT0_iilPT_iilS7_lS7_l
; %bb.0:
	s_clause 0x2
	s_load_b32 s33, s[0:1], 0x6c
	s_load_b128 s[24:27], s[0:1], 0x0
	s_load_b64 s[28:29], s[0:1], 0x60
	s_mov_b32 s31, 0
	s_waitcnt lgkmcnt(0)
	s_and_b32 s12, s33, 0xffff
	s_add_i32 s4, s26, -1
	v_cvt_f32_u32_e32 v1, s12
	s_sub_i32 s3, 0, s12
	s_abs_i32 s5, s4
	s_ashr_i32 s4, s4, 31
	s_delay_alu instid0(VALU_DEP_1) | instskip(SKIP_2) | instid1(VALU_DEP_1)
	v_rcp_iflag_f32_e32 v1, v1
	s_waitcnt_depctr 0xfff
	v_mul_f32_e32 v1, 0x4f7ffffe, v1
	v_cvt_u32_f32_e32 v1, v1
	s_delay_alu instid0(VALU_DEP_1) | instskip(NEXT) | instid1(VALU_DEP_1)
	v_readfirstlane_b32 s2, v1
	s_mul_i32 s3, s3, s2
	s_delay_alu instid0(SALU_CYCLE_1) | instskip(NEXT) | instid1(SALU_CYCLE_1)
	s_mul_hi_u32 s3, s2, s3
	s_add_i32 s2, s2, s3
	s_delay_alu instid0(SALU_CYCLE_1) | instskip(NEXT) | instid1(SALU_CYCLE_1)
	s_mul_hi_u32 s2, s5, s2
	s_mul_i32 s3, s2, s12
	s_delay_alu instid0(SALU_CYCLE_1)
	s_sub_i32 s3, s5, s3
	s_add_i32 s5, s2, 1
	s_sub_i32 s6, s3, s12
	s_cmp_ge_u32 s3, s12
	s_cselect_b32 s2, s5, s2
	s_cselect_b32 s3, s6, s3
	s_add_i32 s5, s2, 1
	s_cmp_ge_u32 s3, s12
	s_cselect_b32 s2, s5, s2
	s_abs_i32 s3, s28
	s_xor_b32 s2, s2, s4
	v_cvt_f32_u32_e32 v1, s3
	s_sub_i32 s6, 0, s3
	s_sub_i32 s2, s2, s4
	s_delay_alu instid0(VALU_DEP_1) | instskip(SKIP_2) | instid1(VALU_DEP_1)
	v_rcp_iflag_f32_e32 v1, v1
	s_waitcnt_depctr 0xfff
	v_mul_f32_e32 v1, 0x4f7ffffe, v1
	v_cvt_u32_f32_e32 v1, v1
	s_delay_alu instid0(VALU_DEP_1) | instskip(NEXT) | instid1(VALU_DEP_1)
	v_readfirstlane_b32 s5, v1
	s_mul_i32 s6, s6, s5
	s_delay_alu instid0(SALU_CYCLE_1)
	s_mul_hi_u32 s4, s5, s6
	s_abs_i32 s6, s2
	s_add_i32 s5, s5, s4
	s_xor_b32 s2, s2, s28
	s_mul_hi_u32 s4, s6, s5
	s_ashr_i32 s2, s2, 31
	s_mul_i32 s5, s4, s3
	s_delay_alu instid0(SALU_CYCLE_1)
	s_sub_i32 s5, s6, s5
	s_add_i32 s6, s4, 1
	s_sub_i32 s7, s5, s3
	s_cmp_ge_u32 s5, s3
	s_cselect_b32 s4, s6, s4
	s_cselect_b32 s5, s7, s5
	s_add_i32 s6, s4, 1
	s_cmp_ge_u32 s5, s3
	s_cselect_b32 s3, s6, s4
	s_delay_alu instid0(SALU_CYCLE_1) | instskip(NEXT) | instid1(SALU_CYCLE_1)
	s_xor_b32 s3, s3, s2
	s_sub_i32 s30, s3, s2
	s_delay_alu instid0(SALU_CYCLE_1)
	s_cmp_lt_i32 s30, 0
	s_cbranch_scc1 .LBB140_20
; %bb.1:
	s_clause 0x3
	s_load_b256 s[4:11], s[0:1], 0x10
	s_load_b64 s[2:3], s[0:1], 0x30
	s_load_b256 s[16:23], s[0:1], 0x38
	s_load_b64 s[0:1], s[0:1], 0x58
	s_ashr_i32 s27, s15, 31
	s_lshr_b32 s33, s33, 16
	v_mov_b32_e32 v17, 0
	v_cvt_f32_u32_e32 v1, s33
	s_delay_alu instid0(VALU_DEP_1)
	v_rcp_iflag_f32_e32 v1, v1
	s_waitcnt lgkmcnt(0)
	s_ashr_i32 s35, s6, 31
	s_mov_b32 s34, s6
	s_mul_i32 s6, s15, s9
	s_mul_hi_u32 s9, s15, s8
	s_mul_i32 s37, s27, s8
	s_add_i32 s6, s9, s6
	s_mul_i32 s8, s15, s8
	s_add_i32 s9, s6, s37
	s_mul_i32 s17, s15, s17
	s_lshl_b64 s[8:9], s[8:9], 3
	s_mul_hi_u32 s38, s15, s16
	s_add_u32 s8, s4, s8
	s_addc_u32 s9, s5, s9
	s_lshl_b64 s[4:5], s[34:35], 3
	s_mul_i32 s6, s27, s16
	s_add_u32 s34, s8, s4
	s_addc_u32 s35, s9, s5
	s_add_i32 s4, s38, s17
	s_mul_i32 s16, s15, s16
	s_add_i32 s17, s4, s6
	s_mov_b32 s36, s2
	s_lshl_b64 s[4:5], s[16:17], 3
	s_ashr_i32 s37, s2, 31
	s_add_u32 s2, s10, s4
	s_addc_u32 s10, s11, s5
	s_lshl_b64 s[4:5], s[36:37], 3
	s_mul_i32 s21, s15, s21
	s_mul_hi_u32 s9, s15, s20
	s_add_u32 s2, s2, s4
	s_mul_i32 s6, s27, s20
	s_mul_i32 s8, s15, s20
	s_addc_u32 s20, s10, s5
	s_add_i32 s4, s9, s21
	s_mul_i32 s1, s15, s1
	s_add_i32 s9, s4, s6
	s_mul_hi_u32 s10, s15, s0
	s_lshl_b64 s[4:5], s[8:9], 3
	s_mul_i32 s27, s27, s0
	s_add_u32 s6, s18, s4
	s_addc_u32 s8, s19, s5
	s_add_i32 s1, s10, s1
	s_mul_i32 s0, s15, s0
	s_add_i32 s1, s1, s27
	s_waitcnt_depctr 0xfff
	v_mul_f32_e32 v1, 0x4f7ffffe, v1
	s_lshl_b64 s[0:1], s[0:1], 3
	s_delay_alu instid0(SALU_CYCLE_1)
	s_add_u32 s4, s22, s0
	s_addc_u32 s5, s23, s1
	s_sub_i32 s0, s26, s24
	s_not_b32 s9, s26
	s_add_i32 s17, s0, s25
	s_add_i32 s9, s9, s24
	s_mul_hi_i32 s1, s3, s17
	s_mul_i32 s0, s3, s17
	v_cvt_u32_f32_e32 v1, v1
	s_lshl_b64 s[0:1], s[0:1], 3
	s_mul_i32 s23, s13, s12
	s_add_u32 s10, s2, s0
	s_addc_u32 s11, s20, s1
	s_add_i32 s0, s26, 1
	s_delay_alu instid0(SALU_CYCLE_1) | instskip(SKIP_1) | instid1(SALU_CYCLE_1)
	s_mul_hi_i32 s1, s7, s0
	s_mul_i32 s0, s7, s0
	s_lshl_b64 s[0:1], s[0:1], 3
	s_delay_alu instid0(SALU_CYCLE_1) | instskip(SKIP_2) | instid1(SALU_CYCLE_1)
	s_add_u32 s15, s34, s0
	s_addc_u32 s16, s35, s1
	s_add_i32 s17, s17, 1
	s_mul_hi_i32 s1, s3, s17
	s_mul_i32 s0, s3, s17
	s_delay_alu instid0(SALU_CYCLE_1) | instskip(NEXT) | instid1(SALU_CYCLE_1)
	s_lshl_b64 s[0:1], s[0:1], 3
	s_add_u32 s17, s2, s0
	s_addc_u32 s18, s20, s1
	s_ashr_i32 s27, s26, 31
	v_readfirstlane_b32 s2, v1
	s_lshl_b64 s[0:1], s[26:27], 3
	s_delay_alu instid0(SALU_CYCLE_1)
	s_add_u32 s21, s10, s0
	s_addc_u32 s22, s11, s1
	s_add_u32 s4, s4, s0
	s_addc_u32 s5, s5, s1
	s_sub_i32 s0, 0, s33
	s_add_i32 s1, s9, -1
	s_mul_i32 s0, s0, s2
	s_abs_i32 s19, s1
	s_mul_hi_u32 s0, s2, s0
	s_ashr_i32 s1, s1, 31
	s_add_i32 s2, s2, s0
	s_delay_alu instid0(SALU_CYCLE_1) | instskip(NEXT) | instid1(SALU_CYCLE_1)
	s_mul_hi_u32 s0, s19, s2
	s_mul_i32 s2, s0, s33
	s_delay_alu instid0(SALU_CYCLE_1)
	s_sub_i32 s2, s19, s2
	s_add_i32 s19, s0, 1
	s_sub_i32 s20, s2, s33
	s_cmp_ge_u32 s2, s33
	s_cselect_b32 s0, s19, s0
	s_cselect_b32 s2, s20, s2
	s_add_i32 s19, s0, 1
	s_cmp_ge_u32 s2, s33
	v_cmp_gt_u16_e64 s20, s33, 1
	s_cselect_b32 s0, s19, s0
	s_abs_i32 s2, s29
	s_xor_b32 s0, s0, s1
	v_cvt_f32_u32_e32 v1, s2
	s_sub_i32 s24, 0, s2
	s_sub_i32 s1, s0, s1
	s_mul_i32 s19, s29, s33
	s_delay_alu instid0(VALU_DEP_1) | instskip(SKIP_2) | instid1(VALU_DEP_2)
	v_rcp_iflag_f32_e32 v2, v1
	v_and_b32_e32 v1, 0x3ff, v0
	v_bfe_u32 v0, v0, 10, 10
	v_lshl_add_u32 v18, v1, 3, 0
	s_waitcnt_depctr 0xfff
	v_mul_f32_e32 v2, 0x4f7ffffe, v2
	s_delay_alu instid0(VALU_DEP_1) | instskip(SKIP_2) | instid1(VALU_DEP_3)
	v_cvt_u32_f32_e32 v4, v2
	v_mad_u64_u32 v[2:3], null, s14, s33, v[0:1]
	v_mul_u32_u24_e32 v3, s12, v0
	v_readfirstlane_b32 s14, v4
	s_delay_alu instid0(VALU_DEP_2) | instskip(NEXT) | instid1(VALU_DEP_4)
	v_lshl_add_u32 v19, v3, 3, v18
	v_mul_lo_u32 v4, s7, v2
	s_delay_alu instid0(VALU_DEP_3)
	s_mul_i32 s24, s24, s14
	v_mul_lo_u32 v5, s3, v2
	s_mul_hi_u32 s0, s14, s24
	s_abs_i32 s24, s1
	s_add_i32 s14, s14, s0
	s_xor_b32 s1, s1, s29
	s_mul_hi_u32 s14, s24, s14
	s_ashr_i32 s27, s1, 31
	s_mul_i32 s25, s14, s2
	v_cmp_eq_u32_e64 s0, 0, v0
	s_sub_i32 s1, s24, s25
	s_add_i32 s24, s14, 1
	s_sub_i32 s25, s1, s2
	s_cmp_ge_u32 s1, s2
	v_add3_u32 v20, v1, v4, s23
	s_cselect_b32 s14, s24, s14
	s_cselect_b32 s1, s25, s1
	s_add_i32 s24, s14, 1
	s_cmp_ge_u32 s1, s2
	v_add3_u32 v21, v1, v5, s23
	s_cselect_b32 s1, s24, s14
	s_mul_i32 s24, s28, s12
	s_xor_b32 s2, s1, s27
	v_cmp_eq_u32_e64 s1, 0, v2
	s_sub_i32 s2, s2, s27
	s_mul_i32 s7, s19, s7
	s_cmp_gt_i32 s2, -1
	s_mul_i32 s25, s19, s3
	s_cselect_b32 s14, -1, 0
	s_add_u32 s21, s21, 8
	s_addc_u32 s22, s22, 0
	s_add_i32 s23, s2, 1
	s_branch .LBB140_3
.LBB140_2:                              ;   in Loop: Header=BB140_3 Depth=1
	s_or_b32 exec_lo, exec_lo, s2
	v_add_nc_u32_e32 v20, s24, v20
	v_add_nc_u32_e32 v21, s24, v21
	s_add_i32 s2, s31, 1
	s_cmp_eq_u32 s31, s30
	s_mov_b32 s31, s2
	s_cbranch_scc1 .LBB140_20
.LBB140_3:                              ; =>This Loop Header: Depth=1
                                        ;     Child Loop BB140_12 Depth 2
                                        ;     Child Loop BB140_9 Depth 2
	s_mul_i32 s2, s31, s28
	v_dual_mov_b32 v5, 0 :: v_dual_mov_b32 v6, 0
	s_add_i32 s2, s2, s13
	s_delay_alu instid0(SALU_CYCLE_1) | instskip(NEXT) | instid1(VALU_DEP_1)
	v_mad_u64_u32 v[3:4], null, s2, s12, v[1:2]
	v_cmp_gt_i32_e64 s2, s26, v3
	v_ashrrev_i32_e32 v4, 31, v3
	s_delay_alu instid0(VALU_DEP_2) | instskip(NEXT) | instid1(SALU_CYCLE_1)
	s_and_b32 s27, s1, s2
	s_and_saveexec_b32 s3, s27
	s_cbranch_execz .LBB140_5
; %bb.4:                                ;   in Loop: Header=BB140_3 Depth=1
	s_delay_alu instid0(VALU_DEP_1) | instskip(NEXT) | instid1(VALU_DEP_1)
	v_lshlrev_b64 v[5:6], 3, v[3:4]
	v_add_co_u32 v5, vcc_lo, s10, v5
	s_delay_alu instid0(VALU_DEP_2)
	v_add_co_ci_u32_e32 v6, vcc_lo, s11, v6, vcc_lo
	global_load_b64 v[5:6], v[5:6], off
.LBB140_5:                              ;   in Loop: Header=BB140_3 Depth=1
	s_or_b32 exec_lo, exec_lo, s3
	v_mov_b32_e32 v7, v2
	v_mov_b32_e32 v9, v21
	;; [unrolled: 1-line block ×3, first 2 shown]
	s_and_not1_b32 vcc_lo, exec_lo, s14
	s_mov_b32 s27, s23
	s_cbranch_vccz .LBB140_12
.LBB140_6:                              ;   in Loop: Header=BB140_3 Depth=1
	s_and_not1_b32 vcc_lo, exec_lo, s20
	s_mov_b32 s3, s33
	s_waitcnt vmcnt(0)
	ds_store_b64 v19, v[5:6]
	s_waitcnt lgkmcnt(0)
	s_waitcnt_vscnt null, 0x0
	s_barrier
	buffer_gl0_inv
	s_cbranch_vccnz .LBB140_18
	.p2align	6
; %bb.7:                                ;   in Loop: Header=BB140_3 Depth=1
	s_lshr_b32 s27, s3, 1
	s_mov_b32 s29, exec_lo
	v_cmpx_gt_u32_e64 s27, v0
	s_cbranch_execz .LBB140_9
.LBB140_8:                              ;   in Loop: Header=BB140_3 Depth=1
	v_add_nc_u32_e32 v7, s27, v0
	s_delay_alu instid0(VALU_DEP_1) | instskip(NEXT) | instid1(VALU_DEP_1)
	v_mul_u32_u24_e32 v7, s12, v7
	v_lshl_add_u32 v7, v7, 3, v18
	ds_load_b64 v[7:8], v7
	s_waitcnt lgkmcnt(0)
	v_dual_add_f32 v5, v5, v7 :: v_dual_add_f32 v6, v6, v8
	ds_store_b64 v19, v[5:6]
.LBB140_9:                              ;   Parent Loop BB140_3 Depth=1
                                        ; =>  This Inner Loop Header: Depth=2
	s_or_b32 exec_lo, exec_lo, s29
	s_cmp_lt_u32 s3, 4
	s_waitcnt lgkmcnt(0)
	s_barrier
	buffer_gl0_inv
	s_cbranch_scc1 .LBB140_18
; %bb.10:                               ;   in Loop: Header=BB140_9 Depth=2
	s_mov_b32 s3, s27
	s_delay_alu instid0(SALU_CYCLE_1)
	s_lshr_b32 s27, s3, 1
	s_mov_b32 s29, exec_lo
	v_cmpx_gt_u32_e64 s27, v0
	s_cbranch_execnz .LBB140_8
	s_branch .LBB140_9
.LBB140_11:                             ;   in Loop: Header=BB140_12 Depth=2
	s_or_b32 exec_lo, exec_lo, s3
	v_add_nc_u32_e32 v11, s7, v11
	v_add_nc_u32_e32 v9, s25, v9
	;; [unrolled: 1-line block ×3, first 2 shown]
	s_add_i32 s27, s27, -1
	s_delay_alu instid0(SALU_CYCLE_1)
	s_cmp_eq_u32 s27, 0
	s_cbranch_scc1 .LBB140_6
.LBB140_12:                             ;   Parent Loop BB140_3 Depth=1
                                        ; =>  This Inner Loop Header: Depth=2
	s_delay_alu instid0(VALU_DEP_1)
	v_cmp_gt_i32_e32 vcc_lo, s9, v7
	s_waitcnt vmcnt(0)
	v_dual_mov_b32 v14, 0 :: v_dual_mov_b32 v15, 0
	v_ashrrev_i32_e32 v8, 31, v7
	v_mov_b32_e32 v16, 0
	s_and_saveexec_b32 s29, vcc_lo
	s_cbranch_execnz .LBB140_15
; %bb.13:                               ;   in Loop: Header=BB140_12 Depth=2
	s_or_b32 exec_lo, exec_lo, s29
	v_mov_b32_e32 v13, 0
	s_and_saveexec_b32 s29, vcc_lo
	s_cbranch_execnz .LBB140_16
.LBB140_14:                             ;   in Loop: Header=BB140_12 Depth=2
	s_or_b32 exec_lo, exec_lo, s29
	s_and_b32 s29, s2, vcc_lo
	s_delay_alu instid0(SALU_CYCLE_1)
	s_and_saveexec_b32 s3, s29
	s_cbranch_execz .LBB140_11
	s_branch .LBB140_17
.LBB140_15:                             ;   in Loop: Header=BB140_12 Depth=2
	s_delay_alu instid0(VALU_DEP_2) | instskip(NEXT) | instid1(VALU_DEP_1)
	v_lshlrev_b64 v[12:13], 3, v[7:8]
	v_add_co_u32 v12, s3, s6, v12
	s_delay_alu instid0(VALU_DEP_1)
	v_add_co_ci_u32_e64 v13, s3, s8, v13, s3
	global_load_b64 v[15:16], v[12:13], off
	s_or_b32 exec_lo, exec_lo, s29
	v_mov_b32_e32 v13, 0
	s_and_saveexec_b32 s29, vcc_lo
	s_cbranch_execz .LBB140_14
.LBB140_16:                             ;   in Loop: Header=BB140_12 Depth=2
	v_lshlrev_b64 v[12:13], 3, v[7:8]
	s_delay_alu instid0(VALU_DEP_1) | instskip(NEXT) | instid1(VALU_DEP_1)
	v_add_co_u32 v12, s3, s21, v12
	v_add_co_ci_u32_e64 v13, s3, s22, v13, s3
	global_load_b64 v[13:14], v[12:13], off
	s_or_b32 exec_lo, exec_lo, s29
	s_and_b32 s29, s2, vcc_lo
	s_delay_alu instid0(SALU_CYCLE_1)
	s_and_saveexec_b32 s3, s29
	s_cbranch_execz .LBB140_11
.LBB140_17:                             ;   in Loop: Header=BB140_12 Depth=2
	v_ashrrev_i32_e32 v12, 31, v11
	v_ashrrev_i32_e32 v10, 31, v9
	s_delay_alu instid0(VALU_DEP_2) | instskip(NEXT) | instid1(VALU_DEP_2)
	v_lshlrev_b64 v[22:23], 3, v[11:12]
	v_lshlrev_b64 v[24:25], 3, v[9:10]
	s_delay_alu instid0(VALU_DEP_2) | instskip(NEXT) | instid1(VALU_DEP_3)
	v_add_co_u32 v22, vcc_lo, s15, v22
	v_add_co_ci_u32_e32 v23, vcc_lo, s16, v23, vcc_lo
	s_delay_alu instid0(VALU_DEP_3) | instskip(NEXT) | instid1(VALU_DEP_4)
	v_add_co_u32 v24, vcc_lo, s17, v24
	v_add_co_ci_u32_e32 v25, vcc_lo, s18, v25, vcc_lo
	global_load_b64 v[22:23], v[22:23], off
	global_load_b64 v[24:25], v[24:25], off
	s_waitcnt vmcnt(1)
	v_mul_f32_e32 v8, v16, v23
	v_mul_f32_e32 v10, v15, v23
	s_waitcnt vmcnt(0)
	v_mul_f32_e32 v12, v14, v25
	v_mul_f32_e32 v23, v13, v25
	v_fma_f32 v8, v15, v22, -v8
	s_delay_alu instid0(VALU_DEP_3) | instskip(NEXT) | instid1(VALU_DEP_3)
	v_fma_f32 v12, v13, v24, -v12
	v_dual_fmac_f32 v23, v14, v24 :: v_dual_fmac_f32 v10, v16, v22
	s_delay_alu instid0(VALU_DEP_2) | instskip(NEXT) | instid1(VALU_DEP_1)
	v_add_f32_e32 v8, v8, v12
	v_dual_add_f32 v10, v10, v23 :: v_dual_sub_f32 v5, v5, v8
	s_delay_alu instid0(VALU_DEP_1)
	v_sub_f32_e32 v6, v6, v10
	s_branch .LBB140_11
.LBB140_18:                             ;   in Loop: Header=BB140_3 Depth=1
	s_and_b32 s3, s0, s2
	s_delay_alu instid0(SALU_CYCLE_1)
	s_and_saveexec_b32 s2, s3
	s_cbranch_execz .LBB140_2
; %bb.19:                               ;   in Loop: Header=BB140_3 Depth=1
	global_load_b64 v[7:8], v17, s[4:5] offset:-8
	v_lshlrev_b64 v[3:4], 3, v[3:4]
	s_delay_alu instid0(VALU_DEP_1) | instskip(NEXT) | instid1(VALU_DEP_2)
	v_add_co_u32 v3, vcc_lo, s10, v3
	v_add_co_ci_u32_e32 v4, vcc_lo, s11, v4, vcc_lo
	s_waitcnt vmcnt(0)
	v_mul_f32_e32 v10, v6, v8
	v_mul_f32_e32 v9, v5, v8
	s_delay_alu instid0(VALU_DEP_2) | instskip(NEXT) | instid1(VALU_DEP_2)
	v_fma_f32 v8, v5, v7, -v10
	v_fmac_f32_e32 v9, v6, v7
	global_store_b64 v[3:4], v[8:9], off
	s_branch .LBB140_2
.LBB140_20:
	s_nop 0
	s_sendmsg sendmsg(MSG_DEALLOC_VGPRS)
	s_endpgm
	.section	.rodata,"a",@progbits
	.p2align	6, 0x0
	.amdhsa_kernel _ZN9rocsolver6v33100L26latrd_upper_updateW_kernelI19rocblas_complex_numIfEPS3_EEviiiT0_iilPT_iilS7_lS7_l
		.amdhsa_group_segment_fixed_size 0
		.amdhsa_private_segment_fixed_size 0
		.amdhsa_kernarg_size 352
		.amdhsa_user_sgpr_count 13
		.amdhsa_user_sgpr_dispatch_ptr 0
		.amdhsa_user_sgpr_queue_ptr 0
		.amdhsa_user_sgpr_kernarg_segment_ptr 1
		.amdhsa_user_sgpr_dispatch_id 0
		.amdhsa_user_sgpr_private_segment_size 0
		.amdhsa_wavefront_size32 1
		.amdhsa_uses_dynamic_stack 0
		.amdhsa_enable_private_segment 0
		.amdhsa_system_sgpr_workgroup_id_x 1
		.amdhsa_system_sgpr_workgroup_id_y 1
		.amdhsa_system_sgpr_workgroup_id_z 1
		.amdhsa_system_sgpr_workgroup_info 0
		.amdhsa_system_vgpr_workitem_id 1
		.amdhsa_next_free_vgpr 26
		.amdhsa_next_free_sgpr 39
		.amdhsa_reserve_vcc 1
		.amdhsa_float_round_mode_32 0
		.amdhsa_float_round_mode_16_64 0
		.amdhsa_float_denorm_mode_32 3
		.amdhsa_float_denorm_mode_16_64 3
		.amdhsa_dx10_clamp 1
		.amdhsa_ieee_mode 1
		.amdhsa_fp16_overflow 0
		.amdhsa_workgroup_processor_mode 1
		.amdhsa_memory_ordered 1
		.amdhsa_forward_progress 0
		.amdhsa_shared_vgpr_count 0
		.amdhsa_exception_fp_ieee_invalid_op 0
		.amdhsa_exception_fp_denorm_src 0
		.amdhsa_exception_fp_ieee_div_zero 0
		.amdhsa_exception_fp_ieee_overflow 0
		.amdhsa_exception_fp_ieee_underflow 0
		.amdhsa_exception_fp_ieee_inexact 0
		.amdhsa_exception_int_div_zero 0
	.end_amdhsa_kernel
	.section	.text._ZN9rocsolver6v33100L26latrd_upper_updateW_kernelI19rocblas_complex_numIfEPS3_EEviiiT0_iilPT_iilS7_lS7_l,"axG",@progbits,_ZN9rocsolver6v33100L26latrd_upper_updateW_kernelI19rocblas_complex_numIfEPS3_EEviiiT0_iilPT_iilS7_lS7_l,comdat
.Lfunc_end140:
	.size	_ZN9rocsolver6v33100L26latrd_upper_updateW_kernelI19rocblas_complex_numIfEPS3_EEviiiT0_iilPT_iilS7_lS7_l, .Lfunc_end140-_ZN9rocsolver6v33100L26latrd_upper_updateW_kernelI19rocblas_complex_numIfEPS3_EEviiiT0_iilPT_iilS7_lS7_l
                                        ; -- End function
	.section	.AMDGPU.csdata,"",@progbits
; Kernel info:
; codeLenInByte = 1868
; NumSgprs: 41
; NumVgprs: 26
; ScratchSize: 0
; MemoryBound: 0
; FloatMode: 240
; IeeeMode: 1
; LDSByteSize: 0 bytes/workgroup (compile time only)
; SGPRBlocks: 5
; VGPRBlocks: 3
; NumSGPRsForWavesPerEU: 41
; NumVGPRsForWavesPerEU: 26
; Occupancy: 16
; WaveLimiterHint : 0
; COMPUTE_PGM_RSRC2:SCRATCH_EN: 0
; COMPUTE_PGM_RSRC2:USER_SGPR: 13
; COMPUTE_PGM_RSRC2:TRAP_HANDLER: 0
; COMPUTE_PGM_RSRC2:TGID_X_EN: 1
; COMPUTE_PGM_RSRC2:TGID_Y_EN: 1
; COMPUTE_PGM_RSRC2:TGID_Z_EN: 1
; COMPUTE_PGM_RSRC2:TIDIG_COMP_CNT: 1
	.section	.text._ZN9rocsolver6v33100L11set_tridiagI19rocblas_complex_numIfEfPS3_TnNSt9enable_ifIX18rocblas_is_complexIT_EEiE4typeELi0EEEv13rocblas_fill_iT1_iilPT0_lSC_l,"axG",@progbits,_ZN9rocsolver6v33100L11set_tridiagI19rocblas_complex_numIfEfPS3_TnNSt9enable_ifIX18rocblas_is_complexIT_EEiE4typeELi0EEEv13rocblas_fill_iT1_iilPT0_lSC_l,comdat
	.globl	_ZN9rocsolver6v33100L11set_tridiagI19rocblas_complex_numIfEfPS3_TnNSt9enable_ifIX18rocblas_is_complexIT_EEiE4typeELi0EEEv13rocblas_fill_iT1_iilPT0_lSC_l ; -- Begin function _ZN9rocsolver6v33100L11set_tridiagI19rocblas_complex_numIfEfPS3_TnNSt9enable_ifIX18rocblas_is_complexIT_EEiE4typeELi0EEEv13rocblas_fill_iT1_iilPT0_lSC_l
	.p2align	8
	.type	_ZN9rocsolver6v33100L11set_tridiagI19rocblas_complex_numIfEfPS3_TnNSt9enable_ifIX18rocblas_is_complexIT_EEiE4typeELi0EEEv13rocblas_fill_iT1_iilPT0_lSC_l,@function
_ZN9rocsolver6v33100L11set_tridiagI19rocblas_complex_numIfEfPS3_TnNSt9enable_ifIX18rocblas_is_complexIT_EEiE4typeELi0EEEv13rocblas_fill_iT1_iilPT0_lSC_l: ; @_ZN9rocsolver6v33100L11set_tridiagI19rocblas_complex_numIfEfPS3_TnNSt9enable_ifIX18rocblas_is_complexIT_EEiE4typeELi0EEEv13rocblas_fill_iT1_iilPT0_lSC_l
; %bb.0:
	s_clause 0x1
	s_load_b32 s4, s[0:1], 0x4c
	s_load_b64 s[2:3], s[0:1], 0x0
	s_waitcnt lgkmcnt(0)
	s_and_b32 s4, s4, 0xffff
	s_delay_alu instid0(SALU_CYCLE_1) | instskip(SKIP_1) | instid1(VALU_DEP_1)
	v_mad_u64_u32 v[2:3], null, s14, s4, v[0:1]
	s_mov_b32 s4, exec_lo
	v_cmpx_gt_i32_e64 s3, v2
	s_cbranch_execz .LBB141_7
; %bb.1:
	s_clause 0x1
	s_load_b128 s[16:19], s[0:1], 0x8
	s_load_b256 s[4:11], s[0:1], 0x18
	s_ashr_i32 s12, s15, 31
	v_mov_b32_e32 v8, 0
	s_waitcnt lgkmcnt(0)
	v_mad_u64_u32 v[0:1], null, v2, s19, v[2:3]
	s_mul_i32 s5, s15, s5
	s_mul_hi_u32 s13, s15, s4
	s_mul_i32 s14, s12, s4
	s_add_i32 s5, s13, s5
	s_mul_i32 s4, s15, s4
	s_add_i32 s5, s5, s14
	s_delay_alu instid0(VALU_DEP_1)
	v_ashrrev_i32_e32 v1, 31, v0
	s_lshl_b64 s[4:5], s[4:5], 3
	s_ashr_i32 s21, s18, 31
	s_mov_b32 s20, s18
	s_add_u32 s13, s16, s4
	v_lshlrev_b64 v[3:4], 3, v[0:1]
	s_addc_u32 s14, s17, s5
	s_lshl_b64 s[4:5], s[20:21], 3
	s_mul_i32 s9, s15, s9
	s_add_u32 s4, s13, s4
	s_addc_u32 s5, s14, s5
	v_add_co_u32 v5, vcc_lo, s4, v3
	v_add_co_ci_u32_e32 v6, vcc_lo, s5, v4, vcc_lo
	v_ashrrev_i32_e32 v3, 31, v2
	s_mul_hi_u32 s13, s15, s8
	s_mul_i32 s14, s12, s8
	global_load_b32 v7, v[5:6], off
	s_add_i32 s9, s13, s9
	s_mul_i32 s8, s15, s8
	s_add_i32 s9, s9, s14
	v_lshlrev_b64 v[3:4], 2, v[2:3]
	s_lshl_b64 s[8:9], s[8:9], 2
	s_delay_alu instid0(SALU_CYCLE_1) | instskip(SKIP_2) | instid1(VALU_DEP_1)
	s_add_u32 s6, s6, s8
	s_addc_u32 s7, s7, s9
	s_add_i32 s3, s3, -1
	v_add_co_u32 v9, vcc_lo, s6, v3
	v_add_co_ci_u32_e32 v10, vcc_lo, s7, v4, vcc_lo
	v_cmp_gt_i32_e32 vcc_lo, s3, v2
	s_mov_b32 s3, -1
	s_waitcnt vmcnt(0)
	global_store_b32 v[9:10], v7, off
	global_store_b64 v[5:6], v[7:8], off
	s_and_b32 exec_lo, exec_lo, vcc_lo
	s_cbranch_execz .LBB141_7
; %bb.2:
	s_load_b64 s[0:1], s[0:1], 0x38
	s_waitcnt lgkmcnt(0)
	s_mul_i32 s1, s15, s1
	s_mul_hi_u32 s6, s15, s0
	s_mul_i32 s7, s12, s0
	s_add_i32 s1, s6, s1
	s_mul_i32 s0, s15, s0
	s_add_i32 s1, s1, s7
	s_delay_alu instid0(SALU_CYCLE_1) | instskip(NEXT) | instid1(SALU_CYCLE_1)
	s_lshl_b64 s[0:1], s[0:1], 2
	s_add_u32 s0, s10, s0
	s_addc_u32 s1, s11, s1
	v_add_co_u32 v1, vcc_lo, s0, v3
	v_add_co_ci_u32_e32 v2, vcc_lo, s1, v4, vcc_lo
	s_cmpk_lg_i32 s2, 0x7a
	global_load_b32 v1, v[1:2], off
	s_cbranch_scc0 .LBB141_4
; %bb.3:
	v_add_nc_u32_e32 v2, s19, v0
	s_cbranch_execz .LBB141_5
	s_branch .LBB141_6
.LBB141_4:
                                        ; implicit-def: $vgpr2
	s_and_not1_b32 vcc_lo, exec_lo, s3
	s_cbranch_vccnz .LBB141_6
.LBB141_5:
	v_add_nc_u32_e32 v2, 1, v0
.LBB141_6:
	s_delay_alu instid0(VALU_DEP_1) | instskip(NEXT) | instid1(VALU_DEP_1)
	v_ashrrev_i32_e32 v3, 31, v2
	v_lshlrev_b64 v[2:3], 3, v[2:3]
	s_delay_alu instid0(VALU_DEP_1) | instskip(NEXT) | instid1(VALU_DEP_2)
	v_add_co_u32 v4, vcc_lo, s4, v2
	v_add_co_ci_u32_e32 v5, vcc_lo, s5, v3, vcc_lo
	v_mov_b32_e32 v2, 0
	s_waitcnt vmcnt(0)
	global_store_b64 v[4:5], v[1:2], off
.LBB141_7:
	s_nop 0
	s_sendmsg sendmsg(MSG_DEALLOC_VGPRS)
	s_endpgm
	.section	.rodata,"a",@progbits
	.p2align	6, 0x0
	.amdhsa_kernel _ZN9rocsolver6v33100L11set_tridiagI19rocblas_complex_numIfEfPS3_TnNSt9enable_ifIX18rocblas_is_complexIT_EEiE4typeELi0EEEv13rocblas_fill_iT1_iilPT0_lSC_l
		.amdhsa_group_segment_fixed_size 0
		.amdhsa_private_segment_fixed_size 0
		.amdhsa_kernarg_size 320
		.amdhsa_user_sgpr_count 14
		.amdhsa_user_sgpr_dispatch_ptr 0
		.amdhsa_user_sgpr_queue_ptr 0
		.amdhsa_user_sgpr_kernarg_segment_ptr 1
		.amdhsa_user_sgpr_dispatch_id 0
		.amdhsa_user_sgpr_private_segment_size 0
		.amdhsa_wavefront_size32 1
		.amdhsa_uses_dynamic_stack 0
		.amdhsa_enable_private_segment 0
		.amdhsa_system_sgpr_workgroup_id_x 1
		.amdhsa_system_sgpr_workgroup_id_y 1
		.amdhsa_system_sgpr_workgroup_id_z 0
		.amdhsa_system_sgpr_workgroup_info 0
		.amdhsa_system_vgpr_workitem_id 0
		.amdhsa_next_free_vgpr 11
		.amdhsa_next_free_sgpr 22
		.amdhsa_reserve_vcc 1
		.amdhsa_float_round_mode_32 0
		.amdhsa_float_round_mode_16_64 0
		.amdhsa_float_denorm_mode_32 3
		.amdhsa_float_denorm_mode_16_64 3
		.amdhsa_dx10_clamp 1
		.amdhsa_ieee_mode 1
		.amdhsa_fp16_overflow 0
		.amdhsa_workgroup_processor_mode 1
		.amdhsa_memory_ordered 1
		.amdhsa_forward_progress 0
		.amdhsa_shared_vgpr_count 0
		.amdhsa_exception_fp_ieee_invalid_op 0
		.amdhsa_exception_fp_denorm_src 0
		.amdhsa_exception_fp_ieee_div_zero 0
		.amdhsa_exception_fp_ieee_overflow 0
		.amdhsa_exception_fp_ieee_underflow 0
		.amdhsa_exception_fp_ieee_inexact 0
		.amdhsa_exception_int_div_zero 0
	.end_amdhsa_kernel
	.section	.text._ZN9rocsolver6v33100L11set_tridiagI19rocblas_complex_numIfEfPS3_TnNSt9enable_ifIX18rocblas_is_complexIT_EEiE4typeELi0EEEv13rocblas_fill_iT1_iilPT0_lSC_l,"axG",@progbits,_ZN9rocsolver6v33100L11set_tridiagI19rocblas_complex_numIfEfPS3_TnNSt9enable_ifIX18rocblas_is_complexIT_EEiE4typeELi0EEEv13rocblas_fill_iT1_iilPT0_lSC_l,comdat
.Lfunc_end141:
	.size	_ZN9rocsolver6v33100L11set_tridiagI19rocblas_complex_numIfEfPS3_TnNSt9enable_ifIX18rocblas_is_complexIT_EEiE4typeELi0EEEv13rocblas_fill_iT1_iilPT0_lSC_l, .Lfunc_end141-_ZN9rocsolver6v33100L11set_tridiagI19rocblas_complex_numIfEfPS3_TnNSt9enable_ifIX18rocblas_is_complexIT_EEiE4typeELi0EEEv13rocblas_fill_iT1_iilPT0_lSC_l
                                        ; -- End function
	.section	.AMDGPU.csdata,"",@progbits
; Kernel info:
; codeLenInByte = 460
; NumSgprs: 24
; NumVgprs: 11
; ScratchSize: 0
; MemoryBound: 0
; FloatMode: 240
; IeeeMode: 1
; LDSByteSize: 0 bytes/workgroup (compile time only)
; SGPRBlocks: 2
; VGPRBlocks: 1
; NumSGPRsForWavesPerEU: 24
; NumVGPRsForWavesPerEU: 11
; Occupancy: 16
; WaveLimiterHint : 0
; COMPUTE_PGM_RSRC2:SCRATCH_EN: 0
; COMPUTE_PGM_RSRC2:USER_SGPR: 14
; COMPUTE_PGM_RSRC2:TRAP_HANDLER: 0
; COMPUTE_PGM_RSRC2:TGID_X_EN: 1
; COMPUTE_PGM_RSRC2:TGID_Y_EN: 1
; COMPUTE_PGM_RSRC2:TGID_Z_EN: 0
; COMPUTE_PGM_RSRC2:TIDIG_COMP_CNT: 0
	.section	.text._ZN9rocsolver6v33100L10init_identI19rocblas_complex_numIfEPS3_EEviiT0_iil,"axG",@progbits,_ZN9rocsolver6v33100L10init_identI19rocblas_complex_numIfEPS3_EEviiT0_iil,comdat
	.globl	_ZN9rocsolver6v33100L10init_identI19rocblas_complex_numIfEPS3_EEviiT0_iil ; -- Begin function _ZN9rocsolver6v33100L10init_identI19rocblas_complex_numIfEPS3_EEviiT0_iil
	.p2align	8
	.type	_ZN9rocsolver6v33100L10init_identI19rocblas_complex_numIfEPS3_EEviiT0_iil,@function
_ZN9rocsolver6v33100L10init_identI19rocblas_complex_numIfEPS3_EEviiT0_iil: ; @_ZN9rocsolver6v33100L10init_identI19rocblas_complex_numIfEPS3_EEviiT0_iil
; %bb.0:
	s_clause 0x1
	s_load_b32 s4, s[0:1], 0x2c
	s_load_b64 s[2:3], s[0:1], 0x0
	v_and_b32_e32 v1, 0x3ff, v0
	v_bfe_u32 v0, v0, 10, 10
	s_waitcnt lgkmcnt(0)
	s_lshr_b32 s5, s4, 16
	s_and_b32 s4, s4, 0xffff
	s_delay_alu instid0(SALU_CYCLE_1) | instskip(SKIP_1) | instid1(VALU_DEP_2)
	v_mad_u64_u32 v[3:4], null, s13, s4, v[1:2]
	v_mad_u64_u32 v[4:5], null, s14, s5, v[0:1]
	v_cmp_gt_u32_e32 vcc_lo, s2, v3
	s_delay_alu instid0(VALU_DEP_2) | instskip(NEXT) | instid1(VALU_DEP_1)
	v_cmp_gt_u32_e64 s2, s3, v4
	s_and_b32 s2, vcc_lo, s2
	s_delay_alu instid0(SALU_CYCLE_1)
	s_and_saveexec_b32 s3, s2
	s_cbranch_execz .LBB142_6
; %bb.1:
	s_load_b64 s[2:3], s[0:1], 0x10
	s_mov_b32 s4, exec_lo
                                        ; implicit-def: $sgpr5
                                        ; implicit-def: $vgpr0
	v_cmpx_ne_u32_e64 v3, v4
	s_xor_b32 s4, exec_lo, s4
	s_cbranch_execz .LBB142_3
; %bb.2:
	s_waitcnt lgkmcnt(0)
	v_mad_u64_u32 v[0:1], null, v4, s3, v[3:4]
	s_mov_b32 s5, 0
                                        ; implicit-def: $vgpr3_vgpr4
.LBB142_3:
	s_or_saveexec_b32 s4, s4
	v_mov_b32_e32 v2, s5
	s_xor_b32 exec_lo, exec_lo, s4
	s_cbranch_execz .LBB142_5
; %bb.4:
	s_waitcnt lgkmcnt(0)
	v_mad_u64_u32 v[0:1], null, v3, s3, v[3:4]
	v_mov_b32_e32 v2, 1.0
.LBB142_5:
	s_or_b32 exec_lo, exec_lo, s4
	s_clause 0x1
	s_load_b64 s[4:5], s[0:1], 0x18
	s_load_b64 s[0:1], s[0:1], 0x8
	v_mov_b32_e32 v1, 0
	s_delay_alu instid0(VALU_DEP_1)
	v_lshlrev_b64 v[3:4], 3, v[0:1]
	s_waitcnt lgkmcnt(0)
	s_mul_i32 s3, s15, s5
	s_mul_hi_u32 s5, s15, s4
	s_mul_i32 s4, s15, s4
	s_add_i32 s5, s5, s3
	s_ashr_i32 s3, s2, 31
	s_lshl_b64 s[4:5], s[4:5], 3
	s_delay_alu instid0(SALU_CYCLE_1) | instskip(SKIP_2) | instid1(SALU_CYCLE_1)
	s_add_u32 s4, s0, s4
	s_addc_u32 s5, s1, s5
	s_lshl_b64 s[0:1], s[2:3], 3
	s_add_u32 s0, s4, s0
	s_addc_u32 s1, s5, s1
	v_add_co_u32 v5, vcc_lo, s0, v3
	v_add_co_ci_u32_e32 v6, vcc_lo, s1, v4, vcc_lo
	v_mov_b32_e32 v3, v1
	global_store_b64 v[5:6], v[2:3], off
.LBB142_6:
	s_nop 0
	s_sendmsg sendmsg(MSG_DEALLOC_VGPRS)
	s_endpgm
	.section	.rodata,"a",@progbits
	.p2align	6, 0x0
	.amdhsa_kernel _ZN9rocsolver6v33100L10init_identI19rocblas_complex_numIfEPS3_EEviiT0_iil
		.amdhsa_group_segment_fixed_size 0
		.amdhsa_private_segment_fixed_size 0
		.amdhsa_kernarg_size 288
		.amdhsa_user_sgpr_count 13
		.amdhsa_user_sgpr_dispatch_ptr 0
		.amdhsa_user_sgpr_queue_ptr 0
		.amdhsa_user_sgpr_kernarg_segment_ptr 1
		.amdhsa_user_sgpr_dispatch_id 0
		.amdhsa_user_sgpr_private_segment_size 0
		.amdhsa_wavefront_size32 1
		.amdhsa_uses_dynamic_stack 0
		.amdhsa_enable_private_segment 0
		.amdhsa_system_sgpr_workgroup_id_x 1
		.amdhsa_system_sgpr_workgroup_id_y 1
		.amdhsa_system_sgpr_workgroup_id_z 1
		.amdhsa_system_sgpr_workgroup_info 0
		.amdhsa_system_vgpr_workitem_id 1
		.amdhsa_next_free_vgpr 7
		.amdhsa_next_free_sgpr 16
		.amdhsa_reserve_vcc 1
		.amdhsa_float_round_mode_32 0
		.amdhsa_float_round_mode_16_64 0
		.amdhsa_float_denorm_mode_32 3
		.amdhsa_float_denorm_mode_16_64 3
		.amdhsa_dx10_clamp 1
		.amdhsa_ieee_mode 1
		.amdhsa_fp16_overflow 0
		.amdhsa_workgroup_processor_mode 1
		.amdhsa_memory_ordered 1
		.amdhsa_forward_progress 0
		.amdhsa_shared_vgpr_count 0
		.amdhsa_exception_fp_ieee_invalid_op 0
		.amdhsa_exception_fp_denorm_src 0
		.amdhsa_exception_fp_ieee_div_zero 0
		.amdhsa_exception_fp_ieee_overflow 0
		.amdhsa_exception_fp_ieee_underflow 0
		.amdhsa_exception_fp_ieee_inexact 0
		.amdhsa_exception_int_div_zero 0
	.end_amdhsa_kernel
	.section	.text._ZN9rocsolver6v33100L10init_identI19rocblas_complex_numIfEPS3_EEviiT0_iil,"axG",@progbits,_ZN9rocsolver6v33100L10init_identI19rocblas_complex_numIfEPS3_EEviiT0_iil,comdat
.Lfunc_end142:
	.size	_ZN9rocsolver6v33100L10init_identI19rocblas_complex_numIfEPS3_EEviiT0_iil, .Lfunc_end142-_ZN9rocsolver6v33100L10init_identI19rocblas_complex_numIfEPS3_EEviiT0_iil
                                        ; -- End function
	.section	.AMDGPU.csdata,"",@progbits
; Kernel info:
; codeLenInByte = 308
; NumSgprs: 18
; NumVgprs: 7
; ScratchSize: 0
; MemoryBound: 0
; FloatMode: 240
; IeeeMode: 1
; LDSByteSize: 0 bytes/workgroup (compile time only)
; SGPRBlocks: 2
; VGPRBlocks: 0
; NumSGPRsForWavesPerEU: 18
; NumVGPRsForWavesPerEU: 7
; Occupancy: 16
; WaveLimiterHint : 0
; COMPUTE_PGM_RSRC2:SCRATCH_EN: 0
; COMPUTE_PGM_RSRC2:USER_SGPR: 13
; COMPUTE_PGM_RSRC2:TRAP_HANDLER: 0
; COMPUTE_PGM_RSRC2:TGID_X_EN: 1
; COMPUTE_PGM_RSRC2:TGID_Y_EN: 1
; COMPUTE_PGM_RSRC2:TGID_Z_EN: 1
; COMPUTE_PGM_RSRC2:TIDIG_COMP_CNT: 1
	.section	.text._ZN9rocsolver6v33100L11lasr_kernelI19rocblas_complex_numIfEfPS3_iEEv13rocblas_side_14rocblas_pivot_15rocblas_direct_T2_S8_PT0_lSA_lT1_lS8_lS8_,"axG",@progbits,_ZN9rocsolver6v33100L11lasr_kernelI19rocblas_complex_numIfEfPS3_iEEv13rocblas_side_14rocblas_pivot_15rocblas_direct_T2_S8_PT0_lSA_lT1_lS8_lS8_,comdat
	.globl	_ZN9rocsolver6v33100L11lasr_kernelI19rocblas_complex_numIfEfPS3_iEEv13rocblas_side_14rocblas_pivot_15rocblas_direct_T2_S8_PT0_lSA_lT1_lS8_lS8_ ; -- Begin function _ZN9rocsolver6v33100L11lasr_kernelI19rocblas_complex_numIfEfPS3_iEEv13rocblas_side_14rocblas_pivot_15rocblas_direct_T2_S8_PT0_lSA_lT1_lS8_lS8_
	.p2align	8
	.type	_ZN9rocsolver6v33100L11lasr_kernelI19rocblas_complex_numIfEfPS3_iEEv13rocblas_side_14rocblas_pivot_15rocblas_direct_T2_S8_PT0_lSA_lT1_lS8_lS8_,@function
_ZN9rocsolver6v33100L11lasr_kernelI19rocblas_complex_numIfEfPS3_iEEv13rocblas_side_14rocblas_pivot_15rocblas_direct_T2_S8_PT0_lSA_lT1_lS8_lS8_: ; @_ZN9rocsolver6v33100L11lasr_kernelI19rocblas_complex_numIfEfPS3_iEEv13rocblas_side_14rocblas_pivot_15rocblas_direct_T2_S8_PT0_lSA_lT1_lS8_lS8_
; %bb.0:
	s_load_b32 s33, s[0:1], 0x58
	s_waitcnt lgkmcnt(0)
	s_cmp_ge_u32 s15, s33
	s_cbranch_scc1 .LBB143_98
; %bb.1:
	s_clause 0x5
	s_load_b32 s12, s[0:1], 0x48
	s_load_b128 s[20:23], s[0:1], 0x38
	s_load_b64 s[24:25], s[0:1], 0x68
	s_load_b128 s[16:19], s[0:1], 0x0
	s_load_b32 s52, s[0:1], 0x10
	s_load_b32 s28, s[0:1], 0x60
	s_mov_b32 s43, 0
	v_mov_b32_e32 v36, 0
	s_mov_b32 s45, s43
	s_waitcnt lgkmcnt(0)
	s_ashr_i32 s13, s12, 31
	s_lshl_b64 s[2:3], s[22:23], 3
	s_and_b32 s26, s25, 0xffff
	s_add_u32 s25, s20, s2
	s_addc_u32 s53, s21, s3
	s_cmpk_lg_i32 s16, 0x8d
	v_mad_u64_u32 v[1:2], null, s14, s26, v[0:1]
	s_cselect_b32 s27, -1, 0
	s_cmpk_lg_i32 s16, 0x8e
	s_mov_b32 s22, s19
	s_cselect_b32 s30, -1, 0
	s_cmpk_lg_i32 s17, 0x119
	s_cselect_b32 s29, -1, 0
	s_cmpk_lg_i32 s17, 0x11b
	v_mad_i64_i32 v[2:3], null, s12, v1, 0
	s_cselect_b32 s31, -1, 0
	s_cmpk_lg_i32 s17, 0x11a
	s_load_b64 s[16:17], s[0:1], 0x50
	s_cselect_b32 s34, -1, 0
	s_cmpk_lg_i32 s18, 0xab
	s_mul_i32 s26, s28, s26
	s_cselect_b32 s35, -1, 0
	s_or_b32 s36, s27, s29
	s_ashr_i32 s23, s19, 31
	s_or_b32 s4, s36, s35
	s_add_i32 s42, s19, -2
	s_xor_b32 s14, s4, -1
	s_cmpk_lg_i32 s18, 0xac
	s_load_b256 s[4:11], s[0:1], 0x18
	s_cselect_b32 s37, -1, 0
	v_cmp_le_i32_e32 vcc_lo, s19, v1
	s_or_b32 s0, s36, s37
	v_lshlrev_b64 v[2:3], 3, v[2:3]
	s_xor_b32 s18, s0, -1
	s_cmp_gt_i32 s19, 1
	v_cmp_gt_i32_e64 s0, s52, v1
	s_cselect_b32 s54, -1, 0
	s_or_b32 s1, s27, s34
	s_or_b32 s27, s27, s31
	;; [unrolled: 1-line block ×9, first 2 shown]
	s_xor_b32 s55, s29, -1
	s_xor_b32 s56, s1, -1
	;; [unrolled: 1-line block ×5, first 2 shown]
	s_add_i32 s60, s52, -1
	s_xor_b32 s61, s28, -1
	s_add_i32 s44, s52, -2
	s_cmp_gt_i32 s52, 1
	s_mul_i32 s36, s12, s26
	s_cselect_b32 s62, -1, 0
	s_or_b32 s27, s30, s34
	s_or_b32 s30, s30, s31
	;; [unrolled: 1-line block ×4, first 2 shown]
	s_or_b32 s31, s37, vcc_lo
	s_xor_b32 s64, s27, -1
	s_or_b32 s27, s30, s35
	v_add_co_u32 v4, vcc_lo, s25, v2
	s_xor_b32 s65, s27, -1
	s_or_b32 s27, s30, s31
	s_mul_hi_i32 s37, s12, s26
	s_lshl_b64 s[38:39], s[42:43], 2
	s_xor_b32 s63, s34, -1
	s_xor_b32 s66, s27, -1
	s_add_i32 s30, s19, -1
	s_waitcnt lgkmcnt(0)
	s_lshl_b64 s[10:11], s[10:11], 2
	s_lshl_b64 s[6:7], s[6:7], 2
	v_add_co_ci_u32_e32 v3, vcc_lo, s53, v3, vcc_lo
	s_lshl_b64 s[34:35], s[16:17], 3
	s_ashr_i32 s27, s26, 31
	s_lshl_b64 s[36:37], s[36:37], 3
	s_add_u32 s67, s4, s38
	s_addc_u32 s68, s5, s39
	v_add_co_u32 v0, vcc_lo, v4, 12
	s_add_u32 s69, s8, s38
	s_addc_u32 s70, s9, s39
	s_lshl_b64 s[38:39], s[42:43], 3
	v_add_co_ci_u32_e32 v15, vcc_lo, 0, v3, vcc_lo
	v_add_co_u32 v16, vcc_lo, v4, s38
	v_add_co_ci_u32_e32 v17, vcc_lo, s39, v3, vcc_lo
	v_add_co_u32 v18, vcc_lo, v4, 8
	v_add_co_ci_u32_e32 v19, vcc_lo, 0, v3, vcc_lo
	v_ashrrev_i32_e32 v2, 31, v1
	v_add_co_u32 v20, vcc_lo, v4, 4
	s_mov_b32 s31, s43
	v_add_co_ci_u32_e32 v21, vcc_lo, 0, v3, vcc_lo
	s_lshl_b64 s[38:39], s[30:31], 3
	v_lshlrev_b64 v[2:3], 3, v[1:2]
	v_add_co_u32 v22, vcc_lo, v20, s38
	s_mul_i32 s31, s13, s44
	s_mul_hi_u32 s38, s12, s44
	v_add_co_ci_u32_e32 v23, vcc_lo, s39, v21, vcc_lo
	s_add_i32 s41, s38, s31
	s_mul_i32 s40, s12, s44
	v_add_co_u32 v24, vcc_lo, v16, 4
	s_lshl_b64 s[46:47], s[40:41], 3
	s_add_i32 s71, s19, 1
	v_add_co_ci_u32_e32 v25, vcc_lo, 0, v17, vcc_lo
	s_lshl_b64 s[38:39], s[26:27], 3
	s_lshl_b64 s[40:41], s[12:13], 3
	v_add_co_u32 v4, vcc_lo, s25, v2
	s_add_u32 s27, s46, s2
	s_mul_i32 s28, s12, s60
	s_addc_u32 s31, s47, s3
	s_mul_i32 s13, s13, s60
	s_mul_hi_u32 s42, s12, s60
	v_add_co_ci_u32_e32 v5, vcc_lo, s53, v3, vcc_lo
	s_add_u32 s27, s20, s27
	s_addc_u32 s31, s21, s31
	s_add_i32 s47, s42, s13
	s_mov_b32 s46, s28
	v_add_co_u32 v26, vcc_lo, v4, 4
	s_lshl_b64 s[42:43], s[46:47], 3
	v_add_co_ci_u32_e32 v27, vcc_lo, 0, v5, vcc_lo
	s_add_u32 s13, s42, s2
	v_add_co_u32 v28, vcc_lo, s27, v2
	s_addc_u32 s27, s43, s3
	s_add_u32 s13, s20, s13
	v_add_co_ci_u32_e32 v29, vcc_lo, s31, v3, vcc_lo
	s_addc_u32 s27, s21, s27
	s_lshl_b64 s[42:43], s[44:45], 2
	v_add_co_u32 v4, vcc_lo, s13, v2
	s_add_u32 s13, s4, s42
	v_add_co_ci_u32_e32 v5, vcc_lo, s27, v3, vcc_lo
	s_addc_u32 s27, s5, s43
	s_add_u32 s31, s8, s42
	s_addc_u32 s72, s9, s43
	s_add_u32 s2, s2, s40
	;; [unrolled: 2-line block ×3, first 2 shown]
	s_addc_u32 s3, s21, s3
	v_add_co_u32 v2, vcc_lo, s2, v2
	v_add_co_ci_u32_e32 v3, vcc_lo, s3, v3, vcc_lo
	v_add_co_u32 v30, vcc_lo, v4, 4
	v_add_co_ci_u32_e32 v31, vcc_lo, 0, v5, vcc_lo
	s_delay_alu instid0(VALU_DEP_4) | instskip(NEXT) | instid1(VALU_DEP_4)
	v_add_co_u32 v32, vcc_lo, v2, 4
	v_add_co_ci_u32_e32 v33, vcc_lo, 0, v3, vcc_lo
	v_add_co_u32 v34, vcc_lo, v28, 4
	v_cmp_gt_i32_e64 s1, s19, v1
	v_add_co_ci_u32_e32 v35, vcc_lo, 0, v29, vcc_lo
	s_add_i32 s73, s52, 1
	s_sub_u32 s74, 0, s40
	s_mul_hi_i32 s29, s12, s60
	s_subb_u32 s75, 0, s41
	s_branch .LBB143_4
.LBB143_2:                              ;   in Loop: Header=BB143_4 Depth=1
	s_or_b32 exec_lo, exec_lo, s42
.LBB143_3:                              ;   in Loop: Header=BB143_4 Depth=1
	s_add_i32 s15, s15, s24
	s_delay_alu instid0(SALU_CYCLE_1)
	s_cmp_ge_u32 s15, s33
	s_cbranch_scc1 .LBB143_98
.LBB143_4:                              ; =>This Loop Header: Depth=1
                                        ;     Child Loop BB143_8 Depth 2
                                        ;       Child Loop BB143_9 Depth 3
                                        ;     Child Loop BB143_16 Depth 2
                                        ;       Child Loop BB143_17 Depth 3
	;; [unrolled: 2-line block ×12, first 2 shown]
	s_mul_i32 s2, s7, s15
	s_mul_hi_u32 s3, s6, s15
	s_mul_hi_u32 s76, s34, s15
	s_add_i32 s50, s3, s2
	s_mul_i32 s2, s11, s15
	s_mul_hi_u32 s3, s10, s15
	s_mul_i32 s80, s6, s15
	s_add_i32 s51, s3, s2
	s_mul_i32 s2, s35, s15
	s_mul_i32 s81, s10, s15
	s_add_i32 s76, s76, s2
	s_add_u32 s20, s4, s80
	s_addc_u32 s21, s5, s50
	s_mul_i32 s2, s15, s17
	s_mul_hi_u32 s3, s15, s16
	s_add_u32 s42, s8, s81
	s_addc_u32 s43, s9, s51
	s_add_i32 s3, s3, s2
	s_mul_i32 s2, s15, s16
	s_mul_i32 s79, s34, s15
	s_lshl_b64 s[2:3], s[2:3], 3
	s_delay_alu instid0(SALU_CYCLE_1)
	s_add_u32 s77, s25, s2
	s_addc_u32 s78, s53, s3
	s_and_not1_b32 vcc_lo, exec_lo, s14
	s_mov_b32 s2, -1
	s_cbranch_vccnz .LBB143_11
; %bb.5:                                ;   in Loop: Header=BB143_4 Depth=1
	s_and_saveexec_b32 s46, s0
	s_cbranch_execz .LBB143_10
; %bb.6:                                ;   in Loop: Header=BB143_4 Depth=1
	v_add_co_u32 v2, vcc_lo, v0, s79
	v_add_co_ci_u32_e32 v3, vcc_lo, s76, v15, vcc_lo
	s_lshl_b64 s[2:3], s[22:23], 3
	v_mov_b32_e32 v10, v1
	s_add_u32 s47, s77, s2
	s_addc_u32 s48, s78, s3
	s_mov_b32 s49, 0
	s_branch .LBB143_8
.LBB143_7:                              ;   in Loop: Header=BB143_8 Depth=2
	v_add_nc_u32_e32 v10, s26, v10
	v_add_co_u32 v4, vcc_lo, s47, v4
	v_add_co_ci_u32_e32 v5, vcc_lo, s48, v5, vcc_lo
	s_delay_alu instid0(VALU_DEP_3) | instskip(SKIP_1) | instid1(VALU_DEP_1)
	v_cmp_le_i32_e32 vcc_lo, s52, v10
	v_add_co_u32 v2, s2, v2, s36
	v_add_co_ci_u32_e64 v3, s2, s37, v3, s2
	s_or_b32 s49, vcc_lo, s49
	s_waitcnt vmcnt(0)
	global_store_b64 v[4:5], v[6:7], off offset:-8
	s_and_not1_b32 exec_lo, exec_lo, s49
	s_cbranch_execz .LBB143_10
.LBB143_8:                              ;   Parent Loop BB143_4 Depth=1
                                        ; =>  This Loop Header: Depth=2
                                        ;       Child Loop BB143_9 Depth 3
	v_mad_i64_i32 v[4:5], null, v10, s12, 0
	v_dual_mov_b32 v9, v3 :: v_dual_mov_b32 v8, v2
	s_mov_b64 s[2:3], s[20:21]
	s_mov_b64 s[44:45], s[42:43]
	s_mov_b32 s82, s30
	s_delay_alu instid0(VALU_DEP_2) | instskip(NEXT) | instid1(VALU_DEP_1)
	v_lshlrev_b64 v[4:5], 3, v[4:5]
	v_add_co_u32 v6, vcc_lo, s77, v4
	s_delay_alu instid0(VALU_DEP_2)
	v_add_co_ci_u32_e32 v7, vcc_lo, s78, v5, vcc_lo
	s_and_not1_b32 vcc_lo, exec_lo, s54
	global_load_b64 v[6:7], v[6:7], off
	s_cbranch_vccnz .LBB143_7
	.p2align	6
.LBB143_9:                              ;   Parent Loop BB143_4 Depth=1
                                        ;     Parent Loop BB143_8 Depth=2
                                        ; =>    This Inner Loop Header: Depth=3
	global_load_b32 v37, v36, s[44:45]
	global_load_b64 v[11:12], v[8:9], off offset:-4
	global_load_b32 v38, v36, s[2:3]
	s_add_i32 s82, s82, -1
	s_add_u32 s44, s44, 4
	s_addc_u32 s45, s45, 0
	s_add_u32 s2, s2, 4
	s_addc_u32 s3, s3, 0
	s_cmp_eq_u32 s82, 0
	s_waitcnt vmcnt(1)
	v_dual_mul_f32 v39, v6, v37 :: v_dual_mul_f32 v14, v37, v12
	v_mul_f32_e32 v13, v37, v11
	v_mul_f32_e32 v37, v7, v37
	s_waitcnt vmcnt(0)
	s_delay_alu instid0(VALU_DEP_3) | instskip(NEXT) | instid1(VALU_DEP_3)
	v_fmac_f32_e32 v14, v7, v38
	v_fmac_f32_e32 v13, v6, v38
	v_fma_f32 v6, v38, v11, -v39
	v_fma_f32 v7, v38, v12, -v37
	global_store_b64 v[8:9], v[13:14], off offset:-12
	v_add_co_u32 v8, vcc_lo, v8, 8
	v_add_co_ci_u32_e32 v9, vcc_lo, 0, v9, vcc_lo
	s_cbranch_scc0 .LBB143_9
	s_branch .LBB143_7
.LBB143_10:                             ;   in Loop: Header=BB143_4 Depth=1
	s_or_b32 exec_lo, exec_lo, s46
	s_mov_b32 s2, 0
.LBB143_11:                             ;   in Loop: Header=BB143_4 Depth=1
	s_delay_alu instid0(SALU_CYCLE_1)
	s_and_not1_b32 vcc_lo, exec_lo, s2
	s_cbranch_vccnz .LBB143_3
; %bb.12:                               ;   in Loop: Header=BB143_4 Depth=1
	s_add_u32 s44, s67, s80
	s_addc_u32 s45, s68, s50
	s_add_u32 s46, s69, s81
	s_addc_u32 s47, s70, s51
	s_and_not1_b32 vcc_lo, exec_lo, s18
	s_mov_b32 s2, -1
	s_cbranch_vccnz .LBB143_19
; %bb.13:                               ;   in Loop: Header=BB143_4 Depth=1
	s_and_saveexec_b32 s82, s0
	s_cbranch_execz .LBB143_18
; %bb.14:                               ;   in Loop: Header=BB143_4 Depth=1
	v_add_co_u32 v2, vcc_lo, v16, s79
	v_add_co_ci_u32_e32 v3, vcc_lo, s76, v17, vcc_lo
	s_lshl_b64 s[2:3], s[22:23], 3
	v_mov_b32_e32 v10, v1
	s_add_u32 s83, s77, s2
	s_addc_u32 s84, s78, s3
	s_mov_b32 s85, 0
	s_branch .LBB143_16
.LBB143_15:                             ;   in Loop: Header=BB143_16 Depth=2
	v_add_nc_u32_e32 v10, s26, v10
	v_add_co_u32 v4, vcc_lo, s77, v4
	v_add_co_ci_u32_e32 v5, vcc_lo, s78, v5, vcc_lo
	s_delay_alu instid0(VALU_DEP_3) | instskip(SKIP_1) | instid1(VALU_DEP_1)
	v_cmp_le_i32_e32 vcc_lo, s52, v10
	v_add_co_u32 v2, s2, v2, s36
	v_add_co_ci_u32_e64 v3, s2, s37, v3, s2
	s_or_b32 s85, vcc_lo, s85
	s_waitcnt vmcnt(0)
	global_store_b64 v[4:5], v[6:7], off
	s_and_not1_b32 exec_lo, exec_lo, s85
	s_cbranch_execz .LBB143_18
.LBB143_16:                             ;   Parent Loop BB143_4 Depth=1
                                        ; =>  This Loop Header: Depth=2
                                        ;       Child Loop BB143_17 Depth 3
	v_mad_i64_i32 v[4:5], null, v10, s12, 0
	v_dual_mov_b32 v9, v3 :: v_dual_mov_b32 v8, v2
	s_mov_b64 s[2:3], s[46:47]
	s_mov_b64 s[48:49], s[44:45]
	s_mov_b32 s86, s30
	s_delay_alu instid0(VALU_DEP_2) | instskip(NEXT) | instid1(VALU_DEP_1)
	v_lshlrev_b64 v[4:5], 3, v[4:5]
	v_add_co_u32 v6, vcc_lo, s83, v4
	s_delay_alu instid0(VALU_DEP_2)
	v_add_co_ci_u32_e32 v7, vcc_lo, s84, v5, vcc_lo
	s_and_not1_b32 vcc_lo, exec_lo, s54
	global_load_b64 v[6:7], v[6:7], off offset:-8
	s_cbranch_vccnz .LBB143_15
	.p2align	6
.LBB143_17:                             ;   Parent Loop BB143_4 Depth=1
                                        ;     Parent Loop BB143_16 Depth=2
                                        ; =>    This Inner Loop Header: Depth=3
	global_load_b32 v13, v36, s[2:3]
	global_load_b64 v[11:12], v[8:9], off
	global_load_b32 v14, v36, s[48:49]
	s_waitcnt vmcnt(3)
	v_dual_mov_b32 v37, v7 :: v_dual_mov_b32 v38, v6
	s_add_i32 s86, s86, -1
	s_add_u32 s48, s48, -4
	s_addc_u32 s49, s49, -1
	s_add_u32 s2, s2, -4
	s_addc_u32 s3, s3, -1
	s_cmp_eq_u32 s86, 0
	s_waitcnt vmcnt(1)
	v_mul_f32_e32 v40, v13, v12
	s_waitcnt vmcnt(0)
	v_mul_f32_e32 v7, v14, v12
	v_mul_f32_e32 v6, v14, v11
	s_delay_alu instid0(VALU_DEP_3) | instskip(NEXT) | instid1(VALU_DEP_3)
	v_fma_f32 v12, v37, v14, -v40
	v_fmac_f32_e32 v7, v37, v13
	s_delay_alu instid0(VALU_DEP_3) | instskip(NEXT) | instid1(VALU_DEP_1)
	v_dual_mul_f32 v39, v13, v11 :: v_dual_fmac_f32 v6, v38, v13
	v_fma_f32 v11, v38, v14, -v39
	global_store_b64 v[8:9], v[11:12], off offset:8
	v_add_co_u32 v8, vcc_lo, v8, -8
	v_add_co_ci_u32_e32 v9, vcc_lo, -1, v9, vcc_lo
	s_cbranch_scc0 .LBB143_17
	s_branch .LBB143_15
.LBB143_18:                             ;   in Loop: Header=BB143_4 Depth=1
	s_or_b32 exec_lo, exec_lo, s82
	s_mov_b32 s2, 0
.LBB143_19:                             ;   in Loop: Header=BB143_4 Depth=1
	s_delay_alu instid0(SALU_CYCLE_1)
	s_and_not1_b32 vcc_lo, exec_lo, s2
	s_cbranch_vccnz .LBB143_3
; %bb.20:                               ;   in Loop: Header=BB143_4 Depth=1
	s_and_not1_b32 vcc_lo, exec_lo, s55
	s_mov_b32 s2, -1
	s_cbranch_vccnz .LBB143_27
; %bb.21:                               ;   in Loop: Header=BB143_4 Depth=1
	s_and_saveexec_b32 s82, s0
	s_cbranch_execz .LBB143_26
; %bb.22:                               ;   in Loop: Header=BB143_4 Depth=1
	v_add_co_u32 v2, vcc_lo, v18, s79
	v_add_co_ci_u32_e32 v3, vcc_lo, s76, v19, vcc_lo
	v_mov_b32_e32 v10, v1
	s_mov_b32 s83, 0
	s_branch .LBB143_24
.LBB143_23:                             ;   in Loop: Header=BB143_24 Depth=2
	v_add_nc_u32_e32 v10, s26, v10
	v_add_co_u32 v2, s2, v2, s36
	s_delay_alu instid0(VALU_DEP_1) | instskip(NEXT) | instid1(VALU_DEP_3)
	v_add_co_ci_u32_e64 v3, s2, s37, v3, s2
	v_cmp_le_i32_e32 vcc_lo, s52, v10
	s_waitcnt vmcnt(0)
	global_store_b64 v[4:5], v[6:7], off
	s_or_b32 s83, vcc_lo, s83
	s_delay_alu instid0(SALU_CYCLE_1)
	s_and_not1_b32 exec_lo, exec_lo, s83
	s_cbranch_execz .LBB143_26
.LBB143_24:                             ;   Parent Loop BB143_4 Depth=1
                                        ; =>  This Loop Header: Depth=2
                                        ;       Child Loop BB143_25 Depth 3
	s_delay_alu instid0(VALU_DEP_1) | instskip(SKIP_4) | instid1(VALU_DEP_2)
	v_mad_i64_i32 v[4:5], null, v10, s12, 0
	v_dual_mov_b32 v9, v3 :: v_dual_mov_b32 v8, v2
	s_mov_b32 s84, s30
	s_mov_b64 s[2:3], s[20:21]
	s_mov_b64 s[48:49], s[42:43]
	v_lshlrev_b64 v[4:5], 3, v[4:5]
	s_delay_alu instid0(VALU_DEP_1) | instskip(NEXT) | instid1(VALU_DEP_2)
	v_add_co_u32 v4, vcc_lo, s77, v4
	v_add_co_ci_u32_e32 v5, vcc_lo, s78, v5, vcc_lo
	s_and_not1_b32 vcc_lo, exec_lo, s54
	global_load_b64 v[6:7], v[4:5], off
	s_cbranch_vccnz .LBB143_23
	.p2align	6
.LBB143_25:                             ;   Parent Loop BB143_4 Depth=1
                                        ;     Parent Loop BB143_24 Depth=2
                                        ; =>    This Inner Loop Header: Depth=3
	s_clause 0x1
	global_load_b32 v13, v36, s[48:49]
	global_load_b32 v14, v36, s[2:3]
	global_load_b64 v[11:12], v[8:9], off
	s_waitcnt vmcnt(3)
	v_dual_mov_b32 v37, v7 :: v_dual_mov_b32 v38, v6
	s_add_u32 s48, s48, 4
	s_addc_u32 s49, s49, 0
	s_add_u32 s2, s2, 4
	s_addc_u32 s3, s3, 0
	s_add_i32 s84, s84, -1
	s_delay_alu instid0(SALU_CYCLE_1)
	s_cmp_eq_u32 s84, 0
	s_waitcnt vmcnt(2)
	v_mul_f32_e32 v39, v38, v13
	v_mul_f32_e32 v40, v37, v13
	s_waitcnt vmcnt(0)
	v_mul_f32_e32 v6, v13, v11
	v_mul_f32_e32 v7, v13, v12
	v_fma_f32 v11, v14, v11, -v39
	v_fma_f32 v12, v14, v12, -v40
	s_delay_alu instid0(VALU_DEP_4) | instskip(NEXT) | instid1(VALU_DEP_4)
	v_fmac_f32_e32 v6, v38, v14
	v_fmac_f32_e32 v7, v37, v14
	global_store_b64 v[8:9], v[11:12], off
	v_add_co_u32 v8, vcc_lo, v8, 8
	v_add_co_ci_u32_e32 v9, vcc_lo, 0, v9, vcc_lo
	s_cbranch_scc0 .LBB143_25
	s_branch .LBB143_23
.LBB143_26:                             ;   in Loop: Header=BB143_4 Depth=1
	s_or_b32 exec_lo, exec_lo, s82
	s_mov_b32 s2, 0
.LBB143_27:                             ;   in Loop: Header=BB143_4 Depth=1
	s_delay_alu instid0(SALU_CYCLE_1)
	s_and_not1_b32 vcc_lo, exec_lo, s2
	s_cbranch_vccnz .LBB143_3
; %bb.28:                               ;   in Loop: Header=BB143_4 Depth=1
	s_and_not1_b32 vcc_lo, exec_lo, s56
	s_mov_b32 s2, -1
	s_cbranch_vccnz .LBB143_35
; %bb.29:                               ;   in Loop: Header=BB143_4 Depth=1
	s_and_saveexec_b32 s82, s0
	s_cbranch_execz .LBB143_34
; %bb.30:                               ;   in Loop: Header=BB143_4 Depth=1
	v_add_co_u32 v2, vcc_lo, v22, s79
	v_add_co_ci_u32_e32 v3, vcc_lo, s76, v23, vcc_lo
	v_mov_b32_e32 v10, v1
	s_mov_b32 s83, 0
	s_branch .LBB143_32
.LBB143_31:                             ;   in Loop: Header=BB143_32 Depth=2
	v_add_nc_u32_e32 v10, s26, v10
	v_add_co_u32 v2, s2, v2, s36
	s_delay_alu instid0(VALU_DEP_1) | instskip(NEXT) | instid1(VALU_DEP_3)
	v_add_co_ci_u32_e64 v3, s2, s37, v3, s2
	v_cmp_le_i32_e32 vcc_lo, s52, v10
	s_waitcnt vmcnt(0)
	global_store_b64 v[4:5], v[6:7], off
	s_or_b32 s83, vcc_lo, s83
	s_delay_alu instid0(SALU_CYCLE_1)
	s_and_not1_b32 exec_lo, exec_lo, s83
	s_cbranch_execz .LBB143_34
.LBB143_32:                             ;   Parent Loop BB143_4 Depth=1
                                        ; =>  This Loop Header: Depth=2
                                        ;       Child Loop BB143_33 Depth 3
	s_delay_alu instid0(VALU_DEP_1) | instskip(SKIP_4) | instid1(VALU_DEP_2)
	v_mad_i64_i32 v[4:5], null, v10, s12, 0
	v_dual_mov_b32 v9, v3 :: v_dual_mov_b32 v8, v2
	s_mov_b64 s[2:3], s[46:47]
	s_mov_b64 s[48:49], s[44:45]
	s_mov_b32 s84, s71
	v_lshlrev_b64 v[4:5], 3, v[4:5]
	s_delay_alu instid0(VALU_DEP_1) | instskip(NEXT) | instid1(VALU_DEP_2)
	v_add_co_u32 v4, vcc_lo, s77, v4
	v_add_co_ci_u32_e32 v5, vcc_lo, s78, v5, vcc_lo
	s_and_not1_b32 vcc_lo, exec_lo, s54
	global_load_b64 v[6:7], v[4:5], off
	s_cbranch_vccnz .LBB143_31
	.p2align	6
.LBB143_33:                             ;   Parent Loop BB143_4 Depth=1
                                        ;     Parent Loop BB143_32 Depth=2
                                        ; =>    This Inner Loop Header: Depth=3
	s_clause 0x1
	global_load_b32 v13, v36, s[2:3]
	global_load_b32 v14, v36, s[48:49]
	global_load_b64 v[11:12], v[8:9], off offset:-4
	s_waitcnt vmcnt(3)
	v_dual_mov_b32 v37, v7 :: v_dual_mov_b32 v38, v6
	s_add_i32 s84, s84, -1
	s_add_u32 s48, s48, -4
	s_addc_u32 s49, s49, -1
	s_add_u32 s2, s2, -4
	s_addc_u32 s3, s3, -1
	s_cmp_lt_u32 s84, 3
	s_waitcnt vmcnt(2)
	v_mul_f32_e32 v39, v38, v13
	v_mul_f32_e32 v40, v37, v13
	s_waitcnt vmcnt(0)
	v_mul_f32_e32 v6, v13, v11
	v_mul_f32_e32 v7, v13, v12
	v_fma_f32 v11, v14, v11, -v39
	v_fma_f32 v12, v14, v12, -v40
	s_delay_alu instid0(VALU_DEP_4) | instskip(NEXT) | instid1(VALU_DEP_4)
	v_fmac_f32_e32 v6, v38, v14
	v_fmac_f32_e32 v7, v37, v14
	global_store_b64 v[8:9], v[11:12], off offset:-4
	v_add_co_u32 v8, vcc_lo, v8, -8
	v_add_co_ci_u32_e32 v9, vcc_lo, -1, v9, vcc_lo
	s_cbranch_scc0 .LBB143_33
	s_branch .LBB143_31
.LBB143_34:                             ;   in Loop: Header=BB143_4 Depth=1
	s_or_b32 exec_lo, exec_lo, s82
	s_mov_b32 s2, 0
.LBB143_35:                             ;   in Loop: Header=BB143_4 Depth=1
	s_delay_alu instid0(SALU_CYCLE_1)
	s_and_not1_b32 vcc_lo, exec_lo, s2
	s_cbranch_vccnz .LBB143_3
; %bb.36:                               ;   in Loop: Header=BB143_4 Depth=1
	s_and_not1_b32 vcc_lo, exec_lo, s57
	s_mov_b32 s2, -1
	s_cbranch_vccnz .LBB143_43
; %bb.37:                               ;   in Loop: Header=BB143_4 Depth=1
	s_and_saveexec_b32 s82, s0
	s_cbranch_execz .LBB143_42
; %bb.38:                               ;   in Loop: Header=BB143_4 Depth=1
	v_add_co_u32 v2, vcc_lo, v20, s79
	v_add_co_ci_u32_e32 v3, vcc_lo, s76, v21, vcc_lo
	s_lshl_b64 s[2:3], s[22:23], 3
	v_mov_b32_e32 v10, v1
	s_add_u32 s83, s77, s2
	s_addc_u32 s84, s78, s3
	s_mov_b32 s85, 0
	s_branch .LBB143_40
.LBB143_39:                             ;   in Loop: Header=BB143_40 Depth=2
	v_add_nc_u32_e32 v10, s26, v10
	v_add_co_u32 v2, s2, v2, s36
	s_delay_alu instid0(VALU_DEP_1) | instskip(NEXT) | instid1(VALU_DEP_3)
	v_add_co_ci_u32_e64 v3, s2, s37, v3, s2
	v_cmp_le_i32_e32 vcc_lo, s52, v10
	s_waitcnt vmcnt(0)
	global_store_b64 v[4:5], v[6:7], off offset:-8
	s_or_b32 s85, vcc_lo, s85
	s_delay_alu instid0(SALU_CYCLE_1)
	s_and_not1_b32 exec_lo, exec_lo, s85
	s_cbranch_execz .LBB143_42
.LBB143_40:                             ;   Parent Loop BB143_4 Depth=1
                                        ; =>  This Loop Header: Depth=2
                                        ;       Child Loop BB143_41 Depth 3
	v_mad_i64_i32 v[4:5], null, v10, s12, 0
	v_dual_mov_b32 v9, v3 :: v_dual_mov_b32 v8, v2
	s_mov_b64 s[2:3], s[42:43]
	s_mov_b64 s[48:49], s[20:21]
	s_mov_b32 s86, s30
	s_delay_alu instid0(VALU_DEP_2) | instskip(NEXT) | instid1(VALU_DEP_1)
	v_lshlrev_b64 v[4:5], 3, v[4:5]
	v_add_co_u32 v4, vcc_lo, s83, v4
	s_delay_alu instid0(VALU_DEP_2)
	v_add_co_ci_u32_e32 v5, vcc_lo, s84, v5, vcc_lo
	s_and_not1_b32 vcc_lo, exec_lo, s54
	global_load_b64 v[6:7], v[4:5], off offset:-8
	s_cbranch_vccnz .LBB143_39
	.p2align	6
.LBB143_41:                             ;   Parent Loop BB143_4 Depth=1
                                        ;     Parent Loop BB143_40 Depth=2
                                        ; =>    This Inner Loop Header: Depth=3
	global_load_b64 v[11:12], v[8:9], off offset:-4
	s_clause 0x1
	global_load_b32 v37, v36, s[48:49]
	global_load_b32 v38, v36, s[2:3]
	s_add_i32 s86, s86, -1
	s_add_u32 s48, s48, 4
	s_addc_u32 s49, s49, 0
	s_add_u32 s2, s2, 4
	s_addc_u32 s3, s3, 0
	s_cmp_eq_u32 s86, 0
	s_waitcnt vmcnt(1)
	v_mul_f32_e32 v13, v37, v11
	s_waitcnt vmcnt(0)
	v_dual_mul_f32 v14, v37, v12 :: v_dual_mul_f32 v11, v38, v11
	v_mul_f32_e32 v12, v38, v12
	s_delay_alu instid0(VALU_DEP_3) | instskip(NEXT) | instid1(VALU_DEP_3)
	v_fmac_f32_e32 v13, v6, v38
	v_fmac_f32_e32 v14, v7, v38
	s_delay_alu instid0(VALU_DEP_4) | instskip(NEXT) | instid1(VALU_DEP_4)
	v_fma_f32 v6, v6, v37, -v11
	v_fma_f32 v7, v7, v37, -v12
	global_store_b64 v[8:9], v[13:14], off offset:-4
	v_add_co_u32 v8, vcc_lo, v8, 8
	v_add_co_ci_u32_e32 v9, vcc_lo, 0, v9, vcc_lo
	s_cbranch_scc0 .LBB143_41
	s_branch .LBB143_39
.LBB143_42:                             ;   in Loop: Header=BB143_4 Depth=1
	s_or_b32 exec_lo, exec_lo, s82
	s_mov_b32 s2, 0
.LBB143_43:                             ;   in Loop: Header=BB143_4 Depth=1
	s_delay_alu instid0(SALU_CYCLE_1)
	s_and_not1_b32 vcc_lo, exec_lo, s2
	s_cbranch_vccnz .LBB143_3
; %bb.44:                               ;   in Loop: Header=BB143_4 Depth=1
	s_and_not1_b32 vcc_lo, exec_lo, s58
	s_mov_b32 s2, -1
	s_cbranch_vccnz .LBB143_51
; %bb.45:                               ;   in Loop: Header=BB143_4 Depth=1
	s_and_saveexec_b32 s82, s0
	s_cbranch_execz .LBB143_50
; %bb.46:                               ;   in Loop: Header=BB143_4 Depth=1
	v_add_co_u32 v2, vcc_lo, v24, s79
	v_add_co_ci_u32_e32 v3, vcc_lo, s76, v25, vcc_lo
	s_lshl_b64 s[2:3], s[22:23], 3
	v_mov_b32_e32 v10, v1
	s_add_u32 s83, s77, s2
	s_addc_u32 s84, s78, s3
	s_mov_b32 s85, 0
	s_branch .LBB143_48
.LBB143_47:                             ;   in Loop: Header=BB143_48 Depth=2
	v_add_nc_u32_e32 v10, s26, v10
	v_add_co_u32 v2, s2, v2, s36
	s_delay_alu instid0(VALU_DEP_1) | instskip(NEXT) | instid1(VALU_DEP_3)
	v_add_co_ci_u32_e64 v3, s2, s37, v3, s2
	v_cmp_le_i32_e32 vcc_lo, s52, v10
	s_waitcnt vmcnt(0)
	global_store_b64 v[4:5], v[6:7], off offset:-8
	s_or_b32 s85, vcc_lo, s85
	s_delay_alu instid0(SALU_CYCLE_1)
	s_and_not1_b32 exec_lo, exec_lo, s85
	s_cbranch_execz .LBB143_50
.LBB143_48:                             ;   Parent Loop BB143_4 Depth=1
                                        ; =>  This Loop Header: Depth=2
                                        ;       Child Loop BB143_49 Depth 3
	v_mad_i64_i32 v[4:5], null, v10, s12, 0
	v_dual_mov_b32 v9, v3 :: v_dual_mov_b32 v8, v2
	s_mov_b64 s[2:3], s[46:47]
	s_mov_b64 s[48:49], s[44:45]
	s_mov_b32 s86, s30
	s_delay_alu instid0(VALU_DEP_2) | instskip(NEXT) | instid1(VALU_DEP_1)
	v_lshlrev_b64 v[4:5], 3, v[4:5]
	v_add_co_u32 v4, vcc_lo, s83, v4
	s_delay_alu instid0(VALU_DEP_2)
	v_add_co_ci_u32_e32 v5, vcc_lo, s84, v5, vcc_lo
	s_and_not1_b32 vcc_lo, exec_lo, s54
	global_load_b64 v[6:7], v[4:5], off offset:-8
	s_cbranch_vccnz .LBB143_47
	.p2align	6
.LBB143_49:                             ;   Parent Loop BB143_4 Depth=1
                                        ;     Parent Loop BB143_48 Depth=2
                                        ; =>    This Inner Loop Header: Depth=3
	global_load_b64 v[11:12], v[8:9], off offset:-4
	s_clause 0x1
	global_load_b32 v37, v36, s[48:49]
	global_load_b32 v38, v36, s[2:3]
	s_add_i32 s86, s86, -1
	s_add_u32 s48, s48, -4
	s_addc_u32 s49, s49, -1
	s_add_u32 s2, s2, -4
	s_addc_u32 s3, s3, -1
	s_cmp_eq_u32 s86, 0
	s_waitcnt vmcnt(1)
	v_mul_f32_e32 v13, v37, v11
	s_waitcnt vmcnt(0)
	v_dual_mul_f32 v14, v37, v12 :: v_dual_mul_f32 v11, v38, v11
	v_mul_f32_e32 v12, v38, v12
	s_delay_alu instid0(VALU_DEP_3) | instskip(NEXT) | instid1(VALU_DEP_3)
	v_fmac_f32_e32 v13, v6, v38
	v_fmac_f32_e32 v14, v7, v38
	s_delay_alu instid0(VALU_DEP_4) | instskip(NEXT) | instid1(VALU_DEP_4)
	v_fma_f32 v6, v6, v37, -v11
	v_fma_f32 v7, v7, v37, -v12
	global_store_b64 v[8:9], v[13:14], off offset:-4
	v_add_co_u32 v8, vcc_lo, v8, -8
	v_add_co_ci_u32_e32 v9, vcc_lo, -1, v9, vcc_lo
	s_cbranch_scc0 .LBB143_49
	s_branch .LBB143_47
.LBB143_50:                             ;   in Loop: Header=BB143_4 Depth=1
	s_or_b32 exec_lo, exec_lo, s82
	s_mov_b32 s2, 0
.LBB143_51:                             ;   in Loop: Header=BB143_4 Depth=1
	s_delay_alu instid0(SALU_CYCLE_1)
	s_and_not1_b32 vcc_lo, exec_lo, s2
	s_cbranch_vccnz .LBB143_3
; %bb.52:                               ;   in Loop: Header=BB143_4 Depth=1
	v_add_co_u32 v2, vcc_lo, v26, s79
	v_add_co_ci_u32_e32 v3, vcc_lo, s76, v27, vcc_lo
	s_and_not1_b32 vcc_lo, exec_lo, s59
	s_mov_b32 s2, -1
	s_cbranch_vccnz .LBB143_59
; %bb.53:                               ;   in Loop: Header=BB143_4 Depth=1
	s_and_saveexec_b32 s46, s1
	s_cbranch_execz .LBB143_58
; %bb.54:                               ;   in Loop: Header=BB143_4 Depth=1
	s_lshl_b64 s[2:3], s[28:29], 3
	v_dual_mov_b32 v5, v3 :: v_dual_mov_b32 v4, v2
	v_mov_b32_e32 v6, v1
	s_add_u32 s47, s77, s2
	s_addc_u32 s48, s78, s3
	s_mov_b32 s49, 0
	s_branch .LBB143_56
.LBB143_55:                             ;   in Loop: Header=BB143_56 Depth=2
	v_add_nc_u32_e32 v6, s26, v6
	v_add_co_u32 v7, vcc_lo, s47, v7
	v_add_co_ci_u32_e32 v8, vcc_lo, s48, v8, vcc_lo
	s_delay_alu instid0(VALU_DEP_3) | instskip(SKIP_1) | instid1(VALU_DEP_1)
	v_cmp_le_i32_e32 vcc_lo, s19, v6
	v_add_co_u32 v4, s2, v4, s38
	v_add_co_ci_u32_e64 v5, s2, s39, v5, s2
	s_or_b32 s49, vcc_lo, s49
	s_waitcnt vmcnt(0)
	global_store_b64 v[7:8], v[9:10], off
	s_and_not1_b32 exec_lo, exec_lo, s49
	s_cbranch_execz .LBB143_58
.LBB143_56:                             ;   Parent Loop BB143_4 Depth=1
                                        ; =>  This Loop Header: Depth=2
                                        ;       Child Loop BB143_57 Depth 3
	v_ashrrev_i32_e32 v7, 31, v6
	v_dual_mov_b32 v12, v5 :: v_dual_mov_b32 v11, v4
	s_mov_b64 s[2:3], s[42:43]
	s_mov_b64 s[44:45], s[20:21]
	s_delay_alu instid0(VALU_DEP_2) | instskip(SKIP_1) | instid1(VALU_DEP_1)
	v_lshlrev_b64 v[7:8], 3, v[6:7]
	s_mov_b32 s82, s60
	v_add_co_u32 v9, vcc_lo, s77, v7
	s_delay_alu instid0(VALU_DEP_2)
	v_add_co_ci_u32_e32 v10, vcc_lo, s78, v8, vcc_lo
	s_and_not1_b32 vcc_lo, exec_lo, s62
	global_load_b64 v[9:10], v[9:10], off
	s_cbranch_vccnz .LBB143_55
	.p2align	6
.LBB143_57:                             ;   Parent Loop BB143_4 Depth=1
                                        ;     Parent Loop BB143_56 Depth=2
                                        ; =>    This Inner Loop Header: Depth=3
	s_delay_alu instid0(VALU_DEP_2)
	v_add_co_u32 v13, vcc_lo, v11, s40
	v_add_co_ci_u32_e32 v14, vcc_lo, s41, v12, vcc_lo
	s_add_i32 s82, s82, -1
	global_load_b32 v41, v36, s[2:3]
	global_load_b64 v[37:38], v[13:14], off offset:-4
	global_load_b32 v42, v36, s[44:45]
	s_add_u32 s44, s44, 4
	s_addc_u32 s45, s45, 0
	s_add_u32 s2, s2, 4
	s_addc_u32 s3, s3, 0
	s_cmp_eq_u32 s82, 0
	s_waitcnt vmcnt(2)
	v_mul_f32_e32 v43, v9, v41
	s_waitcnt vmcnt(1)
	v_mul_f32_e32 v40, v41, v38
	v_mul_f32_e32 v39, v41, v37
	;; [unrolled: 1-line block ×3, first 2 shown]
	s_waitcnt vmcnt(0)
	s_delay_alu instid0(VALU_DEP_3) | instskip(NEXT) | instid1(VALU_DEP_3)
	v_fmac_f32_e32 v40, v10, v42
	v_fmac_f32_e32 v39, v9, v42
	s_delay_alu instid0(VALU_DEP_3)
	v_fma_f32 v10, v42, v38, -v41
	global_store_b64 v[11:12], v[39:40], off offset:-4
	v_dual_mov_b32 v11, v13 :: v_dual_mov_b32 v12, v14
	v_fma_f32 v9, v42, v37, -v43
	s_cbranch_scc0 .LBB143_57
	s_branch .LBB143_55
.LBB143_58:                             ;   in Loop: Header=BB143_4 Depth=1
	s_or_b32 exec_lo, exec_lo, s46
	s_mov_b32 s2, 0
.LBB143_59:                             ;   in Loop: Header=BB143_4 Depth=1
	s_delay_alu instid0(SALU_CYCLE_1)
	s_and_not1_b32 vcc_lo, exec_lo, s2
	s_cbranch_vccnz .LBB143_3
; %bb.60:                               ;   in Loop: Header=BB143_4 Depth=1
	v_add_co_u32 v4, vcc_lo, v30, s79
	s_add_u32 s44, s13, s80
	v_add_co_ci_u32_e32 v5, vcc_lo, s76, v31, vcc_lo
	s_addc_u32 s45, s27, s50
	s_add_u32 s46, s31, s81
	s_addc_u32 s47, s72, s51
	s_and_not1_b32 vcc_lo, exec_lo, s61
	s_mov_b32 s2, -1
	s_cbranch_vccnz .LBB143_68
; %bb.61:                               ;   in Loop: Header=BB143_4 Depth=1
	s_and_saveexec_b32 s80, s1
	s_cbranch_execz .LBB143_67
; %bb.62:                               ;   in Loop: Header=BB143_4 Depth=1
	v_add_co_u32 v13, vcc_lo, v28, s79
	v_add_co_ci_u32_e32 v14, vcc_lo, s76, v29, vcc_lo
	s_lshl_b64 s[2:3], s[28:29], 3
	v_dual_mov_b32 v7, v5 :: v_dual_mov_b32 v6, v4
	v_mov_b32_e32 v8, v1
	s_add_u32 s81, s77, s2
	s_addc_u32 s82, s78, s3
	s_mov_b32 s83, 0
	s_branch .LBB143_64
.LBB143_63:                             ;   in Loop: Header=BB143_64 Depth=2
	s_set_inst_prefetch_distance 0x2
	v_add_co_u32 v9, vcc_lo, s77, v9
	v_add_nc_u32_e32 v8, s26, v8
	v_add_co_ci_u32_e32 v10, vcc_lo, s78, v10, vcc_lo
	v_add_co_u32 v13, vcc_lo, v13, s38
	v_add_co_ci_u32_e32 v14, vcc_lo, s39, v14, vcc_lo
	s_delay_alu instid0(VALU_DEP_4) | instskip(SKIP_1) | instid1(VALU_DEP_1)
	v_cmp_le_i32_e32 vcc_lo, s19, v8
	v_add_co_u32 v6, s2, v6, s38
	v_add_co_ci_u32_e64 v7, s2, s39, v7, s2
	s_or_b32 s83, vcc_lo, s83
	s_waitcnt vmcnt(0)
	global_store_b64 v[9:10], v[11:12], off
	s_and_not1_b32 exec_lo, exec_lo, s83
	s_cbranch_execz .LBB143_67
.LBB143_64:                             ;   Parent Loop BB143_4 Depth=1
                                        ; =>  This Loop Header: Depth=2
                                        ;       Child Loop BB143_66 Depth 3
	v_ashrrev_i32_e32 v9, 31, v8
	s_delay_alu instid0(VALU_DEP_1) | instskip(NEXT) | instid1(VALU_DEP_1)
	v_lshlrev_b64 v[9:10], 3, v[8:9]
	v_add_co_u32 v11, vcc_lo, s81, v9
	s_delay_alu instid0(VALU_DEP_2)
	v_add_co_ci_u32_e32 v12, vcc_lo, s82, v10, vcc_lo
	s_and_not1_b32 vcc_lo, exec_lo, s62
	global_load_b64 v[11:12], v[11:12], off
	s_cbranch_vccnz .LBB143_63
; %bb.65:                               ;   in Loop: Header=BB143_64 Depth=2
	s_mov_b64 s[2:3], 0
	s_mov_b64 s[48:49], s[46:47]
	;; [unrolled: 1-line block ×3, first 2 shown]
	s_mov_b32 s84, s60
	s_set_inst_prefetch_distance 0x1
	.p2align	6
.LBB143_66:                             ;   Parent Loop BB143_4 Depth=1
                                        ;     Parent Loop BB143_64 Depth=2
                                        ; =>    This Inner Loop Header: Depth=3
	v_add_co_u32 v37, vcc_lo, v13, s2
	v_add_co_ci_u32_e32 v38, vcc_lo, s3, v14, vcc_lo
	s_waitcnt vmcnt(0)
	v_dual_mov_b32 v43, v12 :: v_dual_mov_b32 v44, v11
	s_clause 0x1
	global_load_b32 v41, v36, s[50:51]
	global_load_b32 v42, v36, s[48:49]
	global_load_b64 v[37:38], v[37:38], off
	v_add_co_u32 v39, vcc_lo, v6, s2
	s_add_i32 s84, s84, -1
	s_sub_u32 s2, s2, s40
	v_add_co_ci_u32_e32 v40, vcc_lo, s3, v7, vcc_lo
	s_subb_u32 s3, s3, s41
	s_add_u32 s50, s50, -4
	s_addc_u32 s51, s51, -1
	s_add_u32 s48, s48, -4
	s_addc_u32 s49, s49, -1
	s_cmp_eq_u32 s84, 0
	s_waitcnt vmcnt(0)
	v_dual_mul_f32 v45, v42, v37 :: v_dual_mul_f32 v12, v41, v38
	v_dual_mul_f32 v46, v42, v38 :: v_dual_mul_f32 v11, v41, v37
	s_delay_alu instid0(VALU_DEP_2) | instskip(NEXT) | instid1(VALU_DEP_3)
	v_fma_f32 v37, v44, v41, -v45
	v_fmac_f32_e32 v12, v43, v42
	s_delay_alu instid0(VALU_DEP_3) | instskip(NEXT) | instid1(VALU_DEP_4)
	v_fma_f32 v38, v43, v41, -v46
	v_fmac_f32_e32 v11, v44, v42
	global_store_b64 v[39:40], v[37:38], off offset:-4
	s_cbranch_scc0 .LBB143_66
	s_branch .LBB143_63
.LBB143_67:                             ;   in Loop: Header=BB143_4 Depth=1
	s_or_b32 exec_lo, exec_lo, s80
	s_mov_b32 s2, 0
.LBB143_68:                             ;   in Loop: Header=BB143_4 Depth=1
	s_delay_alu instid0(SALU_CYCLE_1)
	s_and_not1_b32 vcc_lo, exec_lo, s2
	s_cbranch_vccnz .LBB143_3
; %bb.69:                               ;   in Loop: Header=BB143_4 Depth=1
	s_and_not1_b32 vcc_lo, exec_lo, s63
	s_mov_b32 s2, -1
	s_cbranch_vccnz .LBB143_76
; %bb.70:                               ;   in Loop: Header=BB143_4 Depth=1
	s_and_saveexec_b32 s50, s1
	s_cbranch_execz .LBB143_75
; %bb.71:                               ;   in Loop: Header=BB143_4 Depth=1
	v_add_co_u32 v6, vcc_lo, v32, s79
	v_add_co_ci_u32_e32 v7, vcc_lo, s76, v33, vcc_lo
	v_mov_b32_e32 v8, v1
	s_mov_b32 s51, 0
	s_branch .LBB143_73
.LBB143_72:                             ;   in Loop: Header=BB143_73 Depth=2
	v_add_nc_u32_e32 v8, s26, v8
	v_add_co_u32 v6, s2, v6, s38
	s_delay_alu instid0(VALU_DEP_1) | instskip(NEXT) | instid1(VALU_DEP_3)
	v_add_co_ci_u32_e64 v7, s2, s39, v7, s2
	v_cmp_le_i32_e32 vcc_lo, s19, v8
	s_waitcnt vmcnt(0)
	global_store_b64 v[9:10], v[11:12], off
	s_or_b32 s51, vcc_lo, s51
	s_delay_alu instid0(SALU_CYCLE_1)
	s_and_not1_b32 exec_lo, exec_lo, s51
	s_cbranch_execz .LBB143_75
.LBB143_73:                             ;   Parent Loop BB143_4 Depth=1
                                        ; =>  This Loop Header: Depth=2
                                        ;       Child Loop BB143_74 Depth 3
	s_delay_alu instid0(VALU_DEP_1) | instskip(SKIP_3) | instid1(VALU_DEP_2)
	v_ashrrev_i32_e32 v9, 31, v8
	v_dual_mov_b32 v14, v7 :: v_dual_mov_b32 v13, v6
	s_mov_b32 s80, s60
	s_mov_b64 s[2:3], s[20:21]
	v_lshlrev_b64 v[9:10], 3, v[8:9]
	s_mov_b64 s[48:49], s[42:43]
	s_delay_alu instid0(VALU_DEP_1) | instskip(NEXT) | instid1(VALU_DEP_2)
	v_add_co_u32 v9, vcc_lo, s77, v9
	v_add_co_ci_u32_e32 v10, vcc_lo, s78, v10, vcc_lo
	s_and_not1_b32 vcc_lo, exec_lo, s62
	global_load_b64 v[11:12], v[9:10], off
	s_cbranch_vccnz .LBB143_72
	.p2align	6
.LBB143_74:                             ;   Parent Loop BB143_4 Depth=1
                                        ;     Parent Loop BB143_73 Depth=2
                                        ; =>    This Inner Loop Header: Depth=3
	s_clause 0x1
	global_load_b32 v39, v36, s[48:49]
	global_load_b32 v40, v36, s[2:3]
	global_load_b64 v[37:38], v[13:14], off offset:-4
	s_waitcnt vmcnt(3)
	v_dual_mov_b32 v41, v12 :: v_dual_mov_b32 v42, v11
	s_add_u32 s48, s48, 4
	s_addc_u32 s49, s49, 0
	s_add_u32 s2, s2, 4
	s_addc_u32 s3, s3, 0
	s_add_i32 s80, s80, -1
	s_delay_alu instid0(SALU_CYCLE_1)
	s_cmp_eq_u32 s80, 0
	s_waitcnt vmcnt(2)
	v_mul_f32_e32 v43, v42, v39
	s_waitcnt vmcnt(0)
	v_dual_mul_f32 v44, v41, v39 :: v_dual_mul_f32 v11, v39, v37
	v_mul_f32_e32 v12, v39, v38
	s_delay_alu instid0(VALU_DEP_3) | instskip(NEXT) | instid1(VALU_DEP_3)
	v_fma_f32 v37, v40, v37, -v43
	v_fma_f32 v38, v40, v38, -v44
	s_delay_alu instid0(VALU_DEP_4) | instskip(NEXT) | instid1(VALU_DEP_4)
	v_fmac_f32_e32 v11, v42, v40
	v_fmac_f32_e32 v12, v41, v40
	global_store_b64 v[13:14], v[37:38], off offset:-4
	v_add_co_u32 v13, vcc_lo, v13, s40
	v_add_co_ci_u32_e32 v14, vcc_lo, s41, v14, vcc_lo
	s_cbranch_scc0 .LBB143_74
	s_branch .LBB143_72
.LBB143_75:                             ;   in Loop: Header=BB143_4 Depth=1
	s_or_b32 exec_lo, exec_lo, s50
	s_mov_b32 s2, 0
.LBB143_76:                             ;   in Loop: Header=BB143_4 Depth=1
	s_delay_alu instid0(SALU_CYCLE_1)
	s_and_not1_b32 vcc_lo, exec_lo, s2
	s_cbranch_vccnz .LBB143_3
; %bb.77:                               ;   in Loop: Header=BB143_4 Depth=1
	s_and_not1_b32 vcc_lo, exec_lo, s64
	s_mov_b32 s2, -1
	s_cbranch_vccnz .LBB143_84
; %bb.78:                               ;   in Loop: Header=BB143_4 Depth=1
	s_and_saveexec_b32 s50, s1
	s_cbranch_execz .LBB143_83
; %bb.79:                               ;   in Loop: Header=BB143_4 Depth=1
	v_mov_b32_e32 v6, v1
	s_mov_b32 s51, 0
	s_branch .LBB143_81
.LBB143_80:                             ;   in Loop: Header=BB143_81 Depth=2
	v_add_nc_u32_e32 v6, s26, v6
	v_add_co_u32 v4, s2, v4, s38
	s_delay_alu instid0(VALU_DEP_1) | instskip(NEXT) | instid1(VALU_DEP_3)
	v_add_co_ci_u32_e64 v5, s2, s39, v5, s2
	v_cmp_le_i32_e32 vcc_lo, s19, v6
	s_waitcnt vmcnt(0)
	global_store_b64 v[7:8], v[9:10], off
	s_or_b32 s51, vcc_lo, s51
	s_delay_alu instid0(SALU_CYCLE_1)
	s_and_not1_b32 exec_lo, exec_lo, s51
	s_cbranch_execz .LBB143_83
.LBB143_81:                             ;   Parent Loop BB143_4 Depth=1
                                        ; =>  This Loop Header: Depth=2
                                        ;       Child Loop BB143_82 Depth 3
	s_delay_alu instid0(VALU_DEP_1) | instskip(SKIP_3) | instid1(VALU_DEP_2)
	v_ashrrev_i32_e32 v7, 31, v6
	v_dual_mov_b32 v12, v5 :: v_dual_mov_b32 v11, v4
	s_mov_b64 s[2:3], s[46:47]
	s_mov_b64 s[48:49], s[44:45]
	v_lshlrev_b64 v[7:8], 3, v[6:7]
	s_mov_b32 s80, s73
	s_delay_alu instid0(VALU_DEP_1) | instskip(NEXT) | instid1(VALU_DEP_2)
	v_add_co_u32 v7, vcc_lo, s77, v7
	v_add_co_ci_u32_e32 v8, vcc_lo, s78, v8, vcc_lo
	s_and_not1_b32 vcc_lo, exec_lo, s62
	global_load_b64 v[9:10], v[7:8], off
	s_cbranch_vccnz .LBB143_80
	.p2align	6
.LBB143_82:                             ;   Parent Loop BB143_4 Depth=1
                                        ;     Parent Loop BB143_81 Depth=2
                                        ; =>    This Inner Loop Header: Depth=3
	s_clause 0x1
	global_load_b32 v37, v36, s[2:3]
	global_load_b32 v38, v36, s[48:49]
	global_load_b64 v[13:14], v[11:12], off offset:-4
	s_waitcnt vmcnt(3)
	v_dual_mov_b32 v39, v10 :: v_dual_mov_b32 v40, v9
	s_add_i32 s80, s80, -1
	s_add_u32 s48, s48, -4
	s_addc_u32 s49, s49, -1
	s_add_u32 s2, s2, -4
	s_addc_u32 s3, s3, -1
	s_cmp_lt_u32 s80, 3
	s_waitcnt vmcnt(0)
	v_dual_mul_f32 v41, v40, v37 :: v_dual_mul_f32 v10, v37, v14
	v_mul_f32_e32 v9, v37, v13
	s_delay_alu instid0(VALU_DEP_2) | instskip(NEXT) | instid1(VALU_DEP_3)
	v_fma_f32 v13, v38, v13, -v41
	v_fmac_f32_e32 v10, v39, v38
	s_delay_alu instid0(VALU_DEP_3) | instskip(NEXT) | instid1(VALU_DEP_1)
	v_dual_mul_f32 v42, v39, v37 :: v_dual_fmac_f32 v9, v40, v38
	v_fma_f32 v14, v38, v14, -v42
	global_store_b64 v[11:12], v[13:14], off offset:-4
	v_add_co_u32 v11, vcc_lo, v11, s74
	v_add_co_ci_u32_e32 v12, vcc_lo, s75, v12, vcc_lo
	s_cbranch_scc0 .LBB143_82
	s_branch .LBB143_80
.LBB143_83:                             ;   in Loop: Header=BB143_4 Depth=1
	s_or_b32 exec_lo, exec_lo, s50
	s_mov_b32 s2, 0
.LBB143_84:                             ;   in Loop: Header=BB143_4 Depth=1
	s_delay_alu instid0(SALU_CYCLE_1)
	s_and_not1_b32 vcc_lo, exec_lo, s2
	s_cbranch_vccnz .LBB143_3
; %bb.85:                               ;   in Loop: Header=BB143_4 Depth=1
	s_and_not1_b32 vcc_lo, exec_lo, s65
	s_mov_b32 s2, -1
	s_cbranch_vccnz .LBB143_92
; %bb.86:                               ;   in Loop: Header=BB143_4 Depth=1
	s_and_saveexec_b32 s50, s1
	s_cbranch_execz .LBB143_91
; %bb.87:                               ;   in Loop: Header=BB143_4 Depth=1
	s_lshl_b64 s[2:3], s[28:29], 3
	v_mov_b32_e32 v4, v1
	s_add_u32 s51, s77, s2
	s_addc_u32 s80, s78, s3
	s_mov_b32 s81, 0
	s_branch .LBB143_89
.LBB143_88:                             ;   in Loop: Header=BB143_89 Depth=2
	v_add_nc_u32_e32 v4, s26, v4
	v_add_co_u32 v2, s2, v2, s38
	s_delay_alu instid0(VALU_DEP_1) | instskip(NEXT) | instid1(VALU_DEP_3)
	v_add_co_ci_u32_e64 v3, s2, s39, v3, s2
	v_cmp_le_i32_e32 vcc_lo, s19, v4
	s_waitcnt vmcnt(0)
	global_store_b64 v[5:6], v[7:8], off
	s_or_b32 s81, vcc_lo, s81
	s_delay_alu instid0(SALU_CYCLE_1)
	s_and_not1_b32 exec_lo, exec_lo, s81
	s_cbranch_execz .LBB143_91
.LBB143_89:                             ;   Parent Loop BB143_4 Depth=1
                                        ; =>  This Loop Header: Depth=2
                                        ;       Child Loop BB143_90 Depth 3
	v_ashrrev_i32_e32 v5, 31, v4
	v_dual_mov_b32 v10, v3 :: v_dual_mov_b32 v9, v2
	s_mov_b64 s[2:3], s[42:43]
	s_mov_b64 s[48:49], s[20:21]
	s_delay_alu instid0(VALU_DEP_2) | instskip(SKIP_1) | instid1(VALU_DEP_1)
	v_lshlrev_b64 v[5:6], 3, v[4:5]
	s_mov_b32 s82, s60
	v_add_co_u32 v5, vcc_lo, s51, v5
	s_delay_alu instid0(VALU_DEP_2)
	v_add_co_ci_u32_e32 v6, vcc_lo, s80, v6, vcc_lo
	s_and_not1_b32 vcc_lo, exec_lo, s62
	global_load_b64 v[7:8], v[5:6], off
	s_cbranch_vccnz .LBB143_88
	.p2align	6
.LBB143_90:                             ;   Parent Loop BB143_4 Depth=1
                                        ;     Parent Loop BB143_89 Depth=2
                                        ; =>    This Inner Loop Header: Depth=3
	global_load_b64 v[11:12], v[9:10], off offset:-4
	s_clause 0x1
	global_load_b32 v37, v36, s[48:49]
	global_load_b32 v38, v36, s[2:3]
	s_add_i32 s82, s82, -1
	s_add_u32 s48, s48, 4
	s_addc_u32 s49, s49, 0
	s_add_u32 s2, s2, 4
	s_addc_u32 s3, s3, 0
	s_cmp_eq_u32 s82, 0
	s_waitcnt vmcnt(1)
	v_mul_f32_e32 v13, v37, v11
	s_waitcnt vmcnt(0)
	v_dual_mul_f32 v14, v37, v12 :: v_dual_mul_f32 v11, v38, v11
	s_delay_alu instid0(VALU_DEP_2) | instskip(NEXT) | instid1(VALU_DEP_2)
	v_dual_mul_f32 v12, v38, v12 :: v_dual_fmac_f32 v13, v7, v38
	v_fmac_f32_e32 v14, v8, v38
	s_delay_alu instid0(VALU_DEP_3) | instskip(NEXT) | instid1(VALU_DEP_3)
	v_fma_f32 v7, v7, v37, -v11
	v_fma_f32 v8, v8, v37, -v12
	global_store_b64 v[9:10], v[13:14], off offset:-4
	v_add_co_u32 v9, vcc_lo, v9, s40
	v_add_co_ci_u32_e32 v10, vcc_lo, s41, v10, vcc_lo
	s_cbranch_scc0 .LBB143_90
	s_branch .LBB143_88
.LBB143_91:                             ;   in Loop: Header=BB143_4 Depth=1
	s_or_b32 exec_lo, exec_lo, s50
	s_mov_b32 s2, 0
.LBB143_92:                             ;   in Loop: Header=BB143_4 Depth=1
	s_delay_alu instid0(SALU_CYCLE_1)
	s_and_not1_b32 vcc_lo, exec_lo, s2
	s_cbranch_vccnz .LBB143_3
; %bb.93:                               ;   in Loop: Header=BB143_4 Depth=1
	s_and_saveexec_b32 s42, s66
	s_cbranch_execz .LBB143_2
; %bb.94:                               ;   in Loop: Header=BB143_4 Depth=1
	v_add_co_u32 v2, vcc_lo, v34, s79
	v_add_co_ci_u32_e32 v3, vcc_lo, s76, v35, vcc_lo
	s_lshl_b64 s[2:3], s[28:29], 3
	v_mov_b32_e32 v4, v1
	s_add_u32 s43, s77, s2
	s_addc_u32 s48, s78, s3
	s_mov_b32 s49, 0
	s_branch .LBB143_96
.LBB143_95:                             ;   in Loop: Header=BB143_96 Depth=2
	v_add_nc_u32_e32 v4, s26, v4
	v_add_co_u32 v2, s2, v2, s38
	s_delay_alu instid0(VALU_DEP_1) | instskip(NEXT) | instid1(VALU_DEP_3)
	v_add_co_ci_u32_e64 v3, s2, s39, v3, s2
	v_cmp_le_i32_e32 vcc_lo, s19, v4
	s_waitcnt vmcnt(0)
	global_store_b64 v[5:6], v[7:8], off
	s_or_b32 s49, vcc_lo, s49
	s_delay_alu instid0(SALU_CYCLE_1)
	s_and_not1_b32 exec_lo, exec_lo, s49
	s_cbranch_execz .LBB143_2
.LBB143_96:                             ;   Parent Loop BB143_4 Depth=1
                                        ; =>  This Loop Header: Depth=2
                                        ;       Child Loop BB143_97 Depth 3
	v_ashrrev_i32_e32 v5, 31, v4
	v_dual_mov_b32 v10, v3 :: v_dual_mov_b32 v9, v2
	s_mov_b64 s[2:3], s[46:47]
	s_mov_b64 s[20:21], s[44:45]
	s_delay_alu instid0(VALU_DEP_2) | instskip(SKIP_1) | instid1(VALU_DEP_1)
	v_lshlrev_b64 v[5:6], 3, v[4:5]
	s_mov_b32 s50, s60
	v_add_co_u32 v5, vcc_lo, s43, v5
	s_delay_alu instid0(VALU_DEP_2)
	v_add_co_ci_u32_e32 v6, vcc_lo, s48, v6, vcc_lo
	s_and_not1_b32 vcc_lo, exec_lo, s62
	global_load_b64 v[7:8], v[5:6], off
	s_cbranch_vccnz .LBB143_95
	.p2align	6
.LBB143_97:                             ;   Parent Loop BB143_4 Depth=1
                                        ;     Parent Loop BB143_96 Depth=2
                                        ; =>    This Inner Loop Header: Depth=3
	global_load_b64 v[11:12], v[9:10], off offset:-4
	s_clause 0x1
	global_load_b32 v37, v36, s[20:21]
	global_load_b32 v38, v36, s[2:3]
	s_add_i32 s50, s50, -1
	s_add_u32 s20, s20, -4
	s_addc_u32 s21, s21, -1
	s_add_u32 s2, s2, -4
	s_addc_u32 s3, s3, -1
	s_cmp_eq_u32 s50, 0
	s_waitcnt vmcnt(1)
	v_mul_f32_e32 v13, v37, v11
	s_waitcnt vmcnt(0)
	v_dual_mul_f32 v14, v37, v12 :: v_dual_mul_f32 v11, v38, v11
	s_delay_alu instid0(VALU_DEP_2) | instskip(NEXT) | instid1(VALU_DEP_2)
	v_dual_mul_f32 v12, v38, v12 :: v_dual_fmac_f32 v13, v7, v38
	v_fmac_f32_e32 v14, v8, v38
	s_delay_alu instid0(VALU_DEP_3) | instskip(NEXT) | instid1(VALU_DEP_3)
	v_fma_f32 v7, v7, v37, -v11
	v_fma_f32 v8, v8, v37, -v12
	global_store_b64 v[9:10], v[13:14], off offset:-4
	v_add_co_u32 v9, vcc_lo, v9, s74
	v_add_co_ci_u32_e32 v10, vcc_lo, s75, v10, vcc_lo
	s_cbranch_scc0 .LBB143_97
	s_branch .LBB143_95
.LBB143_98:
	s_nop 0
	s_sendmsg sendmsg(MSG_DEALLOC_VGPRS)
	s_endpgm
	.section	.rodata,"a",@progbits
	.p2align	6, 0x0
	.amdhsa_kernel _ZN9rocsolver6v33100L11lasr_kernelI19rocblas_complex_numIfEfPS3_iEEv13rocblas_side_14rocblas_pivot_15rocblas_direct_T2_S8_PT0_lSA_lT1_lS8_lS8_
		.amdhsa_group_segment_fixed_size 0
		.amdhsa_private_segment_fixed_size 0
		.amdhsa_kernarg_size 352
		.amdhsa_user_sgpr_count 14
		.amdhsa_user_sgpr_dispatch_ptr 0
		.amdhsa_user_sgpr_queue_ptr 0
		.amdhsa_user_sgpr_kernarg_segment_ptr 1
		.amdhsa_user_sgpr_dispatch_id 0
		.amdhsa_user_sgpr_private_segment_size 0
		.amdhsa_wavefront_size32 1
		.amdhsa_uses_dynamic_stack 0
		.amdhsa_enable_private_segment 0
		.amdhsa_system_sgpr_workgroup_id_x 1
		.amdhsa_system_sgpr_workgroup_id_y 0
		.amdhsa_system_sgpr_workgroup_id_z 1
		.amdhsa_system_sgpr_workgroup_info 0
		.amdhsa_system_vgpr_workitem_id 0
		.amdhsa_next_free_vgpr 47
		.amdhsa_next_free_sgpr 87
		.amdhsa_reserve_vcc 1
		.amdhsa_float_round_mode_32 0
		.amdhsa_float_round_mode_16_64 0
		.amdhsa_float_denorm_mode_32 3
		.amdhsa_float_denorm_mode_16_64 3
		.amdhsa_dx10_clamp 1
		.amdhsa_ieee_mode 1
		.amdhsa_fp16_overflow 0
		.amdhsa_workgroup_processor_mode 1
		.amdhsa_memory_ordered 1
		.amdhsa_forward_progress 0
		.amdhsa_shared_vgpr_count 0
		.amdhsa_exception_fp_ieee_invalid_op 0
		.amdhsa_exception_fp_denorm_src 0
		.amdhsa_exception_fp_ieee_div_zero 0
		.amdhsa_exception_fp_ieee_overflow 0
		.amdhsa_exception_fp_ieee_underflow 0
		.amdhsa_exception_fp_ieee_inexact 0
		.amdhsa_exception_int_div_zero 0
	.end_amdhsa_kernel
	.section	.text._ZN9rocsolver6v33100L11lasr_kernelI19rocblas_complex_numIfEfPS3_iEEv13rocblas_side_14rocblas_pivot_15rocblas_direct_T2_S8_PT0_lSA_lT1_lS8_lS8_,"axG",@progbits,_ZN9rocsolver6v33100L11lasr_kernelI19rocblas_complex_numIfEfPS3_iEEv13rocblas_side_14rocblas_pivot_15rocblas_direct_T2_S8_PT0_lSA_lT1_lS8_lS8_,comdat
.Lfunc_end143:
	.size	_ZN9rocsolver6v33100L11lasr_kernelI19rocblas_complex_numIfEfPS3_iEEv13rocblas_side_14rocblas_pivot_15rocblas_direct_T2_S8_PT0_lSA_lT1_lS8_lS8_, .Lfunc_end143-_ZN9rocsolver6v33100L11lasr_kernelI19rocblas_complex_numIfEfPS3_iEEv13rocblas_side_14rocblas_pivot_15rocblas_direct_T2_S8_PT0_lSA_lT1_lS8_lS8_
                                        ; -- End function
	.section	.AMDGPU.csdata,"",@progbits
; Kernel info:
; codeLenInByte = 5072
; NumSgprs: 89
; NumVgprs: 47
; ScratchSize: 0
; MemoryBound: 0
; FloatMode: 240
; IeeeMode: 1
; LDSByteSize: 0 bytes/workgroup (compile time only)
; SGPRBlocks: 11
; VGPRBlocks: 5
; NumSGPRsForWavesPerEU: 89
; NumVGPRsForWavesPerEU: 47
; Occupancy: 16
; WaveLimiterHint : 0
; COMPUTE_PGM_RSRC2:SCRATCH_EN: 0
; COMPUTE_PGM_RSRC2:USER_SGPR: 14
; COMPUTE_PGM_RSRC2:TRAP_HANDLER: 0
; COMPUTE_PGM_RSRC2:TGID_X_EN: 1
; COMPUTE_PGM_RSRC2:TGID_Y_EN: 0
; COMPUTE_PGM_RSRC2:TGID_Z_EN: 1
; COMPUTE_PGM_RSRC2:TIDIG_COMP_CNT: 0
	.section	.text._ZN9rocsolver6v33100L11swap_kernelI19rocblas_complex_numIfEiEEvT0_PT_S4_S6_S4_,"axG",@progbits,_ZN9rocsolver6v33100L11swap_kernelI19rocblas_complex_numIfEiEEvT0_PT_S4_S6_S4_,comdat
	.globl	_ZN9rocsolver6v33100L11swap_kernelI19rocblas_complex_numIfEiEEvT0_PT_S4_S6_S4_ ; -- Begin function _ZN9rocsolver6v33100L11swap_kernelI19rocblas_complex_numIfEiEEvT0_PT_S4_S6_S4_
	.p2align	8
	.type	_ZN9rocsolver6v33100L11swap_kernelI19rocblas_complex_numIfEiEEvT0_PT_S4_S6_S4_,@function
_ZN9rocsolver6v33100L11swap_kernelI19rocblas_complex_numIfEiEEvT0_PT_S4_S6_S4_: ; @_ZN9rocsolver6v33100L11swap_kernelI19rocblas_complex_numIfEiEEvT0_PT_S4_S6_S4_
; %bb.0:
	s_load_b32 s12, s[0:1], 0x0
	s_waitcnt lgkmcnt(0)
	s_cmp_lt_i32 s12, 1
	s_cbranch_scc1 .LBB144_10
; %bb.1:
	s_clause 0x5
	s_load_b32 s6, s[0:1], 0x34
	s_load_b32 s8, s[0:1], 0x10
	;; [unrolled: 1-line block ×4, first 2 shown]
	s_load_b64 s[2:3], s[0:1], 0x8
	s_load_b64 s[4:5], s[0:1], 0x18
	s_waitcnt lgkmcnt(0)
	s_and_b32 s0, s6, 0xffff
	s_cmp_eq_u32 s8, 1
	v_mad_u64_u32 v[1:2], null, s15, s0, v[0:1]
	s_cselect_b32 s1, -1, 0
	s_cmp_eq_u32 s9, 1
	s_mul_i32 s6, s7, s0
	s_cselect_b32 s10, -1, 0
	s_delay_alu instid0(SALU_CYCLE_1) | instskip(NEXT) | instid1(VALU_DEP_1)
	s_and_b32 s1, s1, s10
	v_cmp_gt_i32_e64 s0, s12, v1
	s_and_b32 vcc_lo, exec_lo, s1
	s_mov_b32 s1, -1
	s_cbranch_vccnz .LBB144_6
; %bb.2:
	s_delay_alu instid0(VALU_DEP_1)
	s_and_saveexec_b32 s7, s0
	s_cbranch_execz .LBB144_5
; %bb.3:
	v_mad_i64_i32 v[2:3], null, s9, v1, 0
	v_mad_i64_i32 v[4:5], null, s8, v1, 0
	v_mov_b32_e32 v0, v1
	s_mul_hi_i32 s11, s9, s6
	s_mul_i32 s10, s9, s6
	s_mul_hi_i32 s15, s8, s6
	s_delay_alu instid0(VALU_DEP_3) | instskip(SKIP_1) | instid1(VALU_DEP_3)
	v_lshlrev_b64 v[2:3], 3, v[2:3]
	s_mul_i32 s14, s8, s6
	v_lshlrev_b64 v[4:5], 3, v[4:5]
	s_lshl_b64 s[8:9], s[10:11], 3
	s_lshl_b64 s[10:11], s[14:15], 3
	s_mov_b32 s13, 0
	v_add_co_u32 v2, vcc_lo, s4, v2
	v_add_co_ci_u32_e32 v3, vcc_lo, s5, v3, vcc_lo
	v_add_co_u32 v4, vcc_lo, s2, v4
	v_add_co_ci_u32_e32 v5, vcc_lo, s3, v5, vcc_lo
	.p2align	6
.LBB144_4:                              ; =>This Inner Loop Header: Depth=1
	global_load_b64 v[6:7], v[4:5], off
	global_load_b64 v[8:9], v[2:3], off
	v_add_nc_u32_e32 v0, s6, v0
	s_waitcnt vmcnt(1)
	global_store_b64 v[2:3], v[6:7], off
	s_waitcnt vmcnt(0)
	global_store_b64 v[4:5], v[8:9], off
	v_add_co_u32 v2, s1, v2, s8
	s_delay_alu instid0(VALU_DEP_1) | instskip(SKIP_2) | instid1(VALU_DEP_1)
	v_add_co_ci_u32_e64 v3, s1, s9, v3, s1
	v_cmp_le_i32_e32 vcc_lo, s12, v0
	v_add_co_u32 v4, s1, v4, s10
	v_add_co_ci_u32_e64 v5, s1, s11, v5, s1
	s_or_b32 s13, vcc_lo, s13
	s_delay_alu instid0(SALU_CYCLE_1)
	s_and_not1_b32 exec_lo, exec_lo, s13
	s_cbranch_execnz .LBB144_4
.LBB144_5:
	s_or_b32 exec_lo, exec_lo, s7
	s_mov_b32 s1, 0
.LBB144_6:
	s_delay_alu instid0(SALU_CYCLE_1)
	s_and_not1_b32 vcc_lo, exec_lo, s1
	s_cbranch_vccnz .LBB144_10
; %bb.7:
	s_and_saveexec_b32 s1, s0
	s_cbranch_execz .LBB144_10
; %bb.8:
	v_ashrrev_i32_e32 v2, 31, v1
	s_ashr_i32 s7, s6, 31
	s_mov_b32 s1, 0
	s_lshl_b64 s[8:9], s[6:7], 3
	s_delay_alu instid0(VALU_DEP_1)
	v_lshlrev_b64 v[2:3], 3, v[1:2]
	.p2align	6
.LBB144_9:                              ; =>This Inner Loop Header: Depth=1
	s_delay_alu instid0(VALU_DEP_1) | instskip(NEXT) | instid1(VALU_DEP_2)
	v_add_co_u32 v4, vcc_lo, s2, v2
	v_add_co_ci_u32_e32 v5, vcc_lo, s3, v3, vcc_lo
	v_add_co_u32 v6, vcc_lo, s4, v2
	v_add_co_ci_u32_e32 v7, vcc_lo, s5, v3, vcc_lo
	v_add_nc_u32_e32 v1, s6, v1
	global_load_b64 v[8:9], v[4:5], off
	global_load_b64 v[10:11], v[6:7], off
	v_add_co_u32 v2, s0, v2, s8
	v_cmp_le_i32_e32 vcc_lo, s12, v1
	v_add_co_ci_u32_e64 v3, s0, s9, v3, s0
	s_waitcnt vmcnt(1)
	global_store_b64 v[6:7], v[8:9], off
	s_waitcnt vmcnt(0)
	global_store_b64 v[4:5], v[10:11], off
	s_or_b32 s1, vcc_lo, s1
	s_delay_alu instid0(SALU_CYCLE_1)
	s_and_not1_b32 exec_lo, exec_lo, s1
	s_cbranch_execnz .LBB144_9
.LBB144_10:
	s_nop 0
	s_sendmsg sendmsg(MSG_DEALLOC_VGPRS)
	s_endpgm
	.section	.rodata,"a",@progbits
	.p2align	6, 0x0
	.amdhsa_kernel _ZN9rocsolver6v33100L11swap_kernelI19rocblas_complex_numIfEiEEvT0_PT_S4_S6_S4_
		.amdhsa_group_segment_fixed_size 0
		.amdhsa_private_segment_fixed_size 0
		.amdhsa_kernarg_size 296
		.amdhsa_user_sgpr_count 15
		.amdhsa_user_sgpr_dispatch_ptr 0
		.amdhsa_user_sgpr_queue_ptr 0
		.amdhsa_user_sgpr_kernarg_segment_ptr 1
		.amdhsa_user_sgpr_dispatch_id 0
		.amdhsa_user_sgpr_private_segment_size 0
		.amdhsa_wavefront_size32 1
		.amdhsa_uses_dynamic_stack 0
		.amdhsa_enable_private_segment 0
		.amdhsa_system_sgpr_workgroup_id_x 1
		.amdhsa_system_sgpr_workgroup_id_y 0
		.amdhsa_system_sgpr_workgroup_id_z 0
		.amdhsa_system_sgpr_workgroup_info 0
		.amdhsa_system_vgpr_workitem_id 0
		.amdhsa_next_free_vgpr 12
		.amdhsa_next_free_sgpr 16
		.amdhsa_reserve_vcc 1
		.amdhsa_float_round_mode_32 0
		.amdhsa_float_round_mode_16_64 0
		.amdhsa_float_denorm_mode_32 3
		.amdhsa_float_denorm_mode_16_64 3
		.amdhsa_dx10_clamp 1
		.amdhsa_ieee_mode 1
		.amdhsa_fp16_overflow 0
		.amdhsa_workgroup_processor_mode 1
		.amdhsa_memory_ordered 1
		.amdhsa_forward_progress 0
		.amdhsa_shared_vgpr_count 0
		.amdhsa_exception_fp_ieee_invalid_op 0
		.amdhsa_exception_fp_denorm_src 0
		.amdhsa_exception_fp_ieee_div_zero 0
		.amdhsa_exception_fp_ieee_overflow 0
		.amdhsa_exception_fp_ieee_underflow 0
		.amdhsa_exception_fp_ieee_inexact 0
		.amdhsa_exception_int_div_zero 0
	.end_amdhsa_kernel
	.section	.text._ZN9rocsolver6v33100L11swap_kernelI19rocblas_complex_numIfEiEEvT0_PT_S4_S6_S4_,"axG",@progbits,_ZN9rocsolver6v33100L11swap_kernelI19rocblas_complex_numIfEiEEvT0_PT_S4_S6_S4_,comdat
.Lfunc_end144:
	.size	_ZN9rocsolver6v33100L11swap_kernelI19rocblas_complex_numIfEiEEvT0_PT_S4_S6_S4_, .Lfunc_end144-_ZN9rocsolver6v33100L11swap_kernelI19rocblas_complex_numIfEiEEvT0_PT_S4_S6_S4_
                                        ; -- End function
	.section	.AMDGPU.csdata,"",@progbits
; Kernel info:
; codeLenInByte = 520
; NumSgprs: 18
; NumVgprs: 12
; ScratchSize: 0
; MemoryBound: 0
; FloatMode: 240
; IeeeMode: 1
; LDSByteSize: 0 bytes/workgroup (compile time only)
; SGPRBlocks: 2
; VGPRBlocks: 1
; NumSGPRsForWavesPerEU: 18
; NumVGPRsForWavesPerEU: 12
; Occupancy: 16
; WaveLimiterHint : 0
; COMPUTE_PGM_RSRC2:SCRATCH_EN: 0
; COMPUTE_PGM_RSRC2:USER_SGPR: 15
; COMPUTE_PGM_RSRC2:TRAP_HANDLER: 0
; COMPUTE_PGM_RSRC2:TGID_X_EN: 1
; COMPUTE_PGM_RSRC2:TGID_Y_EN: 0
; COMPUTE_PGM_RSRC2:TGID_Z_EN: 0
; COMPUTE_PGM_RSRC2:TIDIG_COMP_CNT: 0
	.section	.text._ZN9rocsolver6v33100L12steqr_kernelI19rocblas_complex_numIfEfPS3_EEviPT0_lS6_lT1_iilPiS6_iS5_S5_S5_,"axG",@progbits,_ZN9rocsolver6v33100L12steqr_kernelI19rocblas_complex_numIfEfPS3_EEviPT0_lS6_lT1_iilPiS6_iS5_S5_S5_,comdat
	.globl	_ZN9rocsolver6v33100L12steqr_kernelI19rocblas_complex_numIfEfPS3_EEviPT0_lS6_lT1_iilPiS6_iS5_S5_S5_ ; -- Begin function _ZN9rocsolver6v33100L12steqr_kernelI19rocblas_complex_numIfEfPS3_EEviPT0_lS6_lT1_iilPiS6_iS5_S5_S5_
	.p2align	8
	.type	_ZN9rocsolver6v33100L12steqr_kernelI19rocblas_complex_numIfEfPS3_EEviPT0_lS6_lT1_iilPiS6_iS5_S5_S5_,@function
_ZN9rocsolver6v33100L12steqr_kernelI19rocblas_complex_numIfEfPS3_EEviPT0_lS6_lT1_iilPiS6_iS5_S5_S5_: ; @_ZN9rocsolver6v33100L12steqr_kernelI19rocblas_complex_numIfEfPS3_EEviPT0_lS6_lT1_iilPiS6_iS5_S5_S5_
; %bb.0:
	s_clause 0x1
	s_load_b32 s2, s[0:1], 0x6c
	s_load_b32 s3, s[0:1], 0x60
	s_mov_b32 s28, s15
	s_waitcnt lgkmcnt(0)
	s_and_b32 s7, s2, 0xffff
	s_delay_alu instid0(SALU_CYCLE_1) | instskip(NEXT) | instid1(VALU_DEP_1)
	v_mad_u64_u32 v[1:2], null, s14, s7, v[0:1]
	v_cmp_eq_u32_e64 s2, 0, v1
	s_delay_alu instid0(VALU_DEP_1)
	s_and_saveexec_b32 s4, s2
	s_cbranch_execz .LBB145_2
; %bb.1:
	v_mov_b32_e32 v0, 0
	ds_store_2addr_b32 v0, v0, v0 offset0:3 offset1:7
.LBB145_2:
	s_or_b32 exec_lo, exec_lo, s4
	s_load_b256 s[16:23], s[0:1], 0x8
	v_mov_b32_e32 v0, 0
	s_load_b32 s6, s[0:1], 0x0
	s_waitcnt lgkmcnt(0)
	s_barrier
	buffer_gl0_inv
	ds_load_2addr_b32 v[2:3], v0 offset0:3 offset1:7
	s_clause 0x2
	s_load_b128 s[24:27], s[0:1], 0x50
	s_load_b256 s[8:15], s[0:1], 0x28
	s_load_b64 s[4:5], s[0:1], 0x48
	s_ashr_i32 s29, s28, 31
	s_mul_i32 s30, s3, s7
	s_mul_i32 s0, s28, s19
	s_mul_hi_u32 s1, s28, s18
	s_mul_i32 s3, s29, s18
	s_add_i32 s0, s1, s0
	s_mul_i32 s18, s28, s18
	s_add_i32 s19, s0, s3
	s_mul_i32 s7, s28, s23
	s_mul_hi_u32 s31, s28, s22
	s_mul_i32 s33, s29, s22
	s_mul_i32 s38, s28, s22
	s_lshl_b64 s[22:23], s[18:19], 2
	s_waitcnt lgkmcnt(0)
	v_cmp_gt_i32_e32 vcc_lo, s6, v2
	v_cmp_gt_i32_e64 s0, s24, v3
	s_add_u32 s18, s16, s22
	s_addc_u32 s19, s17, s23
	s_add_i32 s3, s31, s7
	s_mul_i32 s1, s28, s13
	s_add_i32 s39, s3, s33
	s_mul_hi_u32 s3, s28, s12
	v_readfirstlane_b32 s58, v2
	s_and_b32 s0, vcc_lo, s0
	s_add_i32 s1, s3, s1
	s_mul_i32 s3, s29, s12
	s_ashr_i32 s35, s10, 31
	s_mov_b32 s34, s10
	s_add_i32 s13, s1, s3
	s_mul_i32 s12, s28, s12
	s_and_not1_b32 vcc_lo, exec_lo, s0
	s_add_i32 s36, s6, -1
	s_cbranch_vccnz .LBB145_224
; %bb.3:
	s_lshl_b64 s[0:1], s[38:39], 2
	s_lshl_b32 s3, s6, 1
	s_add_u32 s10, s20, s0
	s_addc_u32 s33, s21, s1
	s_lshl_b64 s[0:1], s[12:13], 3
	s_lshl_b64 s[40:41], s[34:35], 3
	v_ashrrev_i32_e32 v2, 31, v1
	s_add_u32 s0, s0, s40
	s_addc_u32 s7, s1, s41
	s_add_u32 s70, s8, s0
	s_mul_hi_i32 s1, s3, s28
	s_mul_i32 s0, s3, s28
	s_addc_u32 s71, s9, s7
	s_lshl_b64 s[50:51], s[0:1], 2
	v_lshlrev_b64 v[2:3], 3, v[1:2]
	s_add_u32 s72, s4, s50
	s_addc_u32 s73, s5, s51
	s_ashr_i32 s7, s6, 31
	s_ashr_i32 s41, s11, 31
	s_add_u32 s42, s10, -4
	s_addc_u32 s43, s33, -1
	s_add_u32 s44, s72, -4
	s_addc_u32 s45, s73, -1
	s_add_u32 s74, s16, s22
	s_addc_u32 s75, s17, s23
	s_add_u32 s76, s74, 4
	s_addc_u32 s77, s75, 0
	s_ashr_i32 s31, s30, 31
	s_lshl_b64 s[46:47], s[6:7], 2
	s_lshl_b64 s[48:49], s[30:31], 2
	s_add_u32 s1, s50, s46
	s_addc_u32 s3, s51, s47
	s_add_u32 s1, s1, s4
	v_add_co_u32 v2, vcc_lo, s70, v2
	s_addc_u32 s3, s3, s5
	s_add_u32 s50, s1, -8
	v_add_co_ci_u32_e32 v3, vcc_lo, s71, v3, vcc_lo
	s_mov_b32 s40, s11
	s_addc_u32 s51, s3, -1
	s_add_u32 s7, s46, -4
	s_addc_u32 s78, s47, -1
	v_add_co_u32 v38, vcc_lo, v2, 4
	s_lshl_b64 s[52:53], s[40:41], 3
	s_lshl_b64 s[54:55], s[30:31], 3
	v_mul_f32_e64 v37, s25, s25
	v_cmp_gt_i32_e64 s0, s6, v1
	v_add_co_ci_u32_e32 v39, vcc_lo, 0, v3, vcc_lo
	s_sub_u32 s31, 0, s52
	s_subb_u32 s79, 0, s53
	s_mov_b32 s56, 0x667f3bcd
	s_add_u32 s80, s74, -4
	s_mov_b32 s57, 0x3ff6a09e
	s_addc_u32 s81, s75, -1
	s_mov_b32 s5, 0
                                        ; implicit-def: $vgpr6_vgpr7
                                        ; implicit-def: $vgpr8_vgpr9
                                        ; implicit-def: $vgpr10_vgpr11
                                        ; implicit-def: $vgpr2_vgpr3
                                        ; implicit-def: $vgpr40
                                        ; implicit-def: $vgpr4_vgpr5
                                        ; implicit-def: $vgpr41
                                        ; implicit-def: $vgpr12_vgpr13
                                        ; implicit-def: $vgpr14_vgpr15
	s_branch .LBB145_7
.LBB145_4:                              ;   in Loop: Header=BB145_7 Depth=1
	s_or_b32 exec_lo, exec_lo, s3
.LBB145_5:                              ;   in Loop: Header=BB145_7 Depth=1
	s_waitcnt_vscnt null, 0x0
	s_barrier
	buffer_gl0_inv
.LBB145_6:                              ;   in Loop: Header=BB145_7 Depth=1
	ds_load_2addr_b32 v[12:13], v0 offset0:3 offset1:7
	v_dual_mov_b32 v41, v17 :: v_dual_mov_b32 v14, v22
	v_mov_b32_e32 v15, v23
	s_waitcnt lgkmcnt(0)
	v_cmp_gt_i32_e32 vcc_lo, s6, v12
	v_cmp_gt_i32_e64 s1, s24, v13
	v_readfirstlane_b32 s58, v12
	v_dual_mov_b32 v12, v20 :: v_dual_mov_b32 v13, v21
	s_delay_alu instid0(VALU_DEP_3) | instskip(NEXT) | instid1(SALU_CYCLE_1)
	s_and_b32 s1, vcc_lo, s1
	s_and_not1_b32 vcc_lo, exec_lo, s1
	s_cbranch_vccnz .LBB145_224
.LBB145_7:                              ; =>This Loop Header: Depth=1
                                        ;     Child Loop BB145_15 Depth 2
                                        ;     Child Loop BB145_28 Depth 2
	;; [unrolled: 1-line block ×5, first 2 shown]
                                        ;       Child Loop BB145_61 Depth 3
                                        ;       Child Loop BB145_80 Depth 3
	;; [unrolled: 1-line block ×3, first 2 shown]
                                        ;         Child Loop BB145_127 Depth 4
                                        ;     Child Loop BB145_133 Depth 2
                                        ;       Child Loop BB145_142 Depth 3
                                        ;       Child Loop BB145_161 Depth 3
	;; [unrolled: 1-line block ×3, first 2 shown]
                                        ;         Child Loop BB145_208 Depth 4
                                        ;     Child Loop BB145_216 Depth 2
                                        ;     Child Loop BB145_223 Depth 2
	s_and_saveexec_b32 s4, s2
	s_cbranch_execz .LBB145_31
; %bb.8:                                ;   in Loop: Header=BB145_7 Depth=1
	s_cmp_lt_i32 s58, 1
	s_cbranch_scc1 .LBB145_10
; %bb.9:                                ;   in Loop: Header=BB145_7 Depth=1
	s_mov_b32 s59, s5
	s_delay_alu instid0(SALU_CYCLE_1) | instskip(NEXT) | instid1(SALU_CYCLE_1)
	s_lshl_b64 s[60:61], s[58:59], 2
	s_add_u32 s60, s42, s60
	s_addc_u32 s61, s43, s61
	global_store_b32 v0, v0, s[60:61]
.LBB145_10:                             ;   in Loop: Header=BB145_7 Depth=1
	s_mov_b32 s3, -1
	s_mov_b32 s1, 0
	s_cmp_lt_i32 s58, s36
	s_mov_b32 s82, 0
	s_cbranch_scc1 .LBB145_12
; %bb.11:                               ;   in Loop: Header=BB145_7 Depth=1
	s_ashr_i32 s59, s58, 31
	s_mov_b32 s3, 0
	s_mov_b32 s82, -1
.LBB145_12:                             ;   in Loop: Header=BB145_7 Depth=1
	s_and_not1_b32 vcc_lo, exec_lo, s3
	s_cbranch_vccnz .LBB145_17
; %bb.13:                               ;   in Loop: Header=BB145_7 Depth=1
	s_ashr_i32 s59, s58, 31
	s_delay_alu instid0(SALU_CYCLE_1)
	s_lshl_b64 s[60:61], s[58:59], 2
	s_mov_b64 s[64:65], s[58:59]
	s_add_u32 s68, s10, s60
	s_addc_u32 s69, s33, s61
	s_add_u32 s62, s76, s60
	s_addc_u32 s63, s77, s61
	s_branch .LBB145_15
.LBB145_14:                             ;   in Loop: Header=BB145_15 Depth=2
	s_and_not1_b32 vcc_lo, exec_lo, s3
	s_cbranch_vccz .LBB145_18
.LBB145_15:                             ;   Parent Loop BB145_7 Depth=1
                                        ; =>  This Inner Loop Header: Depth=2
	s_clause 0x1
	global_load_b64 v[6:7], v0, s[62:63] offset:-4
	global_load_b32 v8, v0, s[68:69]
	s_mov_b64 s[60:61], s[68:69]
	s_mov_b64 s[66:67], s[64:65]
                                        ; implicit-def: $sgpr64_sgpr65
                                        ; implicit-def: $sgpr68_sgpr69
	s_waitcnt vmcnt(1)
	v_mul_f32_e64 v9, 0x4f800000, |v6|
	v_cmp_gt_f32_e64 vcc_lo, 0xf800000, |v6|
	v_mul_f32_e64 v10, 0x4f800000, |v7|
	v_cmp_gt_f32_e64 s1, 0xf800000, |v7|
	s_delay_alu instid0(VALU_DEP_3) | instskip(NEXT) | instid1(VALU_DEP_2)
	v_cndmask_b32_e64 v6, |v6|, v9, vcc_lo
	v_cndmask_b32_e64 v7, |v7|, v10, s1
	s_delay_alu instid0(VALU_DEP_2) | instskip(NEXT) | instid1(VALU_DEP_1)
	v_sqrt_f32_e32 v9, v6
	v_sqrt_f32_e32 v10, v7
	s_waitcnt_depctr 0xfff
	v_add_nc_u32_e32 v11, -1, v9
	v_add_nc_u32_e32 v17, 1, v9
	v_add_nc_u32_e32 v16, -1, v10
	v_add_nc_u32_e32 v18, 1, v10
	s_delay_alu instid0(VALU_DEP_4) | instskip(NEXT) | instid1(VALU_DEP_4)
	v_fma_f32 v19, -v11, v9, v6
	v_fma_f32 v21, -v17, v9, v6
	s_delay_alu instid0(VALU_DEP_4) | instskip(NEXT) | instid1(VALU_DEP_4)
	v_fma_f32 v20, -v16, v10, v7
	v_fma_f32 v22, -v18, v10, v7
	s_delay_alu instid0(VALU_DEP_4) | instskip(NEXT) | instid1(VALU_DEP_1)
	v_cmp_ge_f32_e64 s3, 0, v19
	v_cndmask_b32_e64 v9, v9, v11, s3
	s_delay_alu instid0(VALU_DEP_4) | instskip(NEXT) | instid1(VALU_DEP_1)
	v_cmp_ge_f32_e64 s3, 0, v20
	v_cndmask_b32_e64 v10, v10, v16, s3
	v_cmp_lt_f32_e64 s3, 0, v21
	s_delay_alu instid0(VALU_DEP_1) | instskip(SKIP_1) | instid1(VALU_DEP_2)
	v_cndmask_b32_e64 v9, v9, v17, s3
	v_cmp_lt_f32_e64 s3, 0, v22
	v_mul_f32_e32 v11, 0x37800000, v9
	s_delay_alu instid0(VALU_DEP_1) | instskip(NEXT) | instid1(VALU_DEP_3)
	v_cndmask_b32_e32 v9, v9, v11, vcc_lo
	v_cndmask_b32_e64 v10, v10, v18, s3
	v_cmp_class_f32_e64 vcc_lo, v6, 0x260
	s_delay_alu instid0(VALU_DEP_2) | instskip(NEXT) | instid1(VALU_DEP_4)
	v_mul_f32_e32 v16, 0x37800000, v10
	v_cndmask_b32_e32 v6, v9, v6, vcc_lo
	v_cmp_class_f32_e64 vcc_lo, v7, 0x260
	s_delay_alu instid0(VALU_DEP_3) | instskip(SKIP_1) | instid1(VALU_DEP_1)
	v_cndmask_b32_e64 v10, v10, v16, s1
	s_mov_b32 s1, -1
	v_cndmask_b32_e32 v7, v10, v7, vcc_lo
	s_delay_alu instid0(VALU_DEP_1) | instskip(NEXT) | instid1(VALU_DEP_1)
	v_mul_f32_e32 v6, v6, v7
	v_mul_f32_e32 v6, s25, v6
	s_waitcnt vmcnt(0)
	s_delay_alu instid0(VALU_DEP_1) | instskip(NEXT) | instid1(VALU_DEP_1)
	v_cmp_nle_f32_e64 s3, |v8|, v6
	s_and_b32 vcc_lo, exec_lo, s3
	s_mov_b32 s3, -1
	s_cbranch_vccz .LBB145_14
; %bb.16:                               ;   in Loop: Header=BB145_15 Depth=2
	s_add_u32 s64, s66, 1
	s_addc_u32 s65, s67, 0
	s_add_u32 s68, s60, 4
	s_addc_u32 s69, s61, 0
	s_add_u32 s62, s62, 4
	s_addc_u32 s63, s63, 0
	s_cmp_ge_i32 s64, s36
	s_mov_b32 s1, 0
	s_cselect_b32 s3, -1, 0
	s_branch .LBB145_14
.LBB145_17:                             ;   in Loop: Header=BB145_7 Depth=1
	s_mov_b32 s3, s58
	s_mov_b64 s[62:63], s[58:59]
	s_and_b32 vcc_lo, exec_lo, s82
	s_cbranch_vccnz .LBB145_21
	s_branch .LBB145_22
.LBB145_18:                             ;   in Loop: Header=BB145_7 Depth=1
	s_xor_b32 s1, s1, -1
                                        ; implicit-def: $sgpr62_sgpr63
	s_delay_alu instid0(SALU_CYCLE_1)
	s_and_b32 vcc_lo, exec_lo, s1
	s_mov_b32 s1, -1
	s_cbranch_vccz .LBB145_20
; %bb.19:                               ;   in Loop: Header=BB145_7 Depth=1
	s_ashr_i32 s37, s36, 31
	s_mov_b32 s82, -1
	s_mov_b32 s1, 0
	s_mov_b64 s[62:63], s[36:37]
.LBB145_20:                             ;   in Loop: Header=BB145_7 Depth=1
	v_dual_mov_b32 v6, s66 :: v_dual_mov_b32 v7, s67
	v_dual_mov_b32 v8, s60 :: v_dual_mov_b32 v9, s61
	;; [unrolled: 1-line block ×3, first 2 shown]
	s_mov_b32 s3, s36
	s_and_b32 vcc_lo, exec_lo, s82
	s_cbranch_vccz .LBB145_22
.LBB145_21:                             ;   in Loop: Header=BB145_7 Depth=1
	v_mov_b32_e32 v16, s3
	ds_store_b32 v0, v16 offset:4
.LBB145_22:                             ;   in Loop: Header=BB145_7 Depth=1
	v_dual_mov_b32 v16, s58 :: v_dual_mov_b32 v17, s59
	v_dual_mov_b32 v18, s62 :: v_dual_mov_b32 v19, s63
	v_mov_b32_e32 v20, s3
	s_and_not1_b32 vcc_lo, exec_lo, s1
	s_cbranch_vccnz .LBB145_24
; %bb.23:                               ;   in Loop: Header=BB145_7 Depth=1
	v_dual_mov_b32 v17, v11 :: v_dual_mov_b32 v16, v10
	v_dual_mov_b32 v19, v7 :: v_dual_mov_b32 v18, v6
	v_mov_b32_e32 v20, v6
	ds_store_b32 v0, v6 offset:4
	global_store_b32 v[8:9], v0, off
.LBB145_24:                             ;   in Loop: Header=BB145_7 Depth=1
	s_delay_alu instid0(VALU_DEP_2) | instskip(SKIP_3) | instid1(VALU_DEP_3)
	v_lshlrev_b64 v[21:22], 2, v[18:19]
	v_lshlrev_b64 v[18:19], 2, v[16:17]
	v_mov_b32_e32 v23, s58
	s_mov_b32 s1, exec_lo
	v_add_co_u32 v16, vcc_lo, s18, v21
	s_delay_alu instid0(VALU_DEP_4) | instskip(NEXT) | instid1(VALU_DEP_4)
	v_add_co_ci_u32_e32 v17, vcc_lo, s19, v22, vcc_lo
	v_add_co_u32 v21, vcc_lo, s18, v18
	v_add_co_ci_u32_e32 v22, vcc_lo, s19, v19, vcc_lo
	s_clause 0x1
	global_load_b32 v16, v[16:17], off
	global_load_b32 v17, v[21:22], off
	v_dual_mov_b32 v21, s58 :: v_dual_add_nc_u32 v22, 1, v20
	ds_store_2addr_b32 v0, v21, v20 offset1:5
	ds_store_b32 v0, v20 offset:32
	ds_store_2addr_b32 v0, v22, v23 offset0:3 offset1:4
	s_waitcnt vmcnt(0)
	v_cmpx_lt_f32_e64 |v16|, |v17|
	s_cbranch_execz .LBB145_26
; %bb.25:                               ;   in Loop: Header=BB145_7 Depth=1
	v_mov_b32_e32 v17, s58
	ds_store_2addr_b32 v0, v20, v17 offset1:5
.LBB145_26:                             ;   in Loop: Header=BB145_7 Depth=1
	s_or_b32 exec_lo, exec_lo, s1
	v_and_b32_e32 v21, 0x7fffffff, v16
	s_mov_b32 s3, exec_lo
	v_cmpx_lt_i32_e64 s58, v20
	s_cbranch_execz .LBB145_30
; %bb.27:                               ;   in Loop: Header=BB145_7 Depth=1
	v_add_co_u32 v16, vcc_lo, s74, v18
	v_add_co_ci_u32_e32 v17, vcc_lo, s75, v19, vcc_lo
	v_add_co_u32 v18, vcc_lo, s10, v18
	v_add_co_ci_u32_e32 v19, vcc_lo, s33, v19, vcc_lo
	s_mov_b32 s37, 0
	.p2align	6
.LBB145_28:                             ;   Parent Loop BB145_7 Depth=1
                                        ; =>  This Inner Loop Header: Depth=2
	global_load_b32 v22, v[16:17], off
	global_load_b32 v23, v[18:19], off
	v_add_co_u32 v16, vcc_lo, v16, 4
	s_add_i32 s58, s58, 1
	v_add_co_ci_u32_e32 v17, vcc_lo, 0, v17, vcc_lo
	v_add_co_u32 v18, vcc_lo, v18, 4
	v_cmp_ge_i32_e64 s1, s58, v20
	v_add_co_ci_u32_e32 v19, vcc_lo, 0, v19, vcc_lo
	s_delay_alu instid0(VALU_DEP_2)
	s_or_b32 s37, s1, s37
	s_waitcnt vmcnt(0)
	v_max3_f32 v21, v21, |v22|, |v23|
	s_and_not1_b32 exec_lo, exec_lo, s37
	s_cbranch_execnz .LBB145_28
; %bb.29:                               ;   in Loop: Header=BB145_7 Depth=1
	s_or_b32 exec_lo, exec_lo, s37
.LBB145_30:                             ;   in Loop: Header=BB145_7 Depth=1
	s_delay_alu instid0(SALU_CYCLE_1)
	s_or_b32 exec_lo, exec_lo, s3
	ds_store_b32 v0, v21 offset:24
.LBB145_31:                             ;   in Loop: Header=BB145_7 Depth=1
	s_or_b32 exec_lo, exec_lo, s4
	s_waitcnt lgkmcnt(0)
	s_waitcnt_vscnt null, 0x0
	s_barrier
	buffer_gl0_inv
	ds_load_2addr_b32 v[16:17], v0 offset0:5 offset1:6
	ds_load_b32 v18, v0
	s_waitcnt lgkmcnt(1)
	v_cmp_eq_f32_e64 s1, 0, v17
	s_waitcnt lgkmcnt(0)
	v_cmp_eq_u32_e32 vcc_lo, v16, v18
	s_delay_alu instid0(VALU_DEP_2) | instskip(NEXT) | instid1(SALU_CYCLE_1)
	s_or_b32 s1, vcc_lo, s1
	s_and_b32 vcc_lo, exec_lo, s1
	s_cbranch_vccnz .LBB145_129
; %bb.32:                               ;   in Loop: Header=BB145_7 Depth=1
	v_cmp_nlt_f32_e32 vcc_lo, s27, v17
	s_mov_b32 s1, -1
	s_cbranch_vccz .LBB145_41
; %bb.33:                               ;   in Loop: Header=BB145_7 Depth=1
	v_cmp_ngt_f32_e32 vcc_lo, s26, v17
	s_cbranch_vccnz .LBB145_40
; %bb.34:                               ;   in Loop: Header=BB145_7 Depth=1
	v_div_scale_f32 v16, null, s26, s26, v17
	v_div_scale_f32 v21, vcc_lo, v17, s26, v17
	s_delay_alu instid0(VALU_DEP_2) | instskip(SKIP_2) | instid1(VALU_DEP_1)
	v_rcp_f32_e32 v20, v16
	s_waitcnt_depctr 0xfff
	v_fma_f32 v18, -v16, v20, 1.0
	v_fmac_f32_e32 v20, v18, v20
	ds_load_2addr_b32 v[18:19], v0 offset0:4 offset1:8
	v_mul_f32_e32 v22, v21, v20
	s_delay_alu instid0(VALU_DEP_1) | instskip(NEXT) | instid1(VALU_DEP_1)
	v_fma_f32 v23, -v16, v22, v21
	v_fmac_f32_e32 v22, v23, v20
	s_delay_alu instid0(VALU_DEP_1) | instskip(NEXT) | instid1(VALU_DEP_1)
	v_fma_f32 v16, -v16, v22, v21
	v_div_fmas_f32 v16, v16, v20, v22
	s_delay_alu instid0(VALU_DEP_1)
	v_div_fixup_f32 v16, v16, s26, v17
	s_and_saveexec_b32 s1, s2
	s_cbranch_execz .LBB145_36
; %bb.35:                               ;   in Loop: Header=BB145_7 Depth=1
	s_waitcnt lgkmcnt(0)
	v_ashrrev_i32_e32 v21, 31, v19
	v_mov_b32_e32 v20, v19
	s_delay_alu instid0(VALU_DEP_1) | instskip(NEXT) | instid1(VALU_DEP_1)
	v_lshlrev_b64 v[20:21], 2, v[20:21]
	v_add_co_u32 v20, vcc_lo, s18, v20
	s_delay_alu instid0(VALU_DEP_2)
	v_add_co_ci_u32_e32 v21, vcc_lo, s19, v21, vcc_lo
	global_load_b32 v22, v[20:21], off
	s_waitcnt vmcnt(0)
	v_mul_f32_e32 v22, v16, v22
	global_store_b32 v[20:21], v22, off
.LBB145_36:                             ;   in Loop: Header=BB145_7 Depth=1
	s_or_b32 exec_lo, exec_lo, s1
	s_waitcnt lgkmcnt(0)
	v_add_nc_u32_e32 v20, v18, v1
	s_mov_b32 s3, exec_lo
	s_delay_alu instid0(VALU_DEP_1)
	v_cmpx_lt_i32_e64 v20, v19
	s_cbranch_execz .LBB145_39
; %bb.37:                               ;   in Loop: Header=BB145_7 Depth=1
	v_ashrrev_i32_e32 v21, 31, v20
	s_mov_b32 s4, 0
	s_delay_alu instid0(VALU_DEP_1)
	v_lshlrev_b64 v[21:22], 2, v[20:21]
	.p2align	6
.LBB145_38:                             ;   Parent Loop BB145_7 Depth=1
                                        ; =>  This Inner Loop Header: Depth=2
	s_delay_alu instid0(VALU_DEP_1) | instskip(NEXT) | instid1(VALU_DEP_2)
	v_add_co_u32 v23, vcc_lo, s18, v21
	v_add_co_ci_u32_e32 v24, vcc_lo, s19, v22, vcc_lo
	v_add_co_u32 v25, vcc_lo, s10, v21
	v_add_co_ci_u32_e32 v26, vcc_lo, s33, v22, vcc_lo
	global_load_b32 v18, v[23:24], off
	v_add_nc_u32_e32 v20, s30, v20
	v_add_co_u32 v21, vcc_lo, v21, s48
	v_add_co_ci_u32_e32 v22, vcc_lo, s49, v22, vcc_lo
	s_delay_alu instid0(VALU_DEP_3) | instskip(NEXT) | instid1(VALU_DEP_1)
	v_cmp_ge_i32_e64 s1, v20, v19
	s_or_b32 s4, s1, s4
	s_waitcnt vmcnt(0)
	v_mul_f32_e32 v18, v16, v18
	global_store_b32 v[23:24], v18, off
	global_load_b32 v18, v[25:26], off
	s_waitcnt vmcnt(0)
	v_mul_f32_e32 v18, v16, v18
	global_store_b32 v[25:26], v18, off
	s_and_not1_b32 exec_lo, exec_lo, s4
	s_cbranch_execnz .LBB145_38
.LBB145_39:                             ;   in Loop: Header=BB145_7 Depth=1
	s_or_b32 exec_lo, exec_lo, s3
.LBB145_40:                             ;   in Loop: Header=BB145_7 Depth=1
	s_mov_b32 s1, 0
.LBB145_41:                             ;   in Loop: Header=BB145_7 Depth=1
	s_delay_alu instid0(SALU_CYCLE_1)
	s_and_not1_b32 vcc_lo, exec_lo, s1
	s_cbranch_vccnz .LBB145_48
; %bb.42:                               ;   in Loop: Header=BB145_7 Depth=1
	v_div_scale_f32 v16, null, s27, s27, v17
	v_div_scale_f32 v21, vcc_lo, v17, s27, v17
	s_delay_alu instid0(VALU_DEP_2) | instskip(SKIP_2) | instid1(VALU_DEP_1)
	v_rcp_f32_e32 v20, v16
	s_waitcnt_depctr 0xfff
	v_fma_f32 v18, -v16, v20, 1.0
	v_fmac_f32_e32 v20, v18, v20
	ds_load_2addr_b32 v[18:19], v0 offset0:4 offset1:8
	v_mul_f32_e32 v22, v21, v20
	s_delay_alu instid0(VALU_DEP_1) | instskip(NEXT) | instid1(VALU_DEP_1)
	v_fma_f32 v23, -v16, v22, v21
	v_fmac_f32_e32 v22, v23, v20
	s_delay_alu instid0(VALU_DEP_1) | instskip(NEXT) | instid1(VALU_DEP_1)
	v_fma_f32 v16, -v16, v22, v21
	v_div_fmas_f32 v16, v16, v20, v22
	s_delay_alu instid0(VALU_DEP_1)
	v_div_fixup_f32 v20, v16, s27, v17
	s_and_saveexec_b32 s1, s2
	s_cbranch_execz .LBB145_44
; %bb.43:                               ;   in Loop: Header=BB145_7 Depth=1
	s_waitcnt lgkmcnt(0)
	v_ashrrev_i32_e32 v17, 31, v19
	v_mov_b32_e32 v16, v19
	s_delay_alu instid0(VALU_DEP_1) | instskip(NEXT) | instid1(VALU_DEP_1)
	v_lshlrev_b64 v[16:17], 2, v[16:17]
	v_add_co_u32 v16, vcc_lo, s18, v16
	s_delay_alu instid0(VALU_DEP_2)
	v_add_co_ci_u32_e32 v17, vcc_lo, s19, v17, vcc_lo
	global_load_b32 v21, v[16:17], off
	s_waitcnt vmcnt(0)
	v_mul_f32_e32 v21, v20, v21
	global_store_b32 v[16:17], v21, off
.LBB145_44:                             ;   in Loop: Header=BB145_7 Depth=1
	s_or_b32 exec_lo, exec_lo, s1
	s_waitcnt lgkmcnt(0)
	v_add_nc_u32_e32 v16, v18, v1
	s_mov_b32 s3, exec_lo
	s_delay_alu instid0(VALU_DEP_1)
	v_cmpx_lt_i32_e64 v16, v19
	s_cbranch_execz .LBB145_47
; %bb.45:                               ;   in Loop: Header=BB145_7 Depth=1
	v_ashrrev_i32_e32 v17, 31, v16
	s_mov_b32 s4, 0
	s_delay_alu instid0(VALU_DEP_1)
	v_lshlrev_b64 v[17:18], 2, v[16:17]
	.p2align	6
.LBB145_46:                             ;   Parent Loop BB145_7 Depth=1
                                        ; =>  This Inner Loop Header: Depth=2
	s_delay_alu instid0(VALU_DEP_1) | instskip(NEXT) | instid1(VALU_DEP_2)
	v_add_co_u32 v21, vcc_lo, s18, v17
	v_add_co_ci_u32_e32 v22, vcc_lo, s19, v18, vcc_lo
	v_add_co_u32 v23, vcc_lo, s10, v17
	global_load_b32 v24, v[21:22], off
	s_waitcnt vmcnt(0)
	v_mul_f32_e32 v25, v20, v24
	v_add_co_ci_u32_e32 v24, vcc_lo, s33, v18, vcc_lo
	v_add_co_u32 v17, vcc_lo, v17, s48
	global_store_b32 v[21:22], v25, off
	global_load_b32 v21, v[23:24], off
	v_add_nc_u32_e32 v16, s30, v16
	v_add_co_ci_u32_e32 v18, vcc_lo, s49, v18, vcc_lo
	s_waitcnt vmcnt(0)
	v_mul_f32_e32 v21, v20, v21
	s_delay_alu instid0(VALU_DEP_3) | instskip(SKIP_2) | instid1(SALU_CYCLE_1)
	v_cmp_ge_i32_e64 s1, v16, v19
	global_store_b32 v[23:24], v21, off
	s_or_b32 s4, s1, s4
	s_and_not1_b32 exec_lo, exec_lo, s4
	s_cbranch_execnz .LBB145_46
.LBB145_47:                             ;   in Loop: Header=BB145_7 Depth=1
	s_or_b32 exec_lo, exec_lo, s3
.LBB145_48:                             ;   in Loop: Header=BB145_7 Depth=1
	s_waitcnt_vscnt null, 0x0
	s_barrier
	buffer_gl0_inv
	ds_load_b32 v19, v0 offset:28
	ds_load_2addr_b32 v[16:17], v0 offset1:5
	s_waitcnt lgkmcnt(1)
	v_cmp_gt_i32_e64 s1, s24, v19
	s_waitcnt lgkmcnt(0)
	v_cmp_lt_i32_e32 vcc_lo, v17, v16
	v_mov_b32_e32 v18, v17
	s_delay_alu instid0(VALU_DEP_3) | instskip(NEXT) | instid1(VALU_DEP_1)
	v_cndmask_b32_e64 v20, 0, 1, s1
	v_cmp_ne_u32_e64 s3, 1, v20
	s_cbranch_vccnz .LBB145_130
; %bb.49:                               ;   in Loop: Header=BB145_7 Depth=1
	v_dual_mov_b32 v23, v15 :: v_dual_mov_b32 v22, v14
	v_dual_mov_b32 v21, v13 :: v_dual_mov_b32 v20, v12
	;; [unrolled: 1-line block ×4, first 2 shown]
	s_and_b32 vcc_lo, exec_lo, s3
	s_cbranch_vccz .LBB145_53
.LBB145_50:                             ;   in Loop: Header=BB145_7 Depth=1
	s_cbranch_execz .LBB145_133
	s_branch .LBB145_211
.LBB145_51:                             ;   in Loop: Header=BB145_53 Depth=2
	s_or_b32 exec_lo, exec_lo, s37
	s_waitcnt_vscnt null, 0x0
	s_barrier
	buffer_gl0_inv
	ds_load_b32 v24, v0
.LBB145_52:                             ;   in Loop: Header=BB145_53 Depth=2
	ds_load_2addr_b32 v[30:31], v0 offset0:5 offset1:7
	s_waitcnt lgkmcnt(0)
	v_cmp_le_i32_e32 vcc_lo, v24, v30
	v_cmp_gt_i32_e64 s3, s24, v31
	s_delay_alu instid0(VALU_DEP_1) | instskip(NEXT) | instid1(SALU_CYCLE_1)
	s_and_b32 s3, vcc_lo, s3
	s_and_not1_b32 vcc_lo, exec_lo, s3
	s_cbranch_vccnz .LBB145_50
.LBB145_53:                             ;   Parent Loop BB145_7 Depth=1
                                        ; =>  This Loop Header: Depth=2
                                        ;       Child Loop BB145_61 Depth 3
                                        ;       Child Loop BB145_80 Depth 3
	;; [unrolled: 1-line block ×3, first 2 shown]
                                        ;         Child Loop BB145_127 Depth 4
	s_and_saveexec_b32 s37, s2
	s_cbranch_execz .LBB145_122
; %bb.54:                               ;   in Loop: Header=BB145_53 Depth=2
	v_cmp_lt_i32_e32 vcc_lo, v24, v30
	s_mov_b32 s3, 0
	s_cbranch_vccnz .LBB145_58
; %bb.55:                               ;   in Loop: Header=BB145_53 Depth=2
	v_ashrrev_i32_e32 v25, 31, v24
	s_mov_b32 s4, -1
	s_delay_alu instid0(VALU_DEP_1)
	v_mov_b32_e32 v26, v25
	v_mov_b32_e32 v25, v24
	;; [unrolled: 1-line block ×3, first 2 shown]
	s_cbranch_execz .LBB145_59
; %bb.56:                               ;   in Loop: Header=BB145_53 Depth=2
	s_and_b32 vcc_lo, exec_lo, s4
	s_cbranch_vccz .LBB145_64
.LBB145_57:                             ;   in Loop: Header=BB145_53 Depth=2
	ds_store_2addr_b32 v0, v27, v24 offset0:1 offset1:4
	s_cbranch_execz .LBB145_65
	s_branch .LBB145_66
.LBB145_58:                             ;   in Loop: Header=BB145_53 Depth=2
	s_mov_b32 s4, 0
                                        ; implicit-def: $vgpr25_vgpr26
	v_mov_b32_e32 v27, v24
.LBB145_59:                             ;   in Loop: Header=BB145_53 Depth=2
	v_ashrrev_i32_e32 v25, 31, v24
	v_mov_b32_e32 v28, v24
	s_delay_alu instid0(VALU_DEP_2) | instskip(NEXT) | instid1(VALU_DEP_1)
	v_lshlrev_b64 v[20:21], 2, v[24:25]
	v_add_co_u32 v26, vcc_lo, s10, v20
	s_delay_alu instid0(VALU_DEP_2)
	v_add_co_ci_u32_e32 v27, vcc_lo, s33, v21, vcc_lo
	v_add_co_u32 v22, vcc_lo, s74, v20
	v_add_co_ci_u32_e32 v23, vcc_lo, s75, v21, vcc_lo
	s_branch .LBB145_61
	.p2align	6
.LBB145_60:                             ;   in Loop: Header=BB145_61 Depth=3
	s_delay_alu instid0(VALU_DEP_1)
	v_add_nc_u32_e32 v28, 1, v17
	v_add_co_u32 v26, vcc_lo, v20, 4
	v_add_co_ci_u32_e32 v27, vcc_lo, 0, v21, vcc_lo
	v_add_co_u32 v22, vcc_lo, v22, 4
	v_add_co_ci_u32_e32 v23, vcc_lo, 0, v23, vcc_lo
	v_cmp_ge_i32_e64 s4, v28, v30
	s_mov_b32 s3, 0
	s_delay_alu instid0(VALU_DEP_1)
	s_and_not1_b32 vcc_lo, exec_lo, s4
	s_cbranch_vccz .LBB145_63
.LBB145_61:                             ;   Parent Loop BB145_7 Depth=1
                                        ;     Parent Loop BB145_53 Depth=2
                                        ; =>    This Inner Loop Header: Depth=3
	s_delay_alu instid0(VALU_DEP_3) | instskip(SKIP_4) | instid1(VALU_DEP_1)
	v_dual_mov_b32 v20, v26 :: v_dual_mov_b32 v21, v27
	global_load_b64 v[26:27], v[22:23], off
	global_load_b32 v17, v[20:21], off
	s_waitcnt vmcnt(0)
	v_dual_mul_f32 v26, v26, v27 :: v_dual_mul_f32 v17, v17, v17
	v_mul_f32_e64 v26, v37, |v26|
	s_delay_alu instid0(VALU_DEP_1) | instskip(SKIP_1) | instid1(VALU_DEP_2)
	v_cmp_le_f32_e64 s3, |v17|, v26
	v_mov_b32_e32 v17, v28
	s_and_b32 vcc_lo, exec_lo, s3
	s_cbranch_vccz .LBB145_60
; %bb.62:                               ;   in Loop: Header=BB145_53 Depth=2
	s_mov_b32 s3, -1
                                        ; implicit-def: $vgpr28
                                        ; implicit-def: $vgpr26_vgpr27
                                        ; implicit-def: $vgpr22_vgpr23
.LBB145_63:                             ;   in Loop: Header=BB145_53 Depth=2
	v_dual_mov_b32 v22, v24 :: v_dual_mov_b32 v23, v25
	v_dual_mov_b32 v27, v30 :: v_dual_mov_b32 v26, v25
	v_mov_b32_e32 v25, v24
	s_xor_b32 s4, s3, -1
	s_mov_b32 s3, -1
	s_and_b32 vcc_lo, exec_lo, s4
	s_cbranch_vccnz .LBB145_57
.LBB145_64:                             ;   in Loop: Header=BB145_53 Depth=2
                                        ; implicit-def: $vgpr27
                                        ; implicit-def: $vgpr25_vgpr26
	s_and_not1_b32 vcc_lo, exec_lo, s3
	s_cbranch_vccnz .LBB145_66
.LBB145_65:                             ;   in Loop: Header=BB145_53 Depth=2
	v_dual_mov_b32 v26, v23 :: v_dual_mov_b32 v25, v22
	v_mov_b32_e32 v27, v17
	ds_store_2addr_b32 v0, v17, v24 offset0:1 offset1:4
	global_store_b32 v[20:21], v0, off
.LBB145_66:                             ;   in Loop: Header=BB145_53 Depth=2
	v_lshlrev_b64 v[29:30], 2, v[25:26]
	v_add_nc_u32_e32 v28, 1, v24
	s_mov_b32 s3, exec_lo
	s_delay_alu instid0(VALU_DEP_2) | instskip(NEXT) | instid1(VALU_DEP_3)
	v_add_co_u32 v25, vcc_lo, s18, v29
	v_add_co_ci_u32_e32 v26, vcc_lo, s19, v30, vcc_lo
	global_load_b32 v36, v[25:26], off
	s_waitcnt vmcnt(0)
	ds_store_b32 v0, v36 offset:8
	v_cmpx_ne_u32_e64 v27, v24
	s_xor_b32 s66, exec_lo, s3
	s_cbranch_execz .LBB145_119
; %bb.67:                               ;   in Loop: Header=BB145_53 Depth=2
	s_mov_b32 s3, exec_lo
	v_cmpx_ne_u32_e64 v27, v28
	s_xor_b32 s4, exec_lo, s3
	s_cbranch_execz .LBB145_95
; %bb.68:                               ;   in Loop: Header=BB145_53 Depth=2
	v_add_co_u32 v29, vcc_lo, s10, v29
	v_add_co_ci_u32_e32 v30, vcc_lo, s33, v30, vcc_lo
	v_ashrrev_i32_e32 v28, 31, v27
	s_mov_b32 s67, exec_lo
	global_load_b32 v42, v[25:26], off offset:4
	global_load_b32 v44, v[29:30], off
	v_add_nc_u32_e32 v31, 1, v31
	v_lshlrev_b64 v[34:35], 2, v[27:28]
	ds_store_2addr_b32 v0, v0, v31 offset0:2 offset1:7
	v_add_co_u32 v32, vcc_lo, s18, v34
	v_add_co_ci_u32_e32 v33, vcc_lo, s19, v35, vcc_lo
	global_load_b32 v43, v[32:33], off
	s_waitcnt vmcnt(2)
	v_sub_f32_e32 v28, v42, v36
	s_waitcnt vmcnt(1)
	v_add_f32_e32 v42, v44, v44
	s_delay_alu instid0(VALU_DEP_1) | instskip(SKIP_1) | instid1(VALU_DEP_2)
	v_div_scale_f32 v45, null, v42, v42, v28
	v_div_scale_f32 v48, vcc_lo, v28, v42, v28
	v_rcp_f32_e32 v46, v45
	s_waitcnt_depctr 0xfff
	v_fma_f32 v47, -v45, v46, 1.0
	s_delay_alu instid0(VALU_DEP_1) | instskip(NEXT) | instid1(VALU_DEP_1)
	v_fmac_f32_e32 v46, v47, v46
	v_mul_f32_e32 v47, v48, v46
	s_delay_alu instid0(VALU_DEP_1) | instskip(NEXT) | instid1(VALU_DEP_1)
	v_fma_f32 v49, -v45, v47, v48
	v_fmac_f32_e32 v47, v49, v46
	s_delay_alu instid0(VALU_DEP_1) | instskip(NEXT) | instid1(VALU_DEP_1)
	v_fma_f32 v45, -v45, v47, v48
	v_div_fmas_f32 v45, v45, v46, v47
	s_delay_alu instid0(VALU_DEP_1) | instskip(NEXT) | instid1(VALU_DEP_1)
	v_div_fixup_f32 v28, v45, v42, v28
	v_fma_f32 v42, v28, v28, 1.0
	s_delay_alu instid0(VALU_DEP_1) | instskip(SKIP_1) | instid1(VALU_DEP_2)
	v_mul_f32_e32 v45, 0x4f800000, v42
	v_cmp_gt_f32_e32 vcc_lo, 0xf800000, v42
	v_cndmask_b32_e32 v42, v42, v45, vcc_lo
	s_delay_alu instid0(VALU_DEP_1) | instskip(SKIP_3) | instid1(VALU_DEP_2)
	v_sqrt_f32_e32 v45, v42
	s_waitcnt_depctr 0xfff
	v_add_nc_u32_e32 v46, -1, v45
	v_add_nc_u32_e32 v47, 1, v45
	v_fma_f32 v48, -v46, v45, v42
	s_delay_alu instid0(VALU_DEP_2) | instskip(NEXT) | instid1(VALU_DEP_2)
	v_fma_f32 v49, -v47, v45, v42
	v_cmp_ge_f32_e64 s3, 0, v48
	s_delay_alu instid0(VALU_DEP_1) | instskip(NEXT) | instid1(VALU_DEP_3)
	v_cndmask_b32_e64 v45, v45, v46, s3
	v_cmp_lt_f32_e64 s3, 0, v49
	s_delay_alu instid0(VALU_DEP_1) | instskip(NEXT) | instid1(VALU_DEP_1)
	v_cndmask_b32_e64 v45, v45, v47, s3
	v_mul_f32_e32 v46, 0x37800000, v45
	s_delay_alu instid0(VALU_DEP_1) | instskip(SKIP_1) | instid1(VALU_DEP_2)
	v_cndmask_b32_e32 v45, v45, v46, vcc_lo
	v_cmp_class_f32_e64 vcc_lo, v42, 0x260
	v_cndmask_b32_e32 v42, v45, v42, vcc_lo
	v_cmp_nle_f32_e32 vcc_lo, 0, v28
	s_delay_alu instid0(VALU_DEP_2) | instskip(NEXT) | instid1(VALU_DEP_1)
	v_cndmask_b32_e64 v42, |v42|, -|v42|, vcc_lo
	v_add_f32_e32 v28, v28, v42
	s_delay_alu instid0(VALU_DEP_1) | instskip(SKIP_1) | instid1(VALU_DEP_2)
	v_div_scale_f32 v42, null, v28, v28, v44
	v_div_scale_f32 v47, vcc_lo, v44, v28, v44
	v_rcp_f32_e32 v45, v42
	s_waitcnt_depctr 0xfff
	v_fma_f32 v46, -v42, v45, 1.0
	s_delay_alu instid0(VALU_DEP_1) | instskip(NEXT) | instid1(VALU_DEP_1)
	v_fmac_f32_e32 v45, v46, v45
	v_mul_f32_e32 v46, v47, v45
	s_delay_alu instid0(VALU_DEP_1) | instskip(NEXT) | instid1(VALU_DEP_1)
	v_fma_f32 v48, -v42, v46, v47
	v_fmac_f32_e32 v46, v48, v45
	s_delay_alu instid0(VALU_DEP_1) | instskip(NEXT) | instid1(VALU_DEP_1)
	v_fma_f32 v42, -v42, v46, v47
	v_div_fmas_f32 v42, v42, v45, v46
	s_waitcnt vmcnt(0)
	v_sub_f32_e32 v45, v43, v36
	s_delay_alu instid0(VALU_DEP_2) | instskip(SKIP_1) | instid1(VALU_DEP_2)
	v_div_fixup_f32 v28, v42, v28, v44
	v_mov_b32_e32 v42, 0
	v_add_f32_e32 v28, v45, v28
	v_cmpx_gt_i32_e64 v27, v24
	s_cbranch_execz .LBB145_94
; %bb.69:                               ;   in Loop: Header=BB145_53 Depth=2
	v_add_co_u32 v44, vcc_lo, s42, v34
	v_add_co_ci_u32_e32 v45, vcc_lo, s43, v35, vcc_lo
	v_mov_b32_e32 v36, 1.0
	s_mov_b32 s58, exec_lo
	global_load_b32 v44, v[44:45], off
	v_mov_b32_e32 v45, 0
	s_waitcnt vmcnt(0)
	v_cmpx_neq_f32_e32 0, v44
	s_cbranch_execz .LBB145_77
; %bb.70:                               ;   in Loop: Header=BB145_53 Depth=2
	v_dual_mov_b32 v45, 1.0 :: v_dual_mov_b32 v36, 0
	s_mov_b32 s59, exec_lo
	v_cmpx_neq_f32_e32 0, v28
	s_cbranch_execz .LBB145_76
; %bb.71:                               ;   in Loop: Header=BB145_53 Depth=2
	s_mov_b32 s60, exec_lo
                                        ; implicit-def: $vgpr45
                                        ; implicit-def: $vgpr36
	v_cmpx_ngt_f32_e64 |v44|, |v28|
	s_xor_b32 s60, exec_lo, s60
	s_cbranch_execz .LBB145_73
; %bb.72:                               ;   in Loop: Header=BB145_53 Depth=2
	v_div_scale_f32 v31, null, v28, v28, -v44
	v_div_scale_f32 v45, vcc_lo, -v44, v28, -v44
	s_delay_alu instid0(VALU_DEP_2) | instskip(SKIP_2) | instid1(VALU_DEP_1)
	v_rcp_f32_e32 v36, v31
	s_waitcnt_depctr 0xfff
	v_fma_f32 v42, -v31, v36, 1.0
	v_fmac_f32_e32 v36, v42, v36
	s_delay_alu instid0(VALU_DEP_1) | instskip(NEXT) | instid1(VALU_DEP_1)
	v_mul_f32_e32 v42, v45, v36
	v_fma_f32 v46, -v31, v42, v45
	s_delay_alu instid0(VALU_DEP_1) | instskip(NEXT) | instid1(VALU_DEP_1)
	v_fmac_f32_e32 v42, v46, v36
	v_fma_f32 v31, -v31, v42, v45
	s_delay_alu instid0(VALU_DEP_1) | instskip(NEXT) | instid1(VALU_DEP_1)
	v_div_fmas_f32 v31, v31, v36, v42
	v_div_fixup_f32 v28, v31, v28, -v44
	s_delay_alu instid0(VALU_DEP_1) | instskip(NEXT) | instid1(VALU_DEP_1)
	v_fma_f32 v31, v28, v28, 1.0
	v_mul_f32_e32 v36, 0x4f800000, v31
	v_cmp_gt_f32_e32 vcc_lo, 0xf800000, v31
	s_delay_alu instid0(VALU_DEP_2) | instskip(NEXT) | instid1(VALU_DEP_1)
	v_cndmask_b32_e32 v31, v31, v36, vcc_lo
	v_sqrt_f32_e32 v36, v31
	s_waitcnt_depctr 0xfff
	v_add_nc_u32_e32 v42, -1, v36
	v_add_nc_u32_e32 v45, 1, v36
	s_delay_alu instid0(VALU_DEP_2) | instskip(NEXT) | instid1(VALU_DEP_2)
	v_fma_f32 v46, -v42, v36, v31
	v_fma_f32 v47, -v45, v36, v31
	s_delay_alu instid0(VALU_DEP_2) | instskip(NEXT) | instid1(VALU_DEP_1)
	v_cmp_ge_f32_e64 s3, 0, v46
	v_cndmask_b32_e64 v36, v36, v42, s3
	s_delay_alu instid0(VALU_DEP_3) | instskip(NEXT) | instid1(VALU_DEP_1)
	v_cmp_lt_f32_e64 s3, 0, v47
	v_cndmask_b32_e64 v36, v36, v45, s3
	s_delay_alu instid0(VALU_DEP_1) | instskip(NEXT) | instid1(VALU_DEP_1)
	v_mul_f32_e32 v42, 0x37800000, v36
	v_cndmask_b32_e32 v36, v36, v42, vcc_lo
	v_cmp_class_f32_e64 vcc_lo, v31, 0x260
	s_delay_alu instid0(VALU_DEP_2) | instskip(NEXT) | instid1(VALU_DEP_1)
	v_cndmask_b32_e32 v31, v36, v31, vcc_lo
	v_div_scale_f32 v36, null, v31, v31, 1.0
	s_delay_alu instid0(VALU_DEP_1) | instskip(SKIP_2) | instid1(VALU_DEP_1)
	v_rcp_f32_e32 v42, v36
	s_waitcnt_depctr 0xfff
	v_fma_f32 v45, -v36, v42, 1.0
	v_fmac_f32_e32 v42, v45, v42
	v_div_scale_f32 v45, vcc_lo, 1.0, v31, 1.0
	s_delay_alu instid0(VALU_DEP_1) | instskip(NEXT) | instid1(VALU_DEP_1)
	v_mul_f32_e32 v46, v45, v42
	v_fma_f32 v47, -v36, v46, v45
	s_delay_alu instid0(VALU_DEP_1) | instskip(NEXT) | instid1(VALU_DEP_1)
	v_fmac_f32_e32 v46, v47, v42
	v_fma_f32 v36, -v36, v46, v45
	s_delay_alu instid0(VALU_DEP_1) | instskip(NEXT) | instid1(VALU_DEP_1)
	v_div_fmas_f32 v36, v36, v42, v46
	v_div_fixup_f32 v36, v36, v31, 1.0
	s_delay_alu instid0(VALU_DEP_1)
	v_mul_f32_e32 v45, v28, v36
                                        ; implicit-def: $vgpr28
.LBB145_73:                             ;   in Loop: Header=BB145_53 Depth=2
	s_and_not1_saveexec_b32 s60, s60
	s_cbranch_execz .LBB145_75
; %bb.74:                               ;   in Loop: Header=BB145_53 Depth=2
	v_div_scale_f32 v31, null, v44, v44, -v28
	v_div_scale_f32 v45, vcc_lo, -v28, v44, -v28
	s_delay_alu instid0(VALU_DEP_2) | instskip(SKIP_2) | instid1(VALU_DEP_1)
	v_rcp_f32_e32 v36, v31
	s_waitcnt_depctr 0xfff
	v_fma_f32 v42, -v31, v36, 1.0
	v_fmac_f32_e32 v36, v42, v36
	s_delay_alu instid0(VALU_DEP_1) | instskip(NEXT) | instid1(VALU_DEP_1)
	v_mul_f32_e32 v42, v45, v36
	v_fma_f32 v46, -v31, v42, v45
	s_delay_alu instid0(VALU_DEP_1) | instskip(NEXT) | instid1(VALU_DEP_1)
	v_fmac_f32_e32 v42, v46, v36
	v_fma_f32 v31, -v31, v42, v45
	s_delay_alu instid0(VALU_DEP_1) | instskip(NEXT) | instid1(VALU_DEP_1)
	v_div_fmas_f32 v31, v31, v36, v42
	v_div_fixup_f32 v28, v31, v44, -v28
	s_delay_alu instid0(VALU_DEP_1) | instskip(NEXT) | instid1(VALU_DEP_1)
	v_fma_f32 v31, v28, v28, 1.0
	v_mul_f32_e32 v36, 0x4f800000, v31
	v_cmp_gt_f32_e32 vcc_lo, 0xf800000, v31
	s_delay_alu instid0(VALU_DEP_2) | instskip(NEXT) | instid1(VALU_DEP_1)
	v_cndmask_b32_e32 v31, v31, v36, vcc_lo
	v_sqrt_f32_e32 v36, v31
	s_waitcnt_depctr 0xfff
	v_add_nc_u32_e32 v42, -1, v36
	v_add_nc_u32_e32 v45, 1, v36
	s_delay_alu instid0(VALU_DEP_2) | instskip(NEXT) | instid1(VALU_DEP_2)
	v_fma_f32 v46, -v42, v36, v31
	v_fma_f32 v47, -v45, v36, v31
	s_delay_alu instid0(VALU_DEP_2) | instskip(NEXT) | instid1(VALU_DEP_1)
	v_cmp_ge_f32_e64 s3, 0, v46
	v_cndmask_b32_e64 v36, v36, v42, s3
	s_delay_alu instid0(VALU_DEP_3) | instskip(NEXT) | instid1(VALU_DEP_1)
	v_cmp_lt_f32_e64 s3, 0, v47
	v_cndmask_b32_e64 v36, v36, v45, s3
	s_delay_alu instid0(VALU_DEP_1) | instskip(NEXT) | instid1(VALU_DEP_1)
	v_mul_f32_e32 v42, 0x37800000, v36
	v_cndmask_b32_e32 v36, v36, v42, vcc_lo
	v_cmp_class_f32_e64 vcc_lo, v31, 0x260
	s_delay_alu instid0(VALU_DEP_2) | instskip(NEXT) | instid1(VALU_DEP_1)
	v_cndmask_b32_e32 v31, v36, v31, vcc_lo
	v_div_scale_f32 v36, null, v31, v31, 1.0
	s_delay_alu instid0(VALU_DEP_1) | instskip(SKIP_2) | instid1(VALU_DEP_1)
	v_rcp_f32_e32 v42, v36
	s_waitcnt_depctr 0xfff
	v_fma_f32 v45, -v36, v42, 1.0
	v_fmac_f32_e32 v42, v45, v42
	v_div_scale_f32 v45, vcc_lo, 1.0, v31, 1.0
	s_delay_alu instid0(VALU_DEP_1) | instskip(NEXT) | instid1(VALU_DEP_1)
	v_mul_f32_e32 v46, v45, v42
	v_fma_f32 v47, -v36, v46, v45
	s_delay_alu instid0(VALU_DEP_1) | instskip(NEXT) | instid1(VALU_DEP_1)
	v_fmac_f32_e32 v46, v47, v42
	v_fma_f32 v36, -v36, v46, v45
	s_delay_alu instid0(VALU_DEP_1) | instskip(NEXT) | instid1(VALU_DEP_1)
	v_div_fmas_f32 v36, v36, v42, v46
	v_div_fixup_f32 v45, v36, v31, 1.0
	s_delay_alu instid0(VALU_DEP_1)
	v_mul_f32_e32 v36, v28, v45
.LBB145_75:                             ;   in Loop: Header=BB145_53 Depth=2
	s_or_b32 exec_lo, exec_lo, s60
.LBB145_76:                             ;   in Loop: Header=BB145_53 Depth=2
	s_delay_alu instid0(SALU_CYCLE_1)
	s_or_b32 exec_lo, exec_lo, s59
.LBB145_77:                             ;   in Loop: Header=BB145_53 Depth=2
	s_delay_alu instid0(SALU_CYCLE_1)
	s_or_b32 exec_lo, exec_lo, s58
	global_load_b32 v28, v[32:33], off offset:-4
	v_dual_add_f32 v42, v36, v36 :: v_dual_add_nc_u32 v31, -1, v27
	v_add_co_u32 v34, vcc_lo, s44, v34
	v_add_co_ci_u32_e32 v35, vcc_lo, s45, v35, vcc_lo
	s_mov_b32 s68, exec_lo
	s_delay_alu instid0(VALU_DEP_2) | instskip(NEXT) | instid1(VALU_DEP_2)
	v_add_co_u32 v46, vcc_lo, v34, s46
	v_add_co_ci_u32_e32 v47, vcc_lo, s47, v35, vcc_lo
	s_waitcnt vmcnt(0)
	v_sub_f32_e32 v28, v28, v43
	s_delay_alu instid0(VALU_DEP_1) | instskip(NEXT) | instid1(VALU_DEP_1)
	v_mul_f32_e32 v28, v45, v28
	v_fma_f32 v28, v44, v42, -v28
	s_delay_alu instid0(VALU_DEP_1)
	v_mul_f32_e64 v42, v28, -v45
	v_fma_f32 v43, v28, -v45, v43
	v_fma_f32 v28, v36, v28, -v44
	ds_store_b32 v0, v42 offset:8
	global_store_b32 v[32:33], v43, off
	s_clause 0x1
	global_store_b32 v[34:35], v36, off
	global_store_b32 v[46:47], v45, off offset:-4
	v_cmpx_gt_i32_e64 v31, v24
	s_cbranch_execz .LBB145_93
; %bb.78:                               ;   in Loop: Header=BB145_53 Depth=2
	v_ashrrev_i32_e32 v32, 31, v31
	v_xor_b32_e32 v43, 0x80000000, v45
	s_mov_b32 s69, -1
	s_mov_b32 s82, 0
	s_mov_b64 s[58:59], s[42:43]
	v_lshlrev_b64 v[31:32], 2, v[31:32]
	s_mov_b64 s[60:61], s[18:19]
	s_mov_b64 s[62:63], s[50:51]
	;; [unrolled: 1-line block ×3, first 2 shown]
	s_branch .LBB145_80
.LBB145_79:                             ;   in Loop: Header=BB145_80 Depth=3
	v_add_co_u32 v33, vcc_lo, s60, v31
	v_add_co_ci_u32_e32 v34, vcc_lo, s61, v32, vcc_lo
	v_dual_mul_f32 v28, v36, v35 :: v_dual_add_f32 v35, v45, v45
	v_xor_b32_e32 v43, 0x80000000, v44
	global_load_b64 v[46:47], v[33:34], off offset:-4
	s_waitcnt vmcnt(0)
	v_sub_f32_e32 v42, v47, v42
	v_add_co_u32 v47, vcc_lo, s64, v31
	v_add_co_ci_u32_e32 v48, vcc_lo, s65, v32, vcc_lo
	s_add_u32 s64, s64, -4
	v_add_co_u32 v49, vcc_lo, s62, v31
	s_addc_u32 s65, s65, -1
	s_add_u32 s62, s62, -4
	v_add_co_ci_u32_e32 v50, vcc_lo, s63, v32, vcc_lo
	s_addc_u32 s63, s63, -1
	s_add_i32 s69, s69, -1
	s_add_u32 s60, s60, -4
	v_dual_sub_f32 v36, v46, v42 :: v_dual_add_nc_u32 v51, s69, v27
	s_addc_u32 s61, s61, -1
	s_add_u32 s58, s58, -4
	s_addc_u32 s59, s59, -1
	s_delay_alu instid0(VALU_DEP_1) | instskip(SKIP_3) | instid1(VALU_DEP_2)
	v_cmp_le_i32_e32 vcc_lo, v51, v24
	v_mul_f32_e32 v46, v44, v36
	v_mov_b32_e32 v36, v45
	s_or_b32 s82, vcc_lo, s82
	v_fma_f32 v35, v28, v35, -v46
	s_delay_alu instid0(VALU_DEP_1)
	v_fma_f32 v46, v35, -v44, v42
	v_mul_f32_e64 v42, v35, -v44
	v_fma_f32 v28, v45, v35, -v28
	global_store_b32 v[33:34], v46, off
	global_store_b32 v[47:48], v45, off
	;; [unrolled: 1-line block ×3, first 2 shown]
	s_and_not1_b32 exec_lo, exec_lo, s82
	s_cbranch_execz .LBB145_92
.LBB145_80:                             ;   Parent Loop BB145_7 Depth=1
                                        ;     Parent Loop BB145_53 Depth=2
                                        ; =>    This Inner Loop Header: Depth=3
	s_delay_alu instid0(VALU_DEP_1)
	v_add_co_u32 v33, vcc_lo, s58, v31
	v_add_co_ci_u32_e32 v34, vcc_lo, s59, v32, vcc_lo
	v_mov_b32_e32 v45, 1.0
	s_mov_b32 s83, exec_lo
	v_mov_b32_e32 v44, 0
	global_load_b32 v35, v[33:34], off
	s_waitcnt vmcnt(0)
	v_mul_f32_e32 v43, v43, v35
	s_delay_alu instid0(VALU_DEP_1)
	v_cmpx_neq_f32_e32 0, v43
	s_cbranch_execz .LBB145_90
; %bb.81:                               ;   in Loop: Header=BB145_80 Depth=3
                                        ; implicit-def: $vgpr44
                                        ; implicit-def: $vgpr45
	s_mov_b32 s3, exec_lo
	v_cmpx_neq_f32_e32 0, v28
	s_xor_b32 s84, exec_lo, s3
	s_cbranch_execz .LBB145_87
; %bb.82:                               ;   in Loop: Header=BB145_80 Depth=3
	s_mov_b32 s85, exec_lo
                                        ; implicit-def: $vgpr44
                                        ; implicit-def: $vgpr45
	v_cmpx_ngt_f32_e64 |v43|, |v28|
	s_xor_b32 s85, exec_lo, s85
	s_cbranch_execz .LBB145_84
; %bb.83:                               ;   in Loop: Header=BB145_80 Depth=3
	v_div_scale_f32 v44, null, v28, v28, -v43
	v_div_scale_f32 v47, vcc_lo, -v43, v28, -v43
	s_delay_alu instid0(VALU_DEP_2) | instskip(SKIP_2) | instid1(VALU_DEP_1)
	v_rcp_f32_e32 v45, v44
	s_waitcnt_depctr 0xfff
	v_fma_f32 v46, -v44, v45, 1.0
	v_fmac_f32_e32 v45, v46, v45
	s_delay_alu instid0(VALU_DEP_1) | instskip(NEXT) | instid1(VALU_DEP_1)
	v_mul_f32_e32 v46, v47, v45
	v_fma_f32 v48, -v44, v46, v47
	s_delay_alu instid0(VALU_DEP_1) | instskip(NEXT) | instid1(VALU_DEP_1)
	v_fmac_f32_e32 v46, v48, v45
	v_fma_f32 v44, -v44, v46, v47
	s_delay_alu instid0(VALU_DEP_1) | instskip(NEXT) | instid1(VALU_DEP_1)
	v_div_fmas_f32 v44, v44, v45, v46
	v_div_fixup_f32 v44, v44, v28, -v43
	s_delay_alu instid0(VALU_DEP_1) | instskip(NEXT) | instid1(VALU_DEP_1)
	v_fma_f32 v45, v44, v44, 1.0
	v_mul_f32_e32 v46, 0x4f800000, v45
	v_cmp_gt_f32_e32 vcc_lo, 0xf800000, v45
	s_delay_alu instid0(VALU_DEP_2) | instskip(NEXT) | instid1(VALU_DEP_1)
	v_cndmask_b32_e32 v45, v45, v46, vcc_lo
	v_sqrt_f32_e32 v46, v45
	s_waitcnt_depctr 0xfff
	v_add_nc_u32_e32 v47, -1, v46
	v_add_nc_u32_e32 v48, 1, v46
	s_delay_alu instid0(VALU_DEP_2) | instskip(NEXT) | instid1(VALU_DEP_2)
	v_fma_f32 v49, -v47, v46, v45
	v_fma_f32 v50, -v48, v46, v45
	s_delay_alu instid0(VALU_DEP_2) | instskip(NEXT) | instid1(VALU_DEP_1)
	v_cmp_ge_f32_e64 s3, 0, v49
	v_cndmask_b32_e64 v46, v46, v47, s3
	s_delay_alu instid0(VALU_DEP_3) | instskip(NEXT) | instid1(VALU_DEP_1)
	v_cmp_lt_f32_e64 s3, 0, v50
	v_cndmask_b32_e64 v46, v46, v48, s3
	s_delay_alu instid0(VALU_DEP_1) | instskip(NEXT) | instid1(VALU_DEP_1)
	v_mul_f32_e32 v47, 0x37800000, v46
	v_cndmask_b32_e32 v46, v46, v47, vcc_lo
	v_cmp_class_f32_e64 vcc_lo, v45, 0x260
	s_delay_alu instid0(VALU_DEP_2) | instskip(NEXT) | instid1(VALU_DEP_1)
	v_cndmask_b32_e32 v45, v46, v45, vcc_lo
	v_div_scale_f32 v46, null, v45, v45, 1.0
	s_delay_alu instid0(VALU_DEP_1) | instskip(SKIP_2) | instid1(VALU_DEP_1)
	v_rcp_f32_e32 v47, v46
	s_waitcnt_depctr 0xfff
	v_fma_f32 v48, -v46, v47, 1.0
	v_fmac_f32_e32 v47, v48, v47
	v_div_scale_f32 v48, vcc_lo, 1.0, v45, 1.0
	s_delay_alu instid0(VALU_DEP_1) | instskip(NEXT) | instid1(VALU_DEP_1)
	v_mul_f32_e32 v49, v48, v47
	v_fma_f32 v50, -v46, v49, v48
	s_delay_alu instid0(VALU_DEP_1) | instskip(NEXT) | instid1(VALU_DEP_1)
	v_fmac_f32_e32 v49, v50, v47
	v_fma_f32 v46, -v46, v49, v48
	s_delay_alu instid0(VALU_DEP_1) | instskip(NEXT) | instid1(VALU_DEP_1)
	v_div_fmas_f32 v46, v46, v47, v49
	v_div_fixup_f32 v45, v46, v45, 1.0
	s_delay_alu instid0(VALU_DEP_1)
	v_mul_f32_e32 v44, v44, v45
.LBB145_84:                             ;   in Loop: Header=BB145_80 Depth=3
	s_and_not1_saveexec_b32 s85, s85
	s_cbranch_execz .LBB145_86
; %bb.85:                               ;   in Loop: Header=BB145_80 Depth=3
	v_div_scale_f32 v44, null, v43, v43, -v28
	v_div_scale_f32 v47, vcc_lo, -v28, v43, -v28
	s_delay_alu instid0(VALU_DEP_2) | instskip(SKIP_2) | instid1(VALU_DEP_1)
	v_rcp_f32_e32 v45, v44
	s_waitcnt_depctr 0xfff
	v_fma_f32 v46, -v44, v45, 1.0
	v_fmac_f32_e32 v45, v46, v45
	s_delay_alu instid0(VALU_DEP_1) | instskip(NEXT) | instid1(VALU_DEP_1)
	v_mul_f32_e32 v46, v47, v45
	v_fma_f32 v48, -v44, v46, v47
	s_delay_alu instid0(VALU_DEP_1) | instskip(NEXT) | instid1(VALU_DEP_1)
	v_fmac_f32_e32 v46, v48, v45
	v_fma_f32 v44, -v44, v46, v47
	s_delay_alu instid0(VALU_DEP_1) | instskip(NEXT) | instid1(VALU_DEP_1)
	v_div_fmas_f32 v44, v44, v45, v46
	v_div_fixup_f32 v45, v44, v43, -v28
	s_delay_alu instid0(VALU_DEP_1) | instskip(NEXT) | instid1(VALU_DEP_1)
	v_fma_f32 v44, v45, v45, 1.0
	v_mul_f32_e32 v46, 0x4f800000, v44
	v_cmp_gt_f32_e32 vcc_lo, 0xf800000, v44
	s_delay_alu instid0(VALU_DEP_2) | instskip(NEXT) | instid1(VALU_DEP_1)
	v_cndmask_b32_e32 v44, v44, v46, vcc_lo
	v_sqrt_f32_e32 v46, v44
	s_waitcnt_depctr 0xfff
	v_add_nc_u32_e32 v47, -1, v46
	v_add_nc_u32_e32 v48, 1, v46
	s_delay_alu instid0(VALU_DEP_2) | instskip(NEXT) | instid1(VALU_DEP_2)
	v_fma_f32 v49, -v47, v46, v44
	v_fma_f32 v50, -v48, v46, v44
	s_delay_alu instid0(VALU_DEP_2) | instskip(NEXT) | instid1(VALU_DEP_1)
	v_cmp_ge_f32_e64 s3, 0, v49
	v_cndmask_b32_e64 v46, v46, v47, s3
	s_delay_alu instid0(VALU_DEP_3) | instskip(NEXT) | instid1(VALU_DEP_1)
	v_cmp_lt_f32_e64 s3, 0, v50
	v_cndmask_b32_e64 v46, v46, v48, s3
	s_delay_alu instid0(VALU_DEP_1) | instskip(NEXT) | instid1(VALU_DEP_1)
	v_mul_f32_e32 v47, 0x37800000, v46
	v_cndmask_b32_e32 v46, v46, v47, vcc_lo
	v_cmp_class_f32_e64 vcc_lo, v44, 0x260
	s_delay_alu instid0(VALU_DEP_2) | instskip(NEXT) | instid1(VALU_DEP_1)
	v_cndmask_b32_e32 v44, v46, v44, vcc_lo
	v_div_scale_f32 v46, null, v44, v44, 1.0
	s_delay_alu instid0(VALU_DEP_1) | instskip(SKIP_2) | instid1(VALU_DEP_1)
	v_rcp_f32_e32 v47, v46
	s_waitcnt_depctr 0xfff
	v_fma_f32 v48, -v46, v47, 1.0
	v_fmac_f32_e32 v47, v48, v47
	v_div_scale_f32 v48, vcc_lo, 1.0, v44, 1.0
	s_delay_alu instid0(VALU_DEP_1) | instskip(NEXT) | instid1(VALU_DEP_1)
	v_mul_f32_e32 v49, v48, v47
	v_fma_f32 v50, -v46, v49, v48
	s_delay_alu instid0(VALU_DEP_1) | instskip(NEXT) | instid1(VALU_DEP_1)
	v_fmac_f32_e32 v49, v50, v47
	v_fma_f32 v46, -v46, v49, v48
	s_delay_alu instid0(VALU_DEP_1) | instskip(NEXT) | instid1(VALU_DEP_1)
	v_div_fmas_f32 v46, v46, v47, v49
	v_div_fixup_f32 v44, v46, v44, 1.0
	s_delay_alu instid0(VALU_DEP_1)
	v_mul_f32_e32 v45, v45, v44
.LBB145_86:                             ;   in Loop: Header=BB145_80 Depth=3
	s_or_b32 exec_lo, exec_lo, s85
	s_delay_alu instid0(VALU_DEP_1) | instskip(NEXT) | instid1(VALU_DEP_1)
	v_mul_f32_e32 v43, v43, v44
	v_fma_f32 v28, v28, v45, -v43
                                        ; implicit-def: $vgpr43
.LBB145_87:                             ;   in Loop: Header=BB145_80 Depth=3
	s_and_not1_saveexec_b32 s3, s84
; %bb.88:                               ;   in Loop: Header=BB145_80 Depth=3
	v_xor_b32_e32 v28, 0x80000000, v43
	v_dual_mov_b32 v44, 1.0 :: v_dual_mov_b32 v45, 0
; %bb.89:                               ;   in Loop: Header=BB145_80 Depth=3
	s_or_b32 exec_lo, exec_lo, s3
.LBB145_90:                             ;   in Loop: Header=BB145_80 Depth=3
	s_delay_alu instid0(SALU_CYCLE_1)
	s_or_b32 exec_lo, exec_lo, s83
	s_cmp_eq_u32 s69, 0
	s_cbranch_scc1 .LBB145_79
; %bb.91:                               ;   in Loop: Header=BB145_80 Depth=3
	global_store_b32 v[33:34], v28, off offset:4
	s_branch .LBB145_79
.LBB145_92:                             ;   in Loop: Header=BB145_53 Depth=2
	s_or_b32 exec_lo, exec_lo, s82
	ds_store_b32 v0, v42 offset:8
.LBB145_93:                             ;   in Loop: Header=BB145_53 Depth=2
	s_or_b32 exec_lo, exec_lo, s68
	global_load_b32 v36, v[25:26], off
.LBB145_94:                             ;   in Loop: Header=BB145_53 Depth=2
	s_or_b32 exec_lo, exec_lo, s67
	s_waitcnt vmcnt(0)
	v_sub_f32_e32 v24, v36, v42
                                        ; implicit-def: $vgpr36
	global_store_b32 v[25:26], v24, off
	global_store_b32 v[29:30], v28, off
                                        ; implicit-def: $vgpr29_vgpr30
                                        ; implicit-def: $vgpr25_vgpr26
                                        ; implicit-def: $vgpr24
.LBB145_95:                             ;   in Loop: Header=BB145_53 Depth=2
	s_and_not1_saveexec_b32 s58, s4
	s_cbranch_execz .LBB145_128
; %bb.96:                               ;   in Loop: Header=BB145_53 Depth=2
	v_add_co_u32 v27, vcc_lo, s10, v29
	v_add_co_ci_u32_e32 v28, vcc_lo, s33, v30, vcc_lo
	s_mov_b32 s4, exec_lo
                                        ; implicit-def: $vgpr35
	global_load_b32 v42, v[27:28], off
	global_load_b32 v31, v[25:26], off offset:4
	s_waitcnt vmcnt(0)
	v_dual_add_f32 v33, v42, v42 :: v_dual_sub_f32 v34, v36, v31
	s_delay_alu instid0(VALU_DEP_1) | instskip(NEXT) | instid1(VALU_DEP_2)
	v_and_b32_e32 v32, 0x7fffffff, v33
	v_cmpx_ngt_f32_e64 |v34|, |v33|
	s_xor_b32 s4, exec_lo, s4
	s_cbranch_execz .LBB145_102
; %bb.97:                               ;   in Loop: Header=BB145_53 Depth=2
	v_cmp_nlt_f32_e64 s3, |v34|, |v33|
                                        ; implicit-def: $vgpr35
	s_delay_alu instid0(VALU_DEP_1) | instskip(NEXT) | instid1(SALU_CYCLE_1)
	s_and_saveexec_b32 s59, s3
	s_xor_b32 s3, exec_lo, s59
; %bb.98:                               ;   in Loop: Header=BB145_53 Depth=2
	v_cvt_f64_f32_e32 v[43:44], v32
                                        ; implicit-def: $vgpr32
	s_delay_alu instid0(VALU_DEP_1) | instskip(NEXT) | instid1(VALU_DEP_1)
	v_mul_f64 v[43:44], v[43:44], s[56:57]
	v_cvt_f32_f64_e32 v35, v[43:44]
; %bb.99:                               ;   in Loop: Header=BB145_53 Depth=2
	s_and_not1_saveexec_b32 s59, s3
	s_cbranch_execz .LBB145_101
; %bb.100:                              ;   in Loop: Header=BB145_53 Depth=2
	v_and_b32_e32 v35, 0x7fffffff, v34
	s_delay_alu instid0(VALU_DEP_1) | instskip(NEXT) | instid1(VALU_DEP_1)
	v_div_scale_f32 v43, null, v32, v32, v35
	v_rcp_f32_e32 v44, v43
	s_waitcnt_depctr 0xfff
	v_fma_f32 v45, -v43, v44, 1.0
	s_delay_alu instid0(VALU_DEP_1) | instskip(SKIP_1) | instid1(VALU_DEP_1)
	v_fmac_f32_e32 v44, v45, v44
	v_div_scale_f32 v32, vcc_lo, v35, v32, v35
	v_mul_f32_e32 v35, v32, v44
	s_delay_alu instid0(VALU_DEP_1) | instskip(NEXT) | instid1(VALU_DEP_1)
	v_fma_f32 v45, -v43, v35, v32
	v_fmac_f32_e32 v35, v45, v44
	s_delay_alu instid0(VALU_DEP_1) | instskip(NEXT) | instid1(VALU_DEP_1)
	v_fma_f32 v32, -v43, v35, v32
	v_div_fmas_f32 v32, v32, v44, v35
	s_delay_alu instid0(VALU_DEP_1) | instskip(NEXT) | instid1(VALU_DEP_1)
	v_div_fixup_f32 v32, v32, |v33|, |v34|
	v_fma_f32 v32, v32, v32, 1.0
	s_delay_alu instid0(VALU_DEP_1) | instskip(SKIP_1) | instid1(VALU_DEP_2)
	v_mul_f32_e32 v35, 0x4f800000, v32
	v_cmp_gt_f32_e32 vcc_lo, 0xf800000, v32
	v_cndmask_b32_e32 v32, v32, v35, vcc_lo
	s_delay_alu instid0(VALU_DEP_1) | instskip(SKIP_3) | instid1(VALU_DEP_2)
	v_sqrt_f32_e32 v35, v32
	s_waitcnt_depctr 0xfff
	v_add_nc_u32_e32 v43, -1, v35
	v_add_nc_u32_e32 v44, 1, v35
	v_fma_f32 v45, -v43, v35, v32
	s_delay_alu instid0(VALU_DEP_2) | instskip(NEXT) | instid1(VALU_DEP_2)
	v_fma_f32 v46, -v44, v35, v32
	v_cmp_ge_f32_e64 s3, 0, v45
	s_delay_alu instid0(VALU_DEP_1) | instskip(NEXT) | instid1(VALU_DEP_3)
	v_cndmask_b32_e64 v35, v35, v43, s3
	v_cmp_lt_f32_e64 s3, 0, v46
	s_delay_alu instid0(VALU_DEP_1) | instskip(NEXT) | instid1(VALU_DEP_1)
	v_cndmask_b32_e64 v35, v35, v44, s3
	v_mul_f32_e32 v43, 0x37800000, v35
	s_delay_alu instid0(VALU_DEP_1) | instskip(SKIP_1) | instid1(VALU_DEP_2)
	v_cndmask_b32_e32 v35, v35, v43, vcc_lo
	v_cmp_class_f32_e64 vcc_lo, v32, 0x260
	v_cndmask_b32_e32 v32, v35, v32, vcc_lo
	s_delay_alu instid0(VALU_DEP_1)
	v_mul_f32_e64 v35, |v33|, v32
.LBB145_101:                            ;   in Loop: Header=BB145_53 Depth=2
	s_or_b32 exec_lo, exec_lo, s59
                                        ; implicit-def: $vgpr32
.LBB145_102:                            ;   in Loop: Header=BB145_53 Depth=2
	s_and_not1_saveexec_b32 s4, s4
	s_cbranch_execz .LBB145_104
; %bb.103:                              ;   in Loop: Header=BB145_53 Depth=2
	v_and_b32_e32 v35, 0x7fffffff, v34
	s_delay_alu instid0(VALU_DEP_1) | instskip(NEXT) | instid1(VALU_DEP_1)
	v_div_scale_f32 v43, null, v35, v35, v32
	v_rcp_f32_e32 v44, v43
	s_waitcnt_depctr 0xfff
	v_fma_f32 v45, -v43, v44, 1.0
	s_delay_alu instid0(VALU_DEP_1) | instskip(SKIP_1) | instid1(VALU_DEP_1)
	v_fmac_f32_e32 v44, v45, v44
	v_div_scale_f32 v32, vcc_lo, v32, v35, v32
	v_mul_f32_e32 v35, v32, v44
	s_delay_alu instid0(VALU_DEP_1) | instskip(NEXT) | instid1(VALU_DEP_1)
	v_fma_f32 v45, -v43, v35, v32
	v_fmac_f32_e32 v35, v45, v44
	s_delay_alu instid0(VALU_DEP_1) | instskip(NEXT) | instid1(VALU_DEP_1)
	v_fma_f32 v32, -v43, v35, v32
	v_div_fmas_f32 v32, v32, v44, v35
	s_delay_alu instid0(VALU_DEP_1) | instskip(NEXT) | instid1(VALU_DEP_1)
	v_div_fixup_f32 v32, v32, |v34|, |v33|
	v_fma_f32 v32, v32, v32, 1.0
	s_delay_alu instid0(VALU_DEP_1) | instskip(SKIP_1) | instid1(VALU_DEP_2)
	v_mul_f32_e32 v35, 0x4f800000, v32
	v_cmp_gt_f32_e32 vcc_lo, 0xf800000, v32
	v_cndmask_b32_e32 v32, v32, v35, vcc_lo
	s_delay_alu instid0(VALU_DEP_1) | instskip(SKIP_3) | instid1(VALU_DEP_2)
	v_sqrt_f32_e32 v35, v32
	s_waitcnt_depctr 0xfff
	v_add_nc_u32_e32 v43, -1, v35
	v_add_nc_u32_e32 v44, 1, v35
	v_fma_f32 v45, -v43, v35, v32
	s_delay_alu instid0(VALU_DEP_2) | instskip(NEXT) | instid1(VALU_DEP_2)
	v_fma_f32 v46, -v44, v35, v32
	v_cmp_ge_f32_e64 s3, 0, v45
	s_delay_alu instid0(VALU_DEP_1) | instskip(NEXT) | instid1(VALU_DEP_3)
	v_cndmask_b32_e64 v35, v35, v43, s3
	v_cmp_lt_f32_e64 s3, 0, v46
	s_delay_alu instid0(VALU_DEP_1) | instskip(NEXT) | instid1(VALU_DEP_1)
	v_cndmask_b32_e64 v35, v35, v44, s3
	v_mul_f32_e32 v43, 0x37800000, v35
	s_delay_alu instid0(VALU_DEP_1) | instskip(SKIP_1) | instid1(VALU_DEP_2)
	v_cndmask_b32_e32 v35, v35, v43, vcc_lo
	v_cmp_class_f32_e64 vcc_lo, v32, 0x260
	v_cndmask_b32_e32 v32, v35, v32, vcc_lo
	s_delay_alu instid0(VALU_DEP_1)
	v_mul_f32_e64 v35, |v34|, v32
.LBB145_104:                            ;   in Loop: Header=BB145_53 Depth=2
	s_or_b32 exec_lo, exec_lo, s4
	v_cmp_gt_f32_e64 vcc_lo, |v36|, |v31|
	v_add_f32_e32 v44, v36, v31
                                        ; implicit-def: $vgpr32
	s_mov_b32 s3, exec_lo
	v_cndmask_b32_e32 v45, v31, v36, vcc_lo
	v_cndmask_b32_e32 v43, v36, v31, vcc_lo
                                        ; implicit-def: $vgpr36
	s_delay_alu instid0(VALU_DEP_3)
	v_cmpx_ngt_f32_e32 0, v44
	s_xor_b32 s4, exec_lo, s3
	s_cbranch_execz .LBB145_110
; %bb.105:                              ;   in Loop: Header=BB145_53 Depth=2
	s_mov_b32 s59, exec_lo
                                        ; implicit-def: $sgpr3
                                        ; implicit-def: $vgpr32
	v_cmpx_nlt_f32_e32 0, v44
	s_xor_b32 s59, exec_lo, s59
; %bb.106:                              ;   in Loop: Header=BB145_53 Depth=2
	v_mul_f32_e32 v31, 0.5, v35
	v_mul_f32_e32 v32, -0.5, v35
	s_mov_b32 s3, 1
                                        ; implicit-def: $vgpr44
                                        ; implicit-def: $vgpr45
                                        ; implicit-def: $vgpr43
                                        ; implicit-def: $vgpr42
; %bb.107:                              ;   in Loop: Header=BB145_53 Depth=2
	s_or_saveexec_b32 s59, s59
	v_mov_b32_e32 v36, s3
	s_xor_b32 exec_lo, exec_lo, s59
	s_cbranch_execz .LBB145_109
; %bb.108:                              ;   in Loop: Header=BB145_53 Depth=2
	v_dual_add_f32 v31, v44, v35 :: v_dual_mov_b32 v36, 1
	v_cvt_f64_f32_e32 v[44:45], v45
	v_cvt_f64_f32_e32 v[48:49], v42
	;; [unrolled: 1-line block ×3, first 2 shown]
	s_delay_alu instid0(VALU_DEP_4) | instskip(NEXT) | instid1(VALU_DEP_1)
	v_mul_f32_e32 v31, 0.5, v31
	v_cvt_f64_f32_e32 v[46:47], v31
	s_delay_alu instid0(VALU_DEP_1) | instskip(SKIP_2) | instid1(VALU_DEP_3)
	v_div_scale_f64 v[50:51], null, v[46:47], v[46:47], v[44:45]
	v_div_scale_f64 v[52:53], null, v[46:47], v[46:47], v[48:49]
	v_div_scale_f64 v[62:63], vcc_lo, v[44:45], v[46:47], v[44:45]
	v_rcp_f64_e32 v[54:55], v[50:51]
	s_delay_alu instid0(VALU_DEP_2) | instskip(SKIP_3) | instid1(VALU_DEP_2)
	v_rcp_f64_e32 v[56:57], v[52:53]
	s_waitcnt_depctr 0xfff
	v_fma_f64 v[58:59], -v[50:51], v[54:55], 1.0
	v_fma_f64 v[60:61], -v[52:53], v[56:57], 1.0
	v_fma_f64 v[54:55], v[54:55], v[58:59], v[54:55]
	s_delay_alu instid0(VALU_DEP_2) | instskip(NEXT) | instid1(VALU_DEP_2)
	v_fma_f64 v[56:57], v[56:57], v[60:61], v[56:57]
	v_fma_f64 v[58:59], -v[50:51], v[54:55], 1.0
	s_delay_alu instid0(VALU_DEP_2) | instskip(NEXT) | instid1(VALU_DEP_2)
	v_fma_f64 v[60:61], -v[52:53], v[56:57], 1.0
	v_fma_f64 v[54:55], v[54:55], v[58:59], v[54:55]
	v_div_scale_f64 v[58:59], s3, v[48:49], v[46:47], v[48:49]
	s_delay_alu instid0(VALU_DEP_3) | instskip(NEXT) | instid1(VALU_DEP_3)
	v_fma_f64 v[56:57], v[56:57], v[60:61], v[56:57]
	v_mul_f64 v[60:61], v[62:63], v[54:55]
	s_delay_alu instid0(VALU_DEP_2) | instskip(NEXT) | instid1(VALU_DEP_2)
	v_mul_f64 v[64:65], v[58:59], v[56:57]
	v_fma_f64 v[50:51], -v[50:51], v[60:61], v[62:63]
	s_delay_alu instid0(VALU_DEP_2) | instskip(NEXT) | instid1(VALU_DEP_2)
	v_fma_f64 v[52:53], -v[52:53], v[64:65], v[58:59]
	v_div_fmas_f64 v[50:51], v[50:51], v[54:55], v[60:61]
	s_mov_b32 vcc_lo, s3
	s_delay_alu instid0(VALU_DEP_2) | instskip(NEXT) | instid1(VALU_DEP_2)
	v_div_fmas_f64 v[52:53], v[52:53], v[56:57], v[64:65]
	v_div_fixup_f64 v[44:45], v[50:51], v[46:47], v[44:45]
	s_delay_alu instid0(VALU_DEP_2) | instskip(NEXT) | instid1(VALU_DEP_1)
	v_div_fixup_f64 v[52:53], v[52:53], v[46:47], v[48:49]
	v_mul_f64 v[46:47], v[52:53], v[48:49]
	s_delay_alu instid0(VALU_DEP_1) | instskip(NEXT) | instid1(VALU_DEP_1)
	v_fma_f64 v[42:43], v[44:45], v[42:43], -v[46:47]
	v_cvt_f32_f64_e32 v32, v[42:43]
.LBB145_109:                            ;   in Loop: Header=BB145_53 Depth=2
	s_or_b32 exec_lo, exec_lo, s59
                                        ; implicit-def: $vgpr44
                                        ; implicit-def: $vgpr45
                                        ; implicit-def: $vgpr43
                                        ; implicit-def: $vgpr42
.LBB145_110:                            ;   in Loop: Header=BB145_53 Depth=2
	s_and_not1_saveexec_b32 s4, s4
	s_cbranch_execz .LBB145_112
; %bb.111:                              ;   in Loop: Header=BB145_53 Depth=2
	v_dual_sub_f32 v31, v44, v35 :: v_dual_mov_b32 v36, -1
	v_cvt_f64_f32_e32 v[44:45], v45
	v_cvt_f64_f32_e32 v[48:49], v42
	;; [unrolled: 1-line block ×3, first 2 shown]
	s_delay_alu instid0(VALU_DEP_4) | instskip(NEXT) | instid1(VALU_DEP_1)
	v_mul_f32_e32 v31, 0.5, v31
	v_cvt_f64_f32_e32 v[46:47], v31
	s_delay_alu instid0(VALU_DEP_1) | instskip(SKIP_2) | instid1(VALU_DEP_3)
	v_div_scale_f64 v[50:51], null, v[46:47], v[46:47], v[44:45]
	v_div_scale_f64 v[52:53], null, v[46:47], v[46:47], v[48:49]
	v_div_scale_f64 v[62:63], vcc_lo, v[44:45], v[46:47], v[44:45]
	v_rcp_f64_e32 v[54:55], v[50:51]
	s_delay_alu instid0(VALU_DEP_2) | instskip(SKIP_3) | instid1(VALU_DEP_2)
	v_rcp_f64_e32 v[56:57], v[52:53]
	s_waitcnt_depctr 0xfff
	v_fma_f64 v[58:59], -v[50:51], v[54:55], 1.0
	v_fma_f64 v[60:61], -v[52:53], v[56:57], 1.0
	v_fma_f64 v[54:55], v[54:55], v[58:59], v[54:55]
	s_delay_alu instid0(VALU_DEP_2) | instskip(NEXT) | instid1(VALU_DEP_2)
	v_fma_f64 v[56:57], v[56:57], v[60:61], v[56:57]
	v_fma_f64 v[58:59], -v[50:51], v[54:55], 1.0
	s_delay_alu instid0(VALU_DEP_2) | instskip(NEXT) | instid1(VALU_DEP_2)
	v_fma_f64 v[60:61], -v[52:53], v[56:57], 1.0
	v_fma_f64 v[54:55], v[54:55], v[58:59], v[54:55]
	v_div_scale_f64 v[58:59], s3, v[48:49], v[46:47], v[48:49]
	s_delay_alu instid0(VALU_DEP_3) | instskip(NEXT) | instid1(VALU_DEP_3)
	v_fma_f64 v[56:57], v[56:57], v[60:61], v[56:57]
	v_mul_f64 v[60:61], v[62:63], v[54:55]
	s_delay_alu instid0(VALU_DEP_2) | instskip(NEXT) | instid1(VALU_DEP_2)
	v_mul_f64 v[64:65], v[58:59], v[56:57]
	v_fma_f64 v[50:51], -v[50:51], v[60:61], v[62:63]
	s_delay_alu instid0(VALU_DEP_2) | instskip(NEXT) | instid1(VALU_DEP_2)
	v_fma_f64 v[52:53], -v[52:53], v[64:65], v[58:59]
	v_div_fmas_f64 v[50:51], v[50:51], v[54:55], v[60:61]
	s_mov_b32 vcc_lo, s3
	s_delay_alu instid0(VALU_DEP_2) | instskip(NEXT) | instid1(VALU_DEP_2)
	v_div_fmas_f64 v[52:53], v[52:53], v[56:57], v[64:65]
	v_div_fixup_f64 v[44:45], v[50:51], v[46:47], v[44:45]
	s_delay_alu instid0(VALU_DEP_2) | instskip(NEXT) | instid1(VALU_DEP_1)
	v_div_fixup_f64 v[52:53], v[52:53], v[46:47], v[48:49]
	v_mul_f64 v[46:47], v[52:53], v[48:49]
	s_delay_alu instid0(VALU_DEP_1) | instskip(NEXT) | instid1(VALU_DEP_1)
	v_fma_f64 v[42:43], v[44:45], v[42:43], -v[46:47]
	v_cvt_f32_f64_e32 v32, v[42:43]
.LBB145_112:                            ;   in Loop: Header=BB145_53 Depth=2
	s_or_b32 exec_lo, exec_lo, s4
	v_cmp_nle_f32_e64 s3, 0, v34
	s_mov_b32 s59, exec_lo
                                        ; implicit-def: $vgpr42
	s_delay_alu instid0(VALU_DEP_1) | instskip(NEXT) | instid1(VALU_DEP_1)
	v_cndmask_b32_e64 v35, v35, -v35, s3
	v_add_f32_e32 v34, v34, v35
                                        ; implicit-def: $vgpr35
	s_delay_alu instid0(VALU_DEP_1)
	v_cmpx_ngt_f32_e64 |v34|, |v33|
	s_xor_b32 s59, exec_lo, s59
	s_cbranch_execz .LBB145_116
; %bb.113:                              ;   in Loop: Header=BB145_53 Depth=2
	v_dual_mov_b32 v35, 1.0 :: v_dual_mov_b32 v42, 0
	s_mov_b32 s60, exec_lo
	v_cmpx_neq_f32_e32 0, v33
	s_cbranch_execz .LBB145_115
; %bb.114:                              ;   in Loop: Header=BB145_53 Depth=2
	v_div_scale_f32 v35, null, v33, v33, -v34
	v_div_scale_f32 v44, vcc_lo, -v34, v33, -v34
	s_delay_alu instid0(VALU_DEP_2) | instskip(SKIP_2) | instid1(VALU_DEP_1)
	v_rcp_f32_e32 v42, v35
	s_waitcnt_depctr 0xfff
	v_fma_f32 v43, -v35, v42, 1.0
	v_fmac_f32_e32 v42, v43, v42
	s_delay_alu instid0(VALU_DEP_1) | instskip(NEXT) | instid1(VALU_DEP_1)
	v_mul_f32_e32 v43, v44, v42
	v_fma_f32 v45, -v35, v43, v44
	s_delay_alu instid0(VALU_DEP_1) | instskip(NEXT) | instid1(VALU_DEP_1)
	v_fmac_f32_e32 v43, v45, v42
	v_fma_f32 v35, -v35, v43, v44
	s_delay_alu instid0(VALU_DEP_1) | instskip(NEXT) | instid1(VALU_DEP_1)
	v_div_fmas_f32 v35, v35, v42, v43
	v_div_fixup_f32 v33, v35, v33, -v34
	s_delay_alu instid0(VALU_DEP_1) | instskip(NEXT) | instid1(VALU_DEP_1)
	v_fma_f32 v34, v33, v33, 1.0
	v_mul_f32_e32 v35, 0x4f800000, v34
	v_cmp_gt_f32_e32 vcc_lo, 0xf800000, v34
	s_delay_alu instid0(VALU_DEP_2) | instskip(NEXT) | instid1(VALU_DEP_1)
	v_cndmask_b32_e32 v34, v34, v35, vcc_lo
	v_sqrt_f32_e32 v35, v34
	s_waitcnt_depctr 0xfff
	v_add_nc_u32_e32 v42, -1, v35
	v_add_nc_u32_e32 v43, 1, v35
	s_delay_alu instid0(VALU_DEP_2) | instskip(NEXT) | instid1(VALU_DEP_2)
	v_fma_f32 v44, -v42, v35, v34
	v_fma_f32 v45, -v43, v35, v34
	s_delay_alu instid0(VALU_DEP_2) | instskip(NEXT) | instid1(VALU_DEP_1)
	v_cmp_ge_f32_e64 s4, 0, v44
	v_cndmask_b32_e64 v35, v35, v42, s4
	s_delay_alu instid0(VALU_DEP_3) | instskip(NEXT) | instid1(VALU_DEP_1)
	v_cmp_lt_f32_e64 s4, 0, v45
	v_cndmask_b32_e64 v35, v35, v43, s4
	s_delay_alu instid0(VALU_DEP_1) | instskip(NEXT) | instid1(VALU_DEP_1)
	v_mul_f32_e32 v42, 0x37800000, v35
	v_cndmask_b32_e32 v35, v35, v42, vcc_lo
	v_cmp_class_f32_e64 vcc_lo, v34, 0x260
	s_delay_alu instid0(VALU_DEP_2) | instskip(NEXT) | instid1(VALU_DEP_1)
	v_cndmask_b32_e32 v34, v35, v34, vcc_lo
	v_div_scale_f32 v35, null, v34, v34, 1.0
	s_delay_alu instid0(VALU_DEP_1) | instskip(SKIP_2) | instid1(VALU_DEP_1)
	v_rcp_f32_e32 v42, v35
	s_waitcnt_depctr 0xfff
	v_fma_f32 v43, -v35, v42, 1.0
	v_fmac_f32_e32 v42, v43, v42
	v_div_scale_f32 v43, vcc_lo, 1.0, v34, 1.0
	s_delay_alu instid0(VALU_DEP_1) | instskip(NEXT) | instid1(VALU_DEP_1)
	v_mul_f32_e32 v44, v43, v42
	v_fma_f32 v45, -v35, v44, v43
	s_delay_alu instid0(VALU_DEP_1) | instskip(NEXT) | instid1(VALU_DEP_1)
	v_fmac_f32_e32 v44, v45, v42
	v_fma_f32 v35, -v35, v44, v43
	s_delay_alu instid0(VALU_DEP_1) | instskip(NEXT) | instid1(VALU_DEP_1)
	v_div_fmas_f32 v35, v35, v42, v44
	v_div_fixup_f32 v35, v35, v34, 1.0
	s_delay_alu instid0(VALU_DEP_1)
	v_mul_f32_e32 v42, v33, v35
.LBB145_115:                            ;   in Loop: Header=BB145_53 Depth=2
	s_or_b32 exec_lo, exec_lo, s60
                                        ; implicit-def: $vgpr34
                                        ; implicit-def: $vgpr33
.LBB145_116:                            ;   in Loop: Header=BB145_53 Depth=2
	s_and_not1_saveexec_b32 s59, s59
	s_cbranch_execz .LBB145_118
; %bb.117:                              ;   in Loop: Header=BB145_53 Depth=2
	v_div_scale_f32 v35, null, v34, v34, -v33
	v_div_scale_f32 v44, vcc_lo, -v33, v34, -v33
	s_delay_alu instid0(VALU_DEP_2) | instskip(SKIP_2) | instid1(VALU_DEP_1)
	v_rcp_f32_e32 v42, v35
	s_waitcnt_depctr 0xfff
	v_fma_f32 v43, -v35, v42, 1.0
	v_fmac_f32_e32 v42, v43, v42
	s_delay_alu instid0(VALU_DEP_1) | instskip(NEXT) | instid1(VALU_DEP_1)
	v_mul_f32_e32 v43, v44, v42
	v_fma_f32 v45, -v35, v43, v44
	s_delay_alu instid0(VALU_DEP_1) | instskip(NEXT) | instid1(VALU_DEP_1)
	v_fmac_f32_e32 v43, v45, v42
	v_fma_f32 v35, -v35, v43, v44
	s_delay_alu instid0(VALU_DEP_1) | instskip(NEXT) | instid1(VALU_DEP_1)
	v_div_fmas_f32 v35, v35, v42, v43
	v_div_fixup_f32 v33, v35, v34, -v33
	s_delay_alu instid0(VALU_DEP_1) | instskip(NEXT) | instid1(VALU_DEP_1)
	v_fma_f32 v34, v33, v33, 1.0
	v_mul_f32_e32 v35, 0x4f800000, v34
	v_cmp_gt_f32_e32 vcc_lo, 0xf800000, v34
	s_delay_alu instid0(VALU_DEP_2) | instskip(NEXT) | instid1(VALU_DEP_1)
	v_cndmask_b32_e32 v34, v34, v35, vcc_lo
	v_sqrt_f32_e32 v35, v34
	s_waitcnt_depctr 0xfff
	v_add_nc_u32_e32 v42, -1, v35
	v_add_nc_u32_e32 v43, 1, v35
	s_delay_alu instid0(VALU_DEP_2) | instskip(NEXT) | instid1(VALU_DEP_2)
	v_fma_f32 v44, -v42, v35, v34
	v_fma_f32 v45, -v43, v35, v34
	s_delay_alu instid0(VALU_DEP_2) | instskip(NEXT) | instid1(VALU_DEP_1)
	v_cmp_ge_f32_e64 s4, 0, v44
	v_cndmask_b32_e64 v35, v35, v42, s4
	s_delay_alu instid0(VALU_DEP_3) | instskip(NEXT) | instid1(VALU_DEP_1)
	v_cmp_lt_f32_e64 s4, 0, v45
	v_cndmask_b32_e64 v35, v35, v43, s4
	s_delay_alu instid0(VALU_DEP_1) | instskip(NEXT) | instid1(VALU_DEP_1)
	v_mul_f32_e32 v42, 0x37800000, v35
	v_cndmask_b32_e32 v35, v35, v42, vcc_lo
	v_cmp_class_f32_e64 vcc_lo, v34, 0x260
	s_delay_alu instid0(VALU_DEP_2) | instskip(NEXT) | instid1(VALU_DEP_1)
	v_cndmask_b32_e32 v34, v35, v34, vcc_lo
	v_div_scale_f32 v35, null, v34, v34, 1.0
	s_delay_alu instid0(VALU_DEP_1) | instskip(SKIP_2) | instid1(VALU_DEP_1)
	v_rcp_f32_e32 v42, v35
	s_waitcnt_depctr 0xfff
	v_fma_f32 v43, -v35, v42, 1.0
	v_fmac_f32_e32 v42, v43, v42
	v_div_scale_f32 v43, vcc_lo, 1.0, v34, 1.0
	s_delay_alu instid0(VALU_DEP_1) | instskip(NEXT) | instid1(VALU_DEP_1)
	v_mul_f32_e32 v44, v43, v42
	v_fma_f32 v45, -v35, v44, v43
	s_delay_alu instid0(VALU_DEP_1) | instskip(NEXT) | instid1(VALU_DEP_1)
	v_fmac_f32_e32 v44, v45, v42
	v_fma_f32 v35, -v35, v44, v43
	s_delay_alu instid0(VALU_DEP_1) | instskip(NEXT) | instid1(VALU_DEP_1)
	v_div_fmas_f32 v35, v35, v42, v44
	v_div_fixup_f32 v42, v35, v34, 1.0
	s_delay_alu instid0(VALU_DEP_1)
	v_mul_f32_e32 v35, v33, v42
.LBB145_118:                            ;   in Loop: Header=BB145_53 Depth=2
	s_or_b32 exec_lo, exec_lo, s59
	v_cndmask_b32_e64 v33, 1, -1, s3
	v_add_co_u32 v29, s3, s72, v29
	s_delay_alu instid0(VALU_DEP_1) | instskip(NEXT) | instid1(VALU_DEP_3)
	v_add_co_ci_u32_e64 v30, s3, s73, v30, s3
	v_cmp_eq_u32_e32 vcc_lo, v36, v33
	v_add_nc_u32_e32 v24, 2, v24
	v_cndmask_b32_e32 v36, v42, v35, vcc_lo
	v_cndmask_b32_e64 v35, v35, -v42, vcc_lo
	v_add_co_u32 v33, vcc_lo, v29, s46
	v_add_co_ci_u32_e32 v34, vcc_lo, s47, v30, vcc_lo
	s_clause 0x1
	global_store_b32 v[29:30], v35, off
	global_store_b32 v[33:34], v36, off offset:-4
	global_store_b64 v[25:26], v[31:32], off
	global_store_b32 v[27:28], v0, off
	ds_store_b32 v0, v24
	s_or_b32 exec_lo, exec_lo, s58
                                        ; implicit-def: $vgpr28
.LBB145_119:                            ;   in Loop: Header=BB145_53 Depth=2
	s_and_not1_saveexec_b32 s3, s66
	s_cbranch_execz .LBB145_121
.LBB145_120:                            ;   in Loop: Header=BB145_53 Depth=2
	ds_store_b32 v0, v28
.LBB145_121:                            ;   in Loop: Header=BB145_53 Depth=2
	s_or_b32 exec_lo, exec_lo, s3
.LBB145_122:                            ;   in Loop: Header=BB145_53 Depth=2
	s_delay_alu instid0(SALU_CYCLE_1)
	s_or_b32 exec_lo, exec_lo, s37
	s_waitcnt lgkmcnt(0)
	s_waitcnt_vscnt null, 0x0
	s_barrier
	buffer_gl0_inv
	ds_load_b64 v[24:25], v0
	s_waitcnt lgkmcnt(0)
	v_readfirstlane_b32 s3, v25
	s_delay_alu instid0(VALU_DEP_1)
	v_cmp_eq_u32_e32 vcc_lo, s3, v24
	v_mov_b32_e32 v24, s3
	s_cbranch_vccnz .LBB145_52
; %bb.123:                              ;   in Loop: Header=BB145_53 Depth=2
	s_and_saveexec_b32 s37, s0
	s_cbranch_execz .LBB145_51
; %bb.124:                              ;   in Loop: Header=BB145_53 Depth=2
	ds_load_b32 v24, v0 offset:16
	v_mov_b32_e32 v28, v1
	s_waitcnt lgkmcnt(0)
	v_readfirstlane_b32 s4, v24
	v_ashrrev_i32_e32 v25, 31, v24
	s_delay_alu instid0(VALU_DEP_2) | instskip(NEXT) | instid1(VALU_DEP_1)
	s_mul_i32 s58, s4, s11
	v_lshlrev_b64 v[24:25], 2, v[24:25]
	s_ashr_i32 s59, s58, 31
	s_delay_alu instid0(SALU_CYCLE_1) | instskip(NEXT) | instid1(SALU_CYCLE_1)
	s_lshl_b64 s[64:65], s[58:59], 3
	s_add_u32 s58, s70, s64
	s_addc_u32 s59, s71, s65
	s_sub_i32 s60, s3, s4
	s_delay_alu instid0(SALU_CYCLE_1) | instskip(SKIP_1) | instid1(SALU_CYCLE_1)
	s_mul_hi_i32 s63, s60, s40
	s_mul_i32 s62, s60, s40
	s_lshl_b64 s[62:63], s[62:63], 3
	s_delay_alu instid0(SALU_CYCLE_1) | instskip(SKIP_4) | instid1(SALU_CYCLE_1)
	s_add_u32 s61, s58, s62
	s_addc_u32 s62, s59, s63
	s_cmp_gt_i32 s60, 0
	s_cselect_b32 s63, -1, 0
	s_add_i32 s4, s60, -1
	s_lshl_b64 s[66:67], s[4:5], 2
	s_mul_i32 s3, s53, s4
	s_mul_hi_u32 s68, s52, s4
	s_mul_i32 s4, s52, s4
	v_add_co_u32 v26, vcc_lo, v24, s66
	s_add_i32 s68, s68, s3
	s_add_u32 s3, s4, s64
	v_add_co_ci_u32_e32 v27, vcc_lo, s67, v25, vcc_lo
	s_addc_u32 s4, s68, s65
	v_add_co_u32 v24, vcc_lo, v38, s3
	v_add_co_ci_u32_e32 v25, vcc_lo, s4, v39, vcc_lo
	v_add_co_u32 v26, vcc_lo, s72, v26
	v_add_co_ci_u32_e32 v27, vcc_lo, s73, v27, vcc_lo
	s_mov_b32 s4, 0
	s_branch .LBB145_126
.LBB145_125:                            ;   in Loop: Header=BB145_126 Depth=3
	v_add_nc_u32_e32 v28, s30, v28
	v_add_co_u32 v24, s3, v24, s54
	s_delay_alu instid0(VALU_DEP_1) | instskip(NEXT) | instid1(VALU_DEP_3)
	v_add_co_ci_u32_e64 v25, s3, s55, v25, s3
	v_cmp_le_i32_e32 vcc_lo, s6, v28
	s_waitcnt vmcnt(0)
	global_store_b64 v[29:30], v[31:32], off
	s_or_b32 s4, vcc_lo, s4
	s_delay_alu instid0(SALU_CYCLE_1)
	s_and_not1_b32 exec_lo, exec_lo, s4
	s_cbranch_execz .LBB145_51
.LBB145_126:                            ;   Parent Loop BB145_7 Depth=1
                                        ;     Parent Loop BB145_53 Depth=2
                                        ; =>    This Loop Header: Depth=3
                                        ;         Child Loop BB145_127 Depth 4
	v_ashrrev_i32_e32 v29, 31, v28
	v_dual_mov_b32 v34, v25 :: v_dual_mov_b32 v33, v24
	v_dual_mov_b32 v36, v27 :: v_dual_mov_b32 v35, v26
	s_delay_alu instid0(VALU_DEP_3) | instskip(SKIP_1) | instid1(VALU_DEP_1)
	v_lshlrev_b64 v[29:30], 3, v[28:29]
	s_mov_b32 s3, s60
	v_add_co_u32 v31, vcc_lo, s61, v29
	s_delay_alu instid0(VALU_DEP_2)
	v_add_co_ci_u32_e32 v32, vcc_lo, s62, v30, vcc_lo
	v_add_co_u32 v29, vcc_lo, s58, v29
	v_add_co_ci_u32_e32 v30, vcc_lo, s59, v30, vcc_lo
	global_load_b64 v[31:32], v[31:32], off
	s_and_not1_b32 vcc_lo, exec_lo, s63
	s_cbranch_vccnz .LBB145_125
	.p2align	6
.LBB145_127:                            ;   Parent Loop BB145_7 Depth=1
                                        ;     Parent Loop BB145_53 Depth=2
                                        ;       Parent Loop BB145_126 Depth=3
                                        ; =>      This Inner Loop Header: Depth=4
	v_add_co_u32 v42, vcc_lo, v35, s7
	v_add_co_ci_u32_e32 v43, vcc_lo, s78, v36, vcc_lo
	s_mul_i32 s65, s3, s41
	s_mul_hi_u32 s67, s3, s40
	global_load_b64 v[44:45], v[33:34], off offset:-4
	s_clause 0x1
	global_load_b32 v46, v[42:43], off
	global_load_b32 v47, v[35:36], off
	v_add_co_u32 v35, vcc_lo, v35, -4
	s_mul_i32 s64, s3, s40
	v_add_co_ci_u32_e32 v36, vcc_lo, -1, v36, vcc_lo
	s_add_i32 s65, s67, s65
	s_waitcnt vmcnt(3)
	v_dual_mov_b32 v48, v32 :: v_dual_mov_b32 v49, v31
	v_add_co_u32 v33, vcc_lo, v33, s31
	s_lshl_b64 s[64:65], s[64:65], 3
	v_add_co_ci_u32_e32 v34, vcc_lo, s79, v34, vcc_lo
	v_add_co_u32 v42, vcc_lo, v29, s64
	v_add_co_ci_u32_e32 v43, vcc_lo, s65, v30, vcc_lo
	s_add_i32 s66, s3, -1
	s_delay_alu instid0(SALU_CYCLE_1)
	s_cmp_eq_u32 s66, 0
	s_mov_b32 s3, s66
	s_waitcnt vmcnt(0)
	v_mul_f32_e32 v32, v47, v45
	v_mul_f32_e32 v31, v47, v44
	;; [unrolled: 1-line block ×3, first 2 shown]
	s_delay_alu instid0(VALU_DEP_3) | instskip(NEXT) | instid1(VALU_DEP_3)
	v_dual_mul_f32 v45, v46, v45 :: v_dual_fmac_f32 v32, v48, v46
	v_fmac_f32_e32 v31, v49, v46
	s_delay_alu instid0(VALU_DEP_3) | instskip(NEXT) | instid1(VALU_DEP_3)
	v_fma_f32 v44, v49, v47, -v44
	v_fma_f32 v45, v48, v47, -v45
	global_store_b64 v[42:43], v[44:45], off
	s_cbranch_scc0 .LBB145_127
	s_branch .LBB145_125
.LBB145_128:                            ;   in Loop: Header=BB145_53 Depth=2
	s_or_b32 exec_lo, exec_lo, s58
                                        ; implicit-def: $vgpr28
	s_and_not1_saveexec_b32 s3, s66
	s_cbranch_execnz .LBB145_120
	s_branch .LBB145_121
.LBB145_129:                            ;   in Loop: Header=BB145_7 Depth=1
	v_dual_mov_b32 v23, v15 :: v_dual_mov_b32 v22, v14
	v_dual_mov_b32 v21, v13 :: v_dual_mov_b32 v20, v12
	v_mov_b32_e32 v17, v41
	s_branch .LBB145_6
.LBB145_130:                            ;   in Loop: Header=BB145_7 Depth=1
                                        ; implicit-def: $vgpr22_vgpr23
                                        ; implicit-def: $vgpr20_vgpr21
                                        ; implicit-def: $vgpr17
	s_branch .LBB145_133
.LBB145_131:                            ;   in Loop: Header=BB145_133 Depth=2
	s_or_b32 exec_lo, exec_lo, s3
	s_waitcnt_vscnt null, 0x0
	s_barrier
	buffer_gl0_inv
	ds_load_b32 v16, v0
.LBB145_132:                            ;   in Loop: Header=BB145_133 Depth=2
	ds_load_2addr_b32 v[18:19], v0 offset0:5 offset1:7
	s_waitcnt lgkmcnt(0)
	v_cmp_ge_i32_e32 vcc_lo, v16, v18
	v_cmp_gt_i32_e64 s1, s24, v19
	s_delay_alu instid0(VALU_DEP_1)
	s_and_b32 s1, vcc_lo, s1
.LBB145_133:                            ;   Parent Loop BB145_7 Depth=1
                                        ; =>  This Loop Header: Depth=2
                                        ;       Child Loop BB145_142 Depth 3
                                        ;       Child Loop BB145_161 Depth 3
	;; [unrolled: 1-line block ×3, first 2 shown]
                                        ;         Child Loop BB145_208 Depth 4
	s_delay_alu instid0(SALU_CYCLE_1)
	s_and_not1_b32 vcc_lo, exec_lo, s1
	s_cbranch_vccnz .LBB145_210
; %bb.134:                              ;   in Loop: Header=BB145_133 Depth=2
	s_and_saveexec_b32 s4, s2
	s_cbranch_execz .LBB145_203
; %bb.135:                              ;   in Loop: Header=BB145_133 Depth=2
	v_cmp_gt_i32_e32 vcc_lo, v16, v18
	s_mov_b32 s1, 0
	s_cbranch_vccnz .LBB145_139
; %bb.136:                              ;   in Loop: Header=BB145_133 Depth=2
	v_ashrrev_i32_e32 v17, 31, v16
	s_mov_b32 s3, -1
	s_delay_alu instid0(VALU_DEP_1)
	v_dual_mov_b32 v22, v17 :: v_dual_mov_b32 v21, v16
	v_mov_b32_e32 v20, v16
	s_cbranch_execz .LBB145_140
; %bb.137:                              ;   in Loop: Header=BB145_133 Depth=2
	s_and_b32 vcc_lo, exec_lo, s3
	s_cbranch_vccz .LBB145_145
.LBB145_138:                            ;   in Loop: Header=BB145_133 Depth=2
	ds_store_2addr_b32 v0, v20, v16 offset0:1 offset1:4
	s_cbranch_execz .LBB145_146
	s_branch .LBB145_147
.LBB145_139:                            ;   in Loop: Header=BB145_133 Depth=2
	s_mov_b32 s3, 0
                                        ; implicit-def: $vgpr21_vgpr22
	v_mov_b32_e32 v20, v16
.LBB145_140:                            ;   in Loop: Header=BB145_133 Depth=2
	v_ashrrev_i32_e32 v17, 31, v16
	v_mov_b32_e32 v22, v16
	s_delay_alu instid0(VALU_DEP_2) | instskip(NEXT) | instid1(VALU_DEP_1)
	v_lshlrev_b64 v[2:3], 2, v[16:17]
	v_add_co_u32 v4, vcc_lo, s80, v2
	s_delay_alu instid0(VALU_DEP_2)
	v_add_co_ci_u32_e32 v5, vcc_lo, s81, v3, vcc_lo
	v_add_co_u32 v20, vcc_lo, s10, v2
	v_add_co_ci_u32_e32 v21, vcc_lo, s33, v3, vcc_lo
	s_branch .LBB145_142
	.p2align	6
.LBB145_141:                            ;   in Loop: Header=BB145_142 Depth=3
	v_add_nc_u32_e32 v22, -1, v40
	v_add_co_u32 v4, vcc_lo, v4, -4
	v_add_co_ci_u32_e32 v5, vcc_lo, -1, v5, vcc_lo
	s_delay_alu instid0(VALU_DEP_3) | instskip(SKIP_2) | instid1(VALU_DEP_2)
	v_cmp_le_i32_e64 s3, v22, v18
	s_mov_b32 s1, 0
	v_dual_mov_b32 v21, v3 :: v_dual_mov_b32 v20, v2
	s_and_not1_b32 vcc_lo, exec_lo, s3
	s_cbranch_vccz .LBB145_144
.LBB145_142:                            ;   Parent Loop BB145_7 Depth=1
                                        ;     Parent Loop BB145_133 Depth=2
                                        ; =>    This Inner Loop Header: Depth=3
	global_load_b64 v[2:3], v[4:5], off
	global_load_b32 v23, v[20:21], off offset:-4
	v_mov_b32_e32 v40, v22
	s_waitcnt vmcnt(1)
	v_mul_f32_e32 v2, v3, v2
	s_waitcnt vmcnt(0)
	v_mul_f32_e32 v3, v23, v23
	s_delay_alu instid0(VALU_DEP_2) | instskip(NEXT) | instid1(VALU_DEP_1)
	v_mul_f32_e64 v2, v37, |v2|
	v_cmp_le_f32_e64 s1, |v3|, v2
	v_add_co_u32 v2, vcc_lo, v20, -4
	v_add_co_ci_u32_e32 v3, vcc_lo, -1, v21, vcc_lo
	s_delay_alu instid0(VALU_DEP_3)
	s_and_b32 vcc_lo, exec_lo, s1
	s_cbranch_vccz .LBB145_141
; %bb.143:                              ;   in Loop: Header=BB145_133 Depth=2
	s_mov_b32 s1, -1
                                        ; implicit-def: $vgpr22
                                        ; implicit-def: $vgpr4_vgpr5
	s_delay_alu instid0(VALU_DEP_1)
	v_dual_mov_b32 v21, v3 :: v_dual_mov_b32 v20, v2
.LBB145_144:                            ;   in Loop: Header=BB145_133 Depth=2
	v_mov_b32_e32 v22, v17
	v_dual_mov_b32 v4, v16 :: v_dual_mov_b32 v5, v17
	v_dual_mov_b32 v20, v18 :: v_dual_mov_b32 v21, v16
	s_xor_b32 s3, s1, -1
	s_mov_b32 s1, -1
	s_and_b32 vcc_lo, exec_lo, s3
	s_cbranch_vccnz .LBB145_138
.LBB145_145:                            ;   in Loop: Header=BB145_133 Depth=2
                                        ; implicit-def: $vgpr20
                                        ; implicit-def: $vgpr21_vgpr22
	s_and_not1_b32 vcc_lo, exec_lo, s1
	s_cbranch_vccnz .LBB145_147
.LBB145_146:                            ;   in Loop: Header=BB145_133 Depth=2
	v_dual_mov_b32 v22, v5 :: v_dual_mov_b32 v21, v4
	v_mov_b32_e32 v20, v40
	ds_store_2addr_b32 v0, v40, v16 offset0:1 offset1:4
	global_store_b32 v[2:3], v0, off
.LBB145_147:                            ;   in Loop: Header=BB145_133 Depth=2
	v_lshlrev_b64 v[22:23], 2, v[21:22]
	v_add_nc_u32_e32 v21, -1, v16
	s_mov_b32 s1, exec_lo
	s_delay_alu instid0(VALU_DEP_2) | instskip(NEXT) | instid1(VALU_DEP_3)
	v_add_co_u32 v17, vcc_lo, s18, v22
	v_add_co_ci_u32_e32 v18, vcc_lo, s19, v23, vcc_lo
	global_load_b32 v28, v[17:18], off
	s_waitcnt vmcnt(0)
	ds_store_b32 v0, v28 offset:8
	v_cmpx_ne_u32_e64 v20, v16
	s_xor_b32 s37, exec_lo, s1
	s_cbranch_execz .LBB145_200
; %bb.148:                              ;   in Loop: Header=BB145_133 Depth=2
	s_mov_b32 s1, exec_lo
	v_cmpx_ne_u32_e64 v20, v21
	s_xor_b32 s3, exec_lo, s1
	s_cbranch_execz .LBB145_176
; %bb.149:                              ;   in Loop: Header=BB145_133 Depth=2
	v_add_co_u32 v22, vcc_lo, s42, v22
	v_add_co_ci_u32_e32 v23, vcc_lo, s43, v23, vcc_lo
	v_ashrrev_i32_e32 v21, 31, v20
	s_mov_b32 s58, exec_lo
	global_load_b32 v30, v[17:18], off offset:-4
	global_load_b32 v31, v[22:23], off
	v_lshlrev_b64 v[26:27], 2, v[20:21]
	s_delay_alu instid0(VALU_DEP_1) | instskip(NEXT) | instid1(VALU_DEP_2)
	v_add_co_u32 v24, vcc_lo, s18, v26
	v_add_co_ci_u32_e32 v25, vcc_lo, s19, v27, vcc_lo
	global_load_b32 v29, v[24:25], off
	s_waitcnt vmcnt(1)
	v_dual_sub_f32 v21, v30, v28 :: v_dual_add_f32 v30, v31, v31
	s_delay_alu instid0(VALU_DEP_1) | instskip(SKIP_1) | instid1(VALU_DEP_2)
	v_div_scale_f32 v32, null, v30, v30, v21
	v_div_scale_f32 v35, vcc_lo, v21, v30, v21
	v_rcp_f32_e32 v33, v32
	s_waitcnt_depctr 0xfff
	v_fma_f32 v34, -v32, v33, 1.0
	s_delay_alu instid0(VALU_DEP_1) | instskip(NEXT) | instid1(VALU_DEP_1)
	v_fmac_f32_e32 v33, v34, v33
	v_mul_f32_e32 v34, v35, v33
	s_delay_alu instid0(VALU_DEP_1) | instskip(NEXT) | instid1(VALU_DEP_1)
	v_fma_f32 v36, -v32, v34, v35
	v_fmac_f32_e32 v34, v36, v33
	s_delay_alu instid0(VALU_DEP_1) | instskip(NEXT) | instid1(VALU_DEP_1)
	v_fma_f32 v32, -v32, v34, v35
	v_div_fmas_f32 v32, v32, v33, v34
	s_delay_alu instid0(VALU_DEP_1) | instskip(NEXT) | instid1(VALU_DEP_1)
	v_div_fixup_f32 v21, v32, v30, v21
	v_fma_f32 v30, v21, v21, 1.0
	s_delay_alu instid0(VALU_DEP_1) | instskip(SKIP_1) | instid1(VALU_DEP_2)
	v_mul_f32_e32 v32, 0x4f800000, v30
	v_cmp_gt_f32_e32 vcc_lo, 0xf800000, v30
	v_cndmask_b32_e32 v30, v30, v32, vcc_lo
	s_delay_alu instid0(VALU_DEP_1) | instskip(SKIP_3) | instid1(VALU_DEP_2)
	v_sqrt_f32_e32 v32, v30
	s_waitcnt_depctr 0xfff
	v_add_nc_u32_e32 v33, -1, v32
	v_add_nc_u32_e32 v34, 1, v32
	v_fma_f32 v35, -v33, v32, v30
	s_delay_alu instid0(VALU_DEP_2) | instskip(NEXT) | instid1(VALU_DEP_2)
	v_fma_f32 v36, -v34, v32, v30
	v_cmp_ge_f32_e64 s1, 0, v35
	s_delay_alu instid0(VALU_DEP_1) | instskip(NEXT) | instid1(VALU_DEP_3)
	v_cndmask_b32_e64 v32, v32, v33, s1
	v_cmp_lt_f32_e64 s1, 0, v36
	s_delay_alu instid0(VALU_DEP_1) | instskip(NEXT) | instid1(VALU_DEP_1)
	v_cndmask_b32_e64 v32, v32, v34, s1
	v_mul_f32_e32 v33, 0x37800000, v32
	s_delay_alu instid0(VALU_DEP_1) | instskip(SKIP_1) | instid1(VALU_DEP_2)
	v_cndmask_b32_e32 v32, v32, v33, vcc_lo
	v_cmp_class_f32_e64 vcc_lo, v30, 0x260
	v_cndmask_b32_e32 v30, v32, v30, vcc_lo
	v_cmp_nle_f32_e32 vcc_lo, 0, v21
	s_delay_alu instid0(VALU_DEP_2) | instskip(NEXT) | instid1(VALU_DEP_1)
	v_cndmask_b32_e64 v30, |v30|, -|v30|, vcc_lo
	v_add_f32_e32 v21, v21, v30
	s_delay_alu instid0(VALU_DEP_1) | instskip(SKIP_1) | instid1(VALU_DEP_2)
	v_div_scale_f32 v30, null, v21, v21, v31
	v_div_scale_f32 v34, vcc_lo, v31, v21, v31
	v_rcp_f32_e32 v32, v30
	s_waitcnt_depctr 0xfff
	v_fma_f32 v33, -v30, v32, 1.0
	s_delay_alu instid0(VALU_DEP_1) | instskip(NEXT) | instid1(VALU_DEP_1)
	v_fmac_f32_e32 v32, v33, v32
	v_mul_f32_e32 v33, v34, v32
	s_delay_alu instid0(VALU_DEP_1) | instskip(NEXT) | instid1(VALU_DEP_1)
	v_fma_f32 v35, -v30, v33, v34
	v_fmac_f32_e32 v33, v35, v32
	s_delay_alu instid0(VALU_DEP_1) | instskip(NEXT) | instid1(VALU_DEP_1)
	v_fma_f32 v30, -v30, v33, v34
	v_div_fmas_f32 v30, v30, v32, v33
	s_waitcnt vmcnt(0)
	v_sub_f32_e32 v32, v29, v28
	s_delay_alu instid0(VALU_DEP_2) | instskip(SKIP_1) | instid1(VALU_DEP_2)
	v_div_fixup_f32 v21, v30, v21, v31
	v_dual_mov_b32 v30, 0 :: v_dual_add_nc_u32 v31, 1, v19
	v_add_f32_e32 v19, v32, v21
	ds_store_2addr_b32 v0, v0, v31 offset0:2 offset1:7
	v_cmpx_lt_i32_e64 v20, v16
	s_cbranch_execz .LBB145_175
; %bb.150:                              ;   in Loop: Header=BB145_133 Depth=2
	v_add_co_u32 v30, vcc_lo, s10, v26
	v_add_co_ci_u32_e32 v31, vcc_lo, s33, v27, vcc_lo
	v_mov_b32_e32 v21, 1.0
	v_mov_b32_e32 v33, 0
	s_mov_b32 s59, exec_lo
	global_load_b32 v31, v[30:31], off
	s_waitcnt vmcnt(0)
	v_cmpx_neq_f32_e32 0, v31
	s_cbranch_execz .LBB145_158
; %bb.151:                              ;   in Loop: Header=BB145_133 Depth=2
	v_mov_b32_e32 v33, 1.0
	v_mov_b32_e32 v21, 0
	s_mov_b32 s60, exec_lo
	v_cmpx_neq_f32_e32 0, v19
	s_cbranch_execz .LBB145_157
; %bb.152:                              ;   in Loop: Header=BB145_133 Depth=2
	s_mov_b32 s61, exec_lo
                                        ; implicit-def: $vgpr33
                                        ; implicit-def: $vgpr21
	v_cmpx_ngt_f32_e64 |v31|, |v19|
	s_xor_b32 s61, exec_lo, s61
	s_cbranch_execz .LBB145_154
; %bb.153:                              ;   in Loop: Header=BB145_133 Depth=2
	v_div_scale_f32 v21, null, v19, v19, -v31
	v_div_scale_f32 v32, vcc_lo, -v31, v19, -v31
	s_delay_alu instid0(VALU_DEP_2) | instskip(SKIP_2) | instid1(VALU_DEP_1)
	v_rcp_f32_e32 v28, v21
	s_waitcnt_depctr 0xfff
	v_fma_f32 v30, -v21, v28, 1.0
	v_fmac_f32_e32 v28, v30, v28
	s_delay_alu instid0(VALU_DEP_1) | instskip(NEXT) | instid1(VALU_DEP_1)
	v_mul_f32_e32 v30, v32, v28
	v_fma_f32 v33, -v21, v30, v32
	s_delay_alu instid0(VALU_DEP_1) | instskip(NEXT) | instid1(VALU_DEP_1)
	v_fmac_f32_e32 v30, v33, v28
	v_fma_f32 v21, -v21, v30, v32
	s_delay_alu instid0(VALU_DEP_1) | instskip(NEXT) | instid1(VALU_DEP_1)
	v_div_fmas_f32 v21, v21, v28, v30
	v_div_fixup_f32 v19, v21, v19, -v31
	s_delay_alu instid0(VALU_DEP_1) | instskip(NEXT) | instid1(VALU_DEP_1)
	v_fma_f32 v21, v19, v19, 1.0
	v_mul_f32_e32 v28, 0x4f800000, v21
	v_cmp_gt_f32_e32 vcc_lo, 0xf800000, v21
	s_delay_alu instid0(VALU_DEP_2) | instskip(NEXT) | instid1(VALU_DEP_1)
	v_cndmask_b32_e32 v21, v21, v28, vcc_lo
	v_sqrt_f32_e32 v28, v21
	s_waitcnt_depctr 0xfff
	v_add_nc_u32_e32 v30, -1, v28
	v_add_nc_u32_e32 v32, 1, v28
	s_delay_alu instid0(VALU_DEP_2) | instskip(NEXT) | instid1(VALU_DEP_2)
	v_fma_f32 v33, -v30, v28, v21
	v_fma_f32 v34, -v32, v28, v21
	s_delay_alu instid0(VALU_DEP_2) | instskip(NEXT) | instid1(VALU_DEP_1)
	v_cmp_ge_f32_e64 s1, 0, v33
	v_cndmask_b32_e64 v28, v28, v30, s1
	s_delay_alu instid0(VALU_DEP_3) | instskip(NEXT) | instid1(VALU_DEP_1)
	v_cmp_lt_f32_e64 s1, 0, v34
	v_cndmask_b32_e64 v28, v28, v32, s1
	s_delay_alu instid0(VALU_DEP_1) | instskip(NEXT) | instid1(VALU_DEP_1)
	v_mul_f32_e32 v30, 0x37800000, v28
	v_cndmask_b32_e32 v28, v28, v30, vcc_lo
	v_cmp_class_f32_e64 vcc_lo, v21, 0x260
	s_delay_alu instid0(VALU_DEP_2) | instskip(NEXT) | instid1(VALU_DEP_1)
	v_cndmask_b32_e32 v21, v28, v21, vcc_lo
	v_div_scale_f32 v28, null, v21, v21, 1.0
	s_delay_alu instid0(VALU_DEP_1) | instskip(SKIP_2) | instid1(VALU_DEP_1)
	v_rcp_f32_e32 v30, v28
	s_waitcnt_depctr 0xfff
	v_fma_f32 v32, -v28, v30, 1.0
	v_fmac_f32_e32 v30, v32, v30
	v_div_scale_f32 v32, vcc_lo, 1.0, v21, 1.0
	s_delay_alu instid0(VALU_DEP_1) | instskip(NEXT) | instid1(VALU_DEP_1)
	v_mul_f32_e32 v33, v32, v30
	v_fma_f32 v34, -v28, v33, v32
	s_delay_alu instid0(VALU_DEP_1) | instskip(NEXT) | instid1(VALU_DEP_1)
	v_fmac_f32_e32 v33, v34, v30
	v_fma_f32 v28, -v28, v33, v32
	s_delay_alu instid0(VALU_DEP_1) | instskip(NEXT) | instid1(VALU_DEP_1)
	v_div_fmas_f32 v28, v28, v30, v33
	v_div_fixup_f32 v21, v28, v21, 1.0
	s_delay_alu instid0(VALU_DEP_1)
	v_mul_f32_e32 v33, v19, v21
                                        ; implicit-def: $vgpr19
.LBB145_154:                            ;   in Loop: Header=BB145_133 Depth=2
	s_and_not1_saveexec_b32 s61, s61
	s_cbranch_execz .LBB145_156
; %bb.155:                              ;   in Loop: Header=BB145_133 Depth=2
	v_div_scale_f32 v21, null, v31, v31, -v19
	v_div_scale_f32 v32, vcc_lo, -v19, v31, -v19
	s_delay_alu instid0(VALU_DEP_2) | instskip(SKIP_2) | instid1(VALU_DEP_1)
	v_rcp_f32_e32 v28, v21
	s_waitcnt_depctr 0xfff
	v_fma_f32 v30, -v21, v28, 1.0
	v_fmac_f32_e32 v28, v30, v28
	s_delay_alu instid0(VALU_DEP_1) | instskip(NEXT) | instid1(VALU_DEP_1)
	v_mul_f32_e32 v30, v32, v28
	v_fma_f32 v33, -v21, v30, v32
	s_delay_alu instid0(VALU_DEP_1) | instskip(NEXT) | instid1(VALU_DEP_1)
	v_fmac_f32_e32 v30, v33, v28
	v_fma_f32 v21, -v21, v30, v32
	s_delay_alu instid0(VALU_DEP_1) | instskip(NEXT) | instid1(VALU_DEP_1)
	v_div_fmas_f32 v21, v21, v28, v30
	v_div_fixup_f32 v19, v21, v31, -v19
	s_delay_alu instid0(VALU_DEP_1) | instskip(NEXT) | instid1(VALU_DEP_1)
	v_fma_f32 v21, v19, v19, 1.0
	v_mul_f32_e32 v28, 0x4f800000, v21
	v_cmp_gt_f32_e32 vcc_lo, 0xf800000, v21
	s_delay_alu instid0(VALU_DEP_2) | instskip(NEXT) | instid1(VALU_DEP_1)
	v_cndmask_b32_e32 v21, v21, v28, vcc_lo
	v_sqrt_f32_e32 v28, v21
	s_waitcnt_depctr 0xfff
	v_add_nc_u32_e32 v30, -1, v28
	v_add_nc_u32_e32 v32, 1, v28
	s_delay_alu instid0(VALU_DEP_2) | instskip(NEXT) | instid1(VALU_DEP_2)
	v_fma_f32 v33, -v30, v28, v21
	v_fma_f32 v34, -v32, v28, v21
	s_delay_alu instid0(VALU_DEP_2) | instskip(NEXT) | instid1(VALU_DEP_1)
	v_cmp_ge_f32_e64 s1, 0, v33
	v_cndmask_b32_e64 v28, v28, v30, s1
	s_delay_alu instid0(VALU_DEP_3) | instskip(NEXT) | instid1(VALU_DEP_1)
	v_cmp_lt_f32_e64 s1, 0, v34
	v_cndmask_b32_e64 v28, v28, v32, s1
	s_delay_alu instid0(VALU_DEP_1) | instskip(NEXT) | instid1(VALU_DEP_1)
	v_mul_f32_e32 v30, 0x37800000, v28
	v_cndmask_b32_e32 v28, v28, v30, vcc_lo
	v_cmp_class_f32_e64 vcc_lo, v21, 0x260
	s_delay_alu instid0(VALU_DEP_2) | instskip(NEXT) | instid1(VALU_DEP_1)
	v_cndmask_b32_e32 v21, v28, v21, vcc_lo
	v_div_scale_f32 v28, null, v21, v21, 1.0
	s_delay_alu instid0(VALU_DEP_1) | instskip(SKIP_2) | instid1(VALU_DEP_1)
	v_rcp_f32_e32 v30, v28
	s_waitcnt_depctr 0xfff
	v_fma_f32 v32, -v28, v30, 1.0
	v_fmac_f32_e32 v30, v32, v30
	v_div_scale_f32 v32, vcc_lo, 1.0, v21, 1.0
	s_delay_alu instid0(VALU_DEP_1) | instskip(NEXT) | instid1(VALU_DEP_1)
	v_mul_f32_e32 v33, v32, v30
	v_fma_f32 v34, -v28, v33, v32
	s_delay_alu instid0(VALU_DEP_1) | instskip(NEXT) | instid1(VALU_DEP_1)
	v_fmac_f32_e32 v33, v34, v30
	v_fma_f32 v28, -v28, v33, v32
	s_delay_alu instid0(VALU_DEP_1) | instskip(NEXT) | instid1(VALU_DEP_1)
	v_div_fmas_f32 v28, v28, v30, v33
	v_div_fixup_f32 v33, v28, v21, 1.0
	s_delay_alu instid0(VALU_DEP_1)
	v_mul_f32_e32 v21, v19, v33
.LBB145_156:                            ;   in Loop: Header=BB145_133 Depth=2
	s_or_b32 exec_lo, exec_lo, s61
.LBB145_157:                            ;   in Loop: Header=BB145_133 Depth=2
	s_delay_alu instid0(SALU_CYCLE_1)
	s_or_b32 exec_lo, exec_lo, s60
.LBB145_158:                            ;   in Loop: Header=BB145_133 Depth=2
	s_delay_alu instid0(SALU_CYCLE_1)
	s_or_b32 exec_lo, exec_lo, s59
	global_load_b32 v19, v[24:25], off offset:4
	v_add_f32_e32 v30, v21, v21
	v_add_co_u32 v26, vcc_lo, s72, v26
	v_add_co_ci_u32_e32 v27, vcc_lo, s73, v27, vcc_lo
	v_xor_b32_e32 v32, 0x80000000, v33
	s_mov_b32 s59, exec_lo
	s_waitcnt vmcnt(0)
	v_dual_sub_f32 v19, v19, v29 :: v_dual_add_nc_u32 v28, 1, v20
	s_delay_alu instid0(VALU_DEP_1) | instskip(NEXT) | instid1(VALU_DEP_1)
	v_mul_f32_e32 v19, v33, v19
	v_fma_f32 v19, v31, v30, -v19
	s_delay_alu instid0(VALU_DEP_1)
	v_mul_f32_e64 v30, v19, -v33
	v_fma_f32 v29, v19, -v33, v29
	v_add_co_u32 v33, vcc_lo, v26, s46
	v_fma_f32 v19, v21, v19, -v31
	v_add_co_ci_u32_e32 v34, vcc_lo, s47, v27, vcc_lo
	ds_store_b32 v0, v30 offset:8
	global_store_b32 v[24:25], v29, off
	s_clause 0x1
	global_store_b32 v[26:27], v21, off
	global_store_b32 v[33:34], v32, off offset:-4
	v_cmpx_lt_i32_e64 v28, v16
	s_cbranch_execz .LBB145_174
; %bb.159:                              ;   in Loop: Header=BB145_133 Depth=2
	v_ashrrev_i32_e32 v29, 31, v28
	s_mov_b32 s61, 1
	s_mov_b32 s60, 0
	s_delay_alu instid0(VALU_DEP_1) | instskip(NEXT) | instid1(VALU_DEP_1)
	v_lshlrev_b64 v[28:29], 2, v[28:29]
	v_add_co_u32 v24, vcc_lo, s72, v28
	s_delay_alu instid0(VALU_DEP_2)
	v_add_co_ci_u32_e32 v25, vcc_lo, s73, v29, vcc_lo
	v_add_co_u32 v26, vcc_lo, s42, v28
	v_add_co_ci_u32_e32 v27, vcc_lo, s43, v29, vcc_lo
	v_add_co_u32 v28, vcc_lo, s74, v28
	v_add_co_ci_u32_e32 v29, vcc_lo, s75, v29, vcc_lo
	s_branch .LBB145_161
.LBB145_160:                            ;   in Loop: Header=BB145_161 Depth=3
	global_load_b64 v[35:36], v[28:29], off
	s_add_i32 s61, s61, 1
	v_add_co_u32 v26, vcc_lo, v26, 4
	v_add_co_ci_u32_e32 v27, vcc_lo, 0, v27, vcc_lo
	v_xor_b32_e32 v32, 0x80000000, v34
	s_waitcnt vmcnt(0)
	v_sub_f32_e32 v19, v35, v30
	v_add_co_u32 v35, vcc_lo, v28, 4
	s_delay_alu instid0(VALU_DEP_2) | instskip(SKIP_3) | instid1(VALU_DEP_4)
	v_sub_f32_e32 v30, v36, v19
	v_mul_f32_e32 v21, v21, v31
	v_add_f32_e32 v31, v33, v33
	v_add_co_ci_u32_e32 v36, vcc_lo, 0, v29, vcc_lo
	v_mul_f32_e32 v30, v34, v30
	v_add_co_u32 v42, vcc_lo, v24, s7
	v_add_co_ci_u32_e32 v43, vcc_lo, s78, v25, vcc_lo
	s_delay_alu instid0(VALU_DEP_3) | instskip(SKIP_1) | instid1(VALU_DEP_2)
	v_fma_f32 v31, v21, v31, -v30
	v_add_nc_u32_e32 v30, s61, v20
	v_fma_f32 v44, v31, -v34, v19
	s_delay_alu instid0(VALU_DEP_2)
	v_cmp_ge_i32_e32 vcc_lo, v30, v16
	v_mul_f32_e64 v30, v31, -v34
	v_fma_f32 v19, v33, v31, -v21
	v_mov_b32_e32 v21, v33
	global_store_b32 v[28:29], v44, off
	global_store_b32 v[24:25], v33, off
	v_add_co_u32 v24, s1, v24, 4
	s_delay_alu instid0(VALU_DEP_1)
	v_add_co_ci_u32_e64 v25, s1, 0, v25, s1
	v_dual_mov_b32 v28, v35 :: v_dual_mov_b32 v29, v36
	s_or_b32 s60, vcc_lo, s60
	global_store_b32 v[42:43], v32, off
	s_and_not1_b32 exec_lo, exec_lo, s60
	s_cbranch_execz .LBB145_173
.LBB145_161:                            ;   Parent Loop BB145_7 Depth=1
                                        ;     Parent Loop BB145_133 Depth=2
                                        ; =>    This Inner Loop Header: Depth=3
	global_load_b32 v31, v[26:27], off offset:4
	v_mov_b32_e32 v34, 0
	s_mov_b32 s62, exec_lo
	s_waitcnt vmcnt(0)
	v_dual_mov_b32 v33, 1.0 :: v_dual_mul_f32 v32, v32, v31
	s_delay_alu instid0(VALU_DEP_1)
	v_cmpx_neq_f32_e32 0, v32
	s_cbranch_execz .LBB145_171
; %bb.162:                              ;   in Loop: Header=BB145_161 Depth=3
                                        ; implicit-def: $vgpr34
                                        ; implicit-def: $vgpr33
	s_mov_b32 s1, exec_lo
	v_cmpx_neq_f32_e32 0, v19
	s_xor_b32 s63, exec_lo, s1
	s_cbranch_execz .LBB145_168
; %bb.163:                              ;   in Loop: Header=BB145_161 Depth=3
	s_mov_b32 s64, exec_lo
                                        ; implicit-def: $vgpr34
                                        ; implicit-def: $vgpr33
	v_cmpx_ngt_f32_e64 |v32|, |v19|
	s_xor_b32 s64, exec_lo, s64
	s_cbranch_execz .LBB145_165
; %bb.164:                              ;   in Loop: Header=BB145_161 Depth=3
	v_div_scale_f32 v33, null, v19, v19, -v32
	v_div_scale_f32 v36, vcc_lo, -v32, v19, -v32
	s_delay_alu instid0(VALU_DEP_2) | instskip(SKIP_2) | instid1(VALU_DEP_1)
	v_rcp_f32_e32 v34, v33
	s_waitcnt_depctr 0xfff
	v_fma_f32 v35, -v33, v34, 1.0
	v_fmac_f32_e32 v34, v35, v34
	s_delay_alu instid0(VALU_DEP_1) | instskip(NEXT) | instid1(VALU_DEP_1)
	v_mul_f32_e32 v35, v36, v34
	v_fma_f32 v42, -v33, v35, v36
	s_delay_alu instid0(VALU_DEP_1) | instskip(NEXT) | instid1(VALU_DEP_1)
	v_fmac_f32_e32 v35, v42, v34
	v_fma_f32 v33, -v33, v35, v36
	s_delay_alu instid0(VALU_DEP_1) | instskip(NEXT) | instid1(VALU_DEP_1)
	v_div_fmas_f32 v33, v33, v34, v35
	v_div_fixup_f32 v34, v33, v19, -v32
	s_delay_alu instid0(VALU_DEP_1) | instskip(NEXT) | instid1(VALU_DEP_1)
	v_fma_f32 v33, v34, v34, 1.0
	v_mul_f32_e32 v35, 0x4f800000, v33
	v_cmp_gt_f32_e32 vcc_lo, 0xf800000, v33
	s_delay_alu instid0(VALU_DEP_2) | instskip(NEXT) | instid1(VALU_DEP_1)
	v_cndmask_b32_e32 v33, v33, v35, vcc_lo
	v_sqrt_f32_e32 v35, v33
	s_waitcnt_depctr 0xfff
	v_add_nc_u32_e32 v36, -1, v35
	v_add_nc_u32_e32 v42, 1, v35
	s_delay_alu instid0(VALU_DEP_2) | instskip(NEXT) | instid1(VALU_DEP_2)
	v_fma_f32 v43, -v36, v35, v33
	v_fma_f32 v44, -v42, v35, v33
	s_delay_alu instid0(VALU_DEP_2) | instskip(NEXT) | instid1(VALU_DEP_1)
	v_cmp_ge_f32_e64 s1, 0, v43
	v_cndmask_b32_e64 v35, v35, v36, s1
	s_delay_alu instid0(VALU_DEP_3) | instskip(NEXT) | instid1(VALU_DEP_1)
	v_cmp_lt_f32_e64 s1, 0, v44
	v_cndmask_b32_e64 v35, v35, v42, s1
	s_delay_alu instid0(VALU_DEP_1) | instskip(NEXT) | instid1(VALU_DEP_1)
	v_mul_f32_e32 v36, 0x37800000, v35
	v_cndmask_b32_e32 v35, v35, v36, vcc_lo
	v_cmp_class_f32_e64 vcc_lo, v33, 0x260
	s_delay_alu instid0(VALU_DEP_2) | instskip(NEXT) | instid1(VALU_DEP_1)
	v_cndmask_b32_e32 v33, v35, v33, vcc_lo
	v_div_scale_f32 v35, null, v33, v33, 1.0
	s_delay_alu instid0(VALU_DEP_1) | instskip(SKIP_2) | instid1(VALU_DEP_1)
	v_rcp_f32_e32 v36, v35
	s_waitcnt_depctr 0xfff
	v_fma_f32 v42, -v35, v36, 1.0
	v_fmac_f32_e32 v36, v42, v36
	v_div_scale_f32 v42, vcc_lo, 1.0, v33, 1.0
	s_delay_alu instid0(VALU_DEP_1) | instskip(NEXT) | instid1(VALU_DEP_1)
	v_mul_f32_e32 v43, v42, v36
	v_fma_f32 v44, -v35, v43, v42
	s_delay_alu instid0(VALU_DEP_1) | instskip(NEXT) | instid1(VALU_DEP_1)
	v_fmac_f32_e32 v43, v44, v36
	v_fma_f32 v35, -v35, v43, v42
	s_delay_alu instid0(VALU_DEP_1) | instskip(NEXT) | instid1(VALU_DEP_1)
	v_div_fmas_f32 v35, v35, v36, v43
	v_div_fixup_f32 v33, v35, v33, 1.0
	s_delay_alu instid0(VALU_DEP_1)
	v_mul_f32_e32 v34, v34, v33
.LBB145_165:                            ;   in Loop: Header=BB145_161 Depth=3
	s_and_not1_saveexec_b32 s64, s64
	s_cbranch_execz .LBB145_167
; %bb.166:                              ;   in Loop: Header=BB145_161 Depth=3
	v_div_scale_f32 v33, null, v32, v32, -v19
	v_div_scale_f32 v36, vcc_lo, -v19, v32, -v19
	s_delay_alu instid0(VALU_DEP_2) | instskip(SKIP_2) | instid1(VALU_DEP_1)
	v_rcp_f32_e32 v34, v33
	s_waitcnt_depctr 0xfff
	v_fma_f32 v35, -v33, v34, 1.0
	v_fmac_f32_e32 v34, v35, v34
	s_delay_alu instid0(VALU_DEP_1) | instskip(NEXT) | instid1(VALU_DEP_1)
	v_mul_f32_e32 v35, v36, v34
	v_fma_f32 v42, -v33, v35, v36
	s_delay_alu instid0(VALU_DEP_1) | instskip(NEXT) | instid1(VALU_DEP_1)
	v_fmac_f32_e32 v35, v42, v34
	v_fma_f32 v33, -v33, v35, v36
	s_delay_alu instid0(VALU_DEP_1) | instskip(NEXT) | instid1(VALU_DEP_1)
	v_div_fmas_f32 v33, v33, v34, v35
	v_div_fixup_f32 v33, v33, v32, -v19
	s_delay_alu instid0(VALU_DEP_1) | instskip(NEXT) | instid1(VALU_DEP_1)
	v_fma_f32 v34, v33, v33, 1.0
	v_mul_f32_e32 v35, 0x4f800000, v34
	v_cmp_gt_f32_e32 vcc_lo, 0xf800000, v34
	s_delay_alu instid0(VALU_DEP_2) | instskip(NEXT) | instid1(VALU_DEP_1)
	v_cndmask_b32_e32 v34, v34, v35, vcc_lo
	v_sqrt_f32_e32 v35, v34
	s_waitcnt_depctr 0xfff
	v_add_nc_u32_e32 v36, -1, v35
	v_add_nc_u32_e32 v42, 1, v35
	s_delay_alu instid0(VALU_DEP_2) | instskip(NEXT) | instid1(VALU_DEP_2)
	v_fma_f32 v43, -v36, v35, v34
	v_fma_f32 v44, -v42, v35, v34
	s_delay_alu instid0(VALU_DEP_2) | instskip(NEXT) | instid1(VALU_DEP_1)
	v_cmp_ge_f32_e64 s1, 0, v43
	v_cndmask_b32_e64 v35, v35, v36, s1
	s_delay_alu instid0(VALU_DEP_3) | instskip(NEXT) | instid1(VALU_DEP_1)
	v_cmp_lt_f32_e64 s1, 0, v44
	v_cndmask_b32_e64 v35, v35, v42, s1
	s_delay_alu instid0(VALU_DEP_1) | instskip(NEXT) | instid1(VALU_DEP_1)
	v_mul_f32_e32 v36, 0x37800000, v35
	v_cndmask_b32_e32 v35, v35, v36, vcc_lo
	v_cmp_class_f32_e64 vcc_lo, v34, 0x260
	s_delay_alu instid0(VALU_DEP_2) | instskip(NEXT) | instid1(VALU_DEP_1)
	v_cndmask_b32_e32 v34, v35, v34, vcc_lo
	v_div_scale_f32 v35, null, v34, v34, 1.0
	s_delay_alu instid0(VALU_DEP_1) | instskip(SKIP_2) | instid1(VALU_DEP_1)
	v_rcp_f32_e32 v36, v35
	s_waitcnt_depctr 0xfff
	v_fma_f32 v42, -v35, v36, 1.0
	v_fmac_f32_e32 v36, v42, v36
	v_div_scale_f32 v42, vcc_lo, 1.0, v34, 1.0
	s_delay_alu instid0(VALU_DEP_1) | instskip(NEXT) | instid1(VALU_DEP_1)
	v_mul_f32_e32 v43, v42, v36
	v_fma_f32 v44, -v35, v43, v42
	s_delay_alu instid0(VALU_DEP_1) | instskip(NEXT) | instid1(VALU_DEP_1)
	v_fmac_f32_e32 v43, v44, v36
	v_fma_f32 v35, -v35, v43, v42
	s_delay_alu instid0(VALU_DEP_1) | instskip(NEXT) | instid1(VALU_DEP_1)
	v_div_fmas_f32 v35, v35, v36, v43
	v_div_fixup_f32 v34, v35, v34, 1.0
	s_delay_alu instid0(VALU_DEP_1)
	v_mul_f32_e32 v33, v33, v34
.LBB145_167:                            ;   in Loop: Header=BB145_161 Depth=3
	s_or_b32 exec_lo, exec_lo, s64
	s_delay_alu instid0(VALU_DEP_1) | instskip(NEXT) | instid1(VALU_DEP_1)
	v_mul_f32_e32 v32, v32, v34
	v_fma_f32 v19, v19, v33, -v32
                                        ; implicit-def: $vgpr32
.LBB145_168:                            ;   in Loop: Header=BB145_161 Depth=3
	s_and_not1_saveexec_b32 s1, s63
; %bb.169:                              ;   in Loop: Header=BB145_161 Depth=3
	v_xor_b32_e32 v19, 0x80000000, v32
	v_dual_mov_b32 v34, 1.0 :: v_dual_mov_b32 v33, 0
; %bb.170:                              ;   in Loop: Header=BB145_161 Depth=3
	s_or_b32 exec_lo, exec_lo, s1
.LBB145_171:                            ;   in Loop: Header=BB145_161 Depth=3
	s_delay_alu instid0(SALU_CYCLE_1)
	s_or_b32 exec_lo, exec_lo, s62
	s_cmp_eq_u32 s61, 0
	s_cbranch_scc1 .LBB145_160
; %bb.172:                              ;   in Loop: Header=BB145_161 Depth=3
	global_store_b32 v[26:27], v19, off
	s_branch .LBB145_160
.LBB145_173:                            ;   in Loop: Header=BB145_133 Depth=2
	s_or_b32 exec_lo, exec_lo, s60
	ds_store_b32 v0, v30 offset:8
.LBB145_174:                            ;   in Loop: Header=BB145_133 Depth=2
	s_or_b32 exec_lo, exec_lo, s59
	global_load_b32 v28, v[17:18], off
.LBB145_175:                            ;   in Loop: Header=BB145_133 Depth=2
	s_or_b32 exec_lo, exec_lo, s58
	s_waitcnt vmcnt(0)
	v_sub_f32_e32 v16, v28, v30
                                        ; implicit-def: $vgpr28
                                        ; implicit-def: $vgpr20
	global_store_b32 v[17:18], v16, off
	global_store_b32 v[22:23], v19, off
                                        ; implicit-def: $vgpr17_vgpr18
                                        ; implicit-def: $vgpr22_vgpr23
                                        ; implicit-def: $vgpr16
.LBB145_176:                            ;   in Loop: Header=BB145_133 Depth=2
	s_and_not1_saveexec_b32 s58, s3
	s_cbranch_execz .LBB145_209
; %bb.177:                              ;   in Loop: Header=BB145_133 Depth=2
	v_ashrrev_i32_e32 v21, 31, v20
	s_mov_b32 s3, exec_lo
	s_delay_alu instid0(VALU_DEP_1) | instskip(NEXT) | instid1(VALU_DEP_1)
	v_lshlrev_b64 v[19:20], 2, v[20:21]
	v_add_co_u32 v24, vcc_lo, s10, v19
	s_delay_alu instid0(VALU_DEP_2)
	v_add_co_ci_u32_e32 v25, vcc_lo, s33, v20, vcc_lo
	v_add_co_u32 v26, vcc_lo, s18, v19
	v_add_co_ci_u32_e32 v27, vcc_lo, s19, v20, vcc_lo
	global_load_b32 v29, v[24:25], off
	global_load_b32 v24, v[26:27], off
                                        ; implicit-def: $vgpr27
	s_waitcnt vmcnt(0)
	v_dual_add_f32 v21, v29, v29 :: v_dual_sub_f32 v26, v24, v28
	s_delay_alu instid0(VALU_DEP_1) | instskip(NEXT) | instid1(VALU_DEP_2)
	v_and_b32_e32 v25, 0x7fffffff, v21
	v_cmpx_ngt_f32_e64 |v26|, |v21|
	s_xor_b32 s3, exec_lo, s3
	s_cbranch_execz .LBB145_183
; %bb.178:                              ;   in Loop: Header=BB145_133 Depth=2
	v_cmp_nlt_f32_e64 s1, |v26|, |v21|
                                        ; implicit-def: $vgpr27
	s_delay_alu instid0(VALU_DEP_1) | instskip(NEXT) | instid1(SALU_CYCLE_1)
	s_and_saveexec_b32 s59, s1
	s_xor_b32 s1, exec_lo, s59
; %bb.179:                              ;   in Loop: Header=BB145_133 Depth=2
	v_cvt_f64_f32_e32 v[30:31], v25
                                        ; implicit-def: $vgpr25
	s_delay_alu instid0(VALU_DEP_1) | instskip(NEXT) | instid1(VALU_DEP_1)
	v_mul_f64 v[30:31], v[30:31], s[56:57]
	v_cvt_f32_f64_e32 v27, v[30:31]
; %bb.180:                              ;   in Loop: Header=BB145_133 Depth=2
	s_and_not1_saveexec_b32 s59, s1
	s_cbranch_execz .LBB145_182
; %bb.181:                              ;   in Loop: Header=BB145_133 Depth=2
	v_and_b32_e32 v27, 0x7fffffff, v26
	s_delay_alu instid0(VALU_DEP_1) | instskip(SKIP_1) | instid1(VALU_DEP_2)
	v_div_scale_f32 v30, null, v25, v25, v27
	v_div_scale_f32 v25, vcc_lo, v27, v25, v27
	v_rcp_f32_e32 v31, v30
	s_waitcnt_depctr 0xfff
	v_fma_f32 v32, -v30, v31, 1.0
	s_delay_alu instid0(VALU_DEP_1) | instskip(NEXT) | instid1(VALU_DEP_1)
	v_fmac_f32_e32 v31, v32, v31
	v_mul_f32_e32 v27, v25, v31
	s_delay_alu instid0(VALU_DEP_1) | instskip(NEXT) | instid1(VALU_DEP_1)
	v_fma_f32 v32, -v30, v27, v25
	v_fmac_f32_e32 v27, v32, v31
	s_delay_alu instid0(VALU_DEP_1) | instskip(NEXT) | instid1(VALU_DEP_1)
	v_fma_f32 v25, -v30, v27, v25
	v_div_fmas_f32 v25, v25, v31, v27
	s_delay_alu instid0(VALU_DEP_1) | instskip(NEXT) | instid1(VALU_DEP_1)
	v_div_fixup_f32 v25, v25, |v21|, |v26|
	v_fma_f32 v25, v25, v25, 1.0
	s_delay_alu instid0(VALU_DEP_1) | instskip(SKIP_1) | instid1(VALU_DEP_2)
	v_mul_f32_e32 v27, 0x4f800000, v25
	v_cmp_gt_f32_e32 vcc_lo, 0xf800000, v25
	v_cndmask_b32_e32 v25, v25, v27, vcc_lo
	s_delay_alu instid0(VALU_DEP_1) | instskip(SKIP_3) | instid1(VALU_DEP_2)
	v_sqrt_f32_e32 v27, v25
	s_waitcnt_depctr 0xfff
	v_add_nc_u32_e32 v30, -1, v27
	v_add_nc_u32_e32 v31, 1, v27
	v_fma_f32 v32, -v30, v27, v25
	s_delay_alu instid0(VALU_DEP_2) | instskip(NEXT) | instid1(VALU_DEP_2)
	v_fma_f32 v33, -v31, v27, v25
	v_cmp_ge_f32_e64 s1, 0, v32
	s_delay_alu instid0(VALU_DEP_1) | instskip(NEXT) | instid1(VALU_DEP_3)
	v_cndmask_b32_e64 v27, v27, v30, s1
	v_cmp_lt_f32_e64 s1, 0, v33
	s_delay_alu instid0(VALU_DEP_1) | instskip(NEXT) | instid1(VALU_DEP_1)
	v_cndmask_b32_e64 v27, v27, v31, s1
	v_mul_f32_e32 v30, 0x37800000, v27
	s_delay_alu instid0(VALU_DEP_1) | instskip(SKIP_1) | instid1(VALU_DEP_2)
	v_cndmask_b32_e32 v27, v27, v30, vcc_lo
	v_cmp_class_f32_e64 vcc_lo, v25, 0x260
	v_cndmask_b32_e32 v25, v27, v25, vcc_lo
	s_delay_alu instid0(VALU_DEP_1)
	v_mul_f32_e64 v27, |v21|, v25
.LBB145_182:                            ;   in Loop: Header=BB145_133 Depth=2
	s_or_b32 exec_lo, exec_lo, s59
                                        ; implicit-def: $vgpr25
.LBB145_183:                            ;   in Loop: Header=BB145_133 Depth=2
	s_and_not1_saveexec_b32 s3, s3
	s_cbranch_execz .LBB145_185
; %bb.184:                              ;   in Loop: Header=BB145_133 Depth=2
	v_and_b32_e32 v27, 0x7fffffff, v26
	s_delay_alu instid0(VALU_DEP_1) | instskip(SKIP_1) | instid1(VALU_DEP_2)
	v_div_scale_f32 v30, null, v27, v27, v25
	v_div_scale_f32 v25, vcc_lo, v25, v27, v25
	v_rcp_f32_e32 v31, v30
	s_waitcnt_depctr 0xfff
	v_fma_f32 v32, -v30, v31, 1.0
	s_delay_alu instid0(VALU_DEP_1) | instskip(NEXT) | instid1(VALU_DEP_1)
	v_fmac_f32_e32 v31, v32, v31
	v_mul_f32_e32 v27, v25, v31
	s_delay_alu instid0(VALU_DEP_1) | instskip(NEXT) | instid1(VALU_DEP_1)
	v_fma_f32 v32, -v30, v27, v25
	v_fmac_f32_e32 v27, v32, v31
	s_delay_alu instid0(VALU_DEP_1) | instskip(NEXT) | instid1(VALU_DEP_1)
	v_fma_f32 v25, -v30, v27, v25
	v_div_fmas_f32 v25, v25, v31, v27
	s_delay_alu instid0(VALU_DEP_1) | instskip(NEXT) | instid1(VALU_DEP_1)
	v_div_fixup_f32 v25, v25, |v26|, |v21|
	v_fma_f32 v25, v25, v25, 1.0
	s_delay_alu instid0(VALU_DEP_1) | instskip(SKIP_1) | instid1(VALU_DEP_2)
	v_mul_f32_e32 v27, 0x4f800000, v25
	v_cmp_gt_f32_e32 vcc_lo, 0xf800000, v25
	v_cndmask_b32_e32 v25, v25, v27, vcc_lo
	s_delay_alu instid0(VALU_DEP_1) | instskip(SKIP_3) | instid1(VALU_DEP_2)
	v_sqrt_f32_e32 v27, v25
	s_waitcnt_depctr 0xfff
	v_add_nc_u32_e32 v30, -1, v27
	v_add_nc_u32_e32 v31, 1, v27
	v_fma_f32 v32, -v30, v27, v25
	s_delay_alu instid0(VALU_DEP_2) | instskip(NEXT) | instid1(VALU_DEP_2)
	v_fma_f32 v33, -v31, v27, v25
	v_cmp_ge_f32_e64 s1, 0, v32
	s_delay_alu instid0(VALU_DEP_1) | instskip(NEXT) | instid1(VALU_DEP_3)
	v_cndmask_b32_e64 v27, v27, v30, s1
	v_cmp_lt_f32_e64 s1, 0, v33
	s_delay_alu instid0(VALU_DEP_1) | instskip(NEXT) | instid1(VALU_DEP_1)
	v_cndmask_b32_e64 v27, v27, v31, s1
	v_mul_f32_e32 v30, 0x37800000, v27
	s_delay_alu instid0(VALU_DEP_1) | instskip(SKIP_1) | instid1(VALU_DEP_2)
	v_cndmask_b32_e32 v27, v27, v30, vcc_lo
	v_cmp_class_f32_e64 vcc_lo, v25, 0x260
	v_cndmask_b32_e32 v25, v27, v25, vcc_lo
	s_delay_alu instid0(VALU_DEP_1)
	v_mul_f32_e64 v27, |v26|, v25
.LBB145_185:                            ;   in Loop: Header=BB145_133 Depth=2
	s_or_b32 exec_lo, exec_lo, s3
	v_cmp_gt_f32_e64 vcc_lo, |v24|, |v28|
	v_add_f32_e32 v31, v28, v24
                                        ; implicit-def: $vgpr25
	s_mov_b32 s1, exec_lo
	v_cndmask_b32_e32 v30, v24, v28, vcc_lo
	v_cndmask_b32_e32 v32, v28, v24, vcc_lo
                                        ; implicit-def: $vgpr28
	s_delay_alu instid0(VALU_DEP_3)
	v_cmpx_ngt_f32_e32 0, v31
	s_xor_b32 s3, exec_lo, s1
	s_cbranch_execz .LBB145_191
; %bb.186:                              ;   in Loop: Header=BB145_133 Depth=2
	s_mov_b32 s59, exec_lo
                                        ; implicit-def: $sgpr1
                                        ; implicit-def: $vgpr25
	v_cmpx_nlt_f32_e32 0, v31
	s_xor_b32 s59, exec_lo, s59
; %bb.187:                              ;   in Loop: Header=BB145_133 Depth=2
	v_mul_f32_e32 v24, 0.5, v27
	v_mul_f32_e32 v25, -0.5, v27
	s_mov_b32 s1, 1
                                        ; implicit-def: $vgpr31
                                        ; implicit-def: $vgpr32
                                        ; implicit-def: $vgpr30
                                        ; implicit-def: $vgpr29
; %bb.188:                              ;   in Loop: Header=BB145_133 Depth=2
	s_or_saveexec_b32 s59, s59
	v_mov_b32_e32 v28, s1
	s_xor_b32 exec_lo, exec_lo, s59
	s_cbranch_execz .LBB145_190
; %bb.189:                              ;   in Loop: Header=BB145_133 Depth=2
	v_add_f32_e32 v24, v31, v27
	v_cvt_f64_f32_e32 v[31:32], v32
	v_cvt_f64_f32_e32 v[28:29], v29
	s_delay_alu instid0(VALU_DEP_3) | instskip(NEXT) | instid1(VALU_DEP_1)
	v_mul_f32_e32 v24, 0.5, v24
	v_cvt_f64_f32_e32 v[33:34], v24
	s_delay_alu instid0(VALU_DEP_1) | instskip(NEXT) | instid1(VALU_DEP_4)
	v_div_scale_f64 v[35:36], null, v[33:34], v[33:34], v[31:32]
	v_div_scale_f64 v[42:43], null, v[33:34], v[33:34], v[28:29]
	v_div_scale_f64 v[52:53], vcc_lo, v[31:32], v[33:34], v[31:32]
	s_delay_alu instid0(VALU_DEP_3) | instskip(NEXT) | instid1(VALU_DEP_2)
	v_rcp_f64_e32 v[44:45], v[35:36]
	v_rcp_f64_e32 v[46:47], v[42:43]
	s_waitcnt_depctr 0xfff
	v_fma_f64 v[48:49], -v[35:36], v[44:45], 1.0
	v_fma_f64 v[50:51], -v[42:43], v[46:47], 1.0
	s_delay_alu instid0(VALU_DEP_2) | instskip(NEXT) | instid1(VALU_DEP_2)
	v_fma_f64 v[44:45], v[44:45], v[48:49], v[44:45]
	v_fma_f64 v[46:47], v[46:47], v[50:51], v[46:47]
	s_delay_alu instid0(VALU_DEP_2) | instskip(NEXT) | instid1(VALU_DEP_2)
	v_fma_f64 v[48:49], -v[35:36], v[44:45], 1.0
	v_fma_f64 v[50:51], -v[42:43], v[46:47], 1.0
	s_delay_alu instid0(VALU_DEP_2) | instskip(SKIP_1) | instid1(VALU_DEP_3)
	v_fma_f64 v[44:45], v[44:45], v[48:49], v[44:45]
	v_div_scale_f64 v[48:49], s1, v[28:29], v[33:34], v[28:29]
	v_fma_f64 v[46:47], v[46:47], v[50:51], v[46:47]
	s_delay_alu instid0(VALU_DEP_3) | instskip(NEXT) | instid1(VALU_DEP_2)
	v_mul_f64 v[50:51], v[52:53], v[44:45]
	v_mul_f64 v[54:55], v[48:49], v[46:47]
	s_delay_alu instid0(VALU_DEP_2) | instskip(NEXT) | instid1(VALU_DEP_2)
	v_fma_f64 v[35:36], -v[35:36], v[50:51], v[52:53]
	v_fma_f64 v[42:43], -v[42:43], v[54:55], v[48:49]
	s_delay_alu instid0(VALU_DEP_2) | instskip(SKIP_1) | instid1(VALU_DEP_2)
	v_div_fmas_f64 v[35:36], v[35:36], v[44:45], v[50:51]
	s_mov_b32 vcc_lo, s1
	v_div_fmas_f64 v[42:43], v[42:43], v[46:47], v[54:55]
	s_delay_alu instid0(VALU_DEP_2) | instskip(NEXT) | instid1(VALU_DEP_2)
	v_div_fixup_f64 v[31:32], v[35:36], v[33:34], v[31:32]
	v_div_fixup_f64 v[42:43], v[42:43], v[33:34], v[28:29]
	v_cvt_f64_f32_e32 v[33:34], v30
	s_delay_alu instid0(VALU_DEP_2) | instskip(NEXT) | instid1(VALU_DEP_1)
	v_mul_f64 v[28:29], v[42:43], v[28:29]
	v_fma_f64 v[28:29], v[31:32], v[33:34], -v[28:29]
	s_delay_alu instid0(VALU_DEP_1)
	v_cvt_f32_f64_e32 v25, v[28:29]
	v_mov_b32_e32 v28, 1
.LBB145_190:                            ;   in Loop: Header=BB145_133 Depth=2
	s_or_b32 exec_lo, exec_lo, s59
                                        ; implicit-def: $vgpr31
                                        ; implicit-def: $vgpr32
                                        ; implicit-def: $vgpr30
                                        ; implicit-def: $vgpr29
.LBB145_191:                            ;   in Loop: Header=BB145_133 Depth=2
	s_and_not1_saveexec_b32 s3, s3
	s_cbranch_execz .LBB145_193
; %bb.192:                              ;   in Loop: Header=BB145_133 Depth=2
	v_sub_f32_e32 v24, v31, v27
	v_cvt_f64_f32_e32 v[31:32], v32
	v_cvt_f64_f32_e32 v[28:29], v29
	s_delay_alu instid0(VALU_DEP_3) | instskip(NEXT) | instid1(VALU_DEP_1)
	v_mul_f32_e32 v24, 0.5, v24
	v_cvt_f64_f32_e32 v[33:34], v24
	s_delay_alu instid0(VALU_DEP_1) | instskip(NEXT) | instid1(VALU_DEP_4)
	v_div_scale_f64 v[35:36], null, v[33:34], v[33:34], v[31:32]
	v_div_scale_f64 v[42:43], null, v[33:34], v[33:34], v[28:29]
	v_div_scale_f64 v[52:53], vcc_lo, v[31:32], v[33:34], v[31:32]
	s_delay_alu instid0(VALU_DEP_3) | instskip(NEXT) | instid1(VALU_DEP_2)
	v_rcp_f64_e32 v[44:45], v[35:36]
	v_rcp_f64_e32 v[46:47], v[42:43]
	s_waitcnt_depctr 0xfff
	v_fma_f64 v[48:49], -v[35:36], v[44:45], 1.0
	v_fma_f64 v[50:51], -v[42:43], v[46:47], 1.0
	s_delay_alu instid0(VALU_DEP_2) | instskip(NEXT) | instid1(VALU_DEP_2)
	v_fma_f64 v[44:45], v[44:45], v[48:49], v[44:45]
	v_fma_f64 v[46:47], v[46:47], v[50:51], v[46:47]
	s_delay_alu instid0(VALU_DEP_2) | instskip(NEXT) | instid1(VALU_DEP_2)
	v_fma_f64 v[48:49], -v[35:36], v[44:45], 1.0
	v_fma_f64 v[50:51], -v[42:43], v[46:47], 1.0
	s_delay_alu instid0(VALU_DEP_2) | instskip(SKIP_1) | instid1(VALU_DEP_3)
	v_fma_f64 v[44:45], v[44:45], v[48:49], v[44:45]
	v_div_scale_f64 v[48:49], s1, v[28:29], v[33:34], v[28:29]
	v_fma_f64 v[46:47], v[46:47], v[50:51], v[46:47]
	s_delay_alu instid0(VALU_DEP_3) | instskip(NEXT) | instid1(VALU_DEP_2)
	v_mul_f64 v[50:51], v[52:53], v[44:45]
	v_mul_f64 v[54:55], v[48:49], v[46:47]
	s_delay_alu instid0(VALU_DEP_2) | instskip(NEXT) | instid1(VALU_DEP_2)
	v_fma_f64 v[35:36], -v[35:36], v[50:51], v[52:53]
	v_fma_f64 v[42:43], -v[42:43], v[54:55], v[48:49]
	s_delay_alu instid0(VALU_DEP_2) | instskip(SKIP_1) | instid1(VALU_DEP_2)
	v_div_fmas_f64 v[35:36], v[35:36], v[44:45], v[50:51]
	s_mov_b32 vcc_lo, s1
	v_div_fmas_f64 v[42:43], v[42:43], v[46:47], v[54:55]
	s_delay_alu instid0(VALU_DEP_2) | instskip(NEXT) | instid1(VALU_DEP_2)
	v_div_fixup_f64 v[31:32], v[35:36], v[33:34], v[31:32]
	v_div_fixup_f64 v[42:43], v[42:43], v[33:34], v[28:29]
	v_cvt_f64_f32_e32 v[33:34], v30
	s_delay_alu instid0(VALU_DEP_2) | instskip(NEXT) | instid1(VALU_DEP_1)
	v_mul_f64 v[28:29], v[42:43], v[28:29]
	v_fma_f64 v[28:29], v[31:32], v[33:34], -v[28:29]
	s_delay_alu instid0(VALU_DEP_1)
	v_cvt_f32_f64_e32 v25, v[28:29]
	v_mov_b32_e32 v28, -1
.LBB145_193:                            ;   in Loop: Header=BB145_133 Depth=2
	s_or_b32 exec_lo, exec_lo, s3
	v_cmp_nle_f32_e64 s1, 0, v26
	s_mov_b32 s59, exec_lo
                                        ; implicit-def: $vgpr29
	s_delay_alu instid0(VALU_DEP_1) | instskip(NEXT) | instid1(VALU_DEP_1)
	v_cndmask_b32_e64 v27, v27, -v27, s1
	v_add_f32_e32 v26, v26, v27
                                        ; implicit-def: $vgpr27
	s_delay_alu instid0(VALU_DEP_1)
	v_cmpx_ngt_f32_e64 |v26|, |v21|
	s_xor_b32 s59, exec_lo, s59
	s_cbranch_execz .LBB145_197
; %bb.194:                              ;   in Loop: Header=BB145_133 Depth=2
	v_mov_b32_e32 v27, 0
	v_mov_b32_e32 v29, 1.0
	s_mov_b32 s60, exec_lo
	v_cmpx_neq_f32_e32 0, v21
	s_cbranch_execz .LBB145_196
; %bb.195:                              ;   in Loop: Header=BB145_133 Depth=2
	v_div_scale_f32 v27, null, v21, v21, -v26
	v_div_scale_f32 v31, vcc_lo, -v26, v21, -v26
	s_delay_alu instid0(VALU_DEP_2) | instskip(SKIP_2) | instid1(VALU_DEP_1)
	v_rcp_f32_e32 v29, v27
	s_waitcnt_depctr 0xfff
	v_fma_f32 v30, -v27, v29, 1.0
	v_fmac_f32_e32 v29, v30, v29
	s_delay_alu instid0(VALU_DEP_1) | instskip(NEXT) | instid1(VALU_DEP_1)
	v_mul_f32_e32 v30, v31, v29
	v_fma_f32 v32, -v27, v30, v31
	s_delay_alu instid0(VALU_DEP_1) | instskip(NEXT) | instid1(VALU_DEP_1)
	v_fmac_f32_e32 v30, v32, v29
	v_fma_f32 v27, -v27, v30, v31
	s_delay_alu instid0(VALU_DEP_1) | instskip(NEXT) | instid1(VALU_DEP_1)
	v_div_fmas_f32 v27, v27, v29, v30
	v_div_fixup_f32 v21, v27, v21, -v26
	s_delay_alu instid0(VALU_DEP_1) | instskip(NEXT) | instid1(VALU_DEP_1)
	v_fma_f32 v26, v21, v21, 1.0
	v_mul_f32_e32 v27, 0x4f800000, v26
	v_cmp_gt_f32_e32 vcc_lo, 0xf800000, v26
	s_delay_alu instid0(VALU_DEP_2) | instskip(NEXT) | instid1(VALU_DEP_1)
	v_cndmask_b32_e32 v26, v26, v27, vcc_lo
	v_sqrt_f32_e32 v27, v26
	s_waitcnt_depctr 0xfff
	v_add_nc_u32_e32 v29, -1, v27
	v_add_nc_u32_e32 v30, 1, v27
	s_delay_alu instid0(VALU_DEP_2) | instskip(NEXT) | instid1(VALU_DEP_2)
	v_fma_f32 v31, -v29, v27, v26
	v_fma_f32 v32, -v30, v27, v26
	s_delay_alu instid0(VALU_DEP_2) | instskip(NEXT) | instid1(VALU_DEP_1)
	v_cmp_ge_f32_e64 s3, 0, v31
	v_cndmask_b32_e64 v27, v27, v29, s3
	s_delay_alu instid0(VALU_DEP_3) | instskip(NEXT) | instid1(VALU_DEP_1)
	v_cmp_lt_f32_e64 s3, 0, v32
	v_cndmask_b32_e64 v27, v27, v30, s3
	s_delay_alu instid0(VALU_DEP_1) | instskip(NEXT) | instid1(VALU_DEP_1)
	v_mul_f32_e32 v29, 0x37800000, v27
	v_cndmask_b32_e32 v27, v27, v29, vcc_lo
	v_cmp_class_f32_e64 vcc_lo, v26, 0x260
	s_delay_alu instid0(VALU_DEP_2) | instskip(NEXT) | instid1(VALU_DEP_1)
	v_cndmask_b32_e32 v26, v27, v26, vcc_lo
	v_div_scale_f32 v27, null, v26, v26, 1.0
	s_delay_alu instid0(VALU_DEP_1) | instskip(SKIP_2) | instid1(VALU_DEP_1)
	v_rcp_f32_e32 v29, v27
	s_waitcnt_depctr 0xfff
	v_fma_f32 v30, -v27, v29, 1.0
	v_fmac_f32_e32 v29, v30, v29
	v_div_scale_f32 v30, vcc_lo, 1.0, v26, 1.0
	s_delay_alu instid0(VALU_DEP_1) | instskip(NEXT) | instid1(VALU_DEP_1)
	v_mul_f32_e32 v31, v30, v29
	v_fma_f32 v32, -v27, v31, v30
	s_delay_alu instid0(VALU_DEP_1) | instskip(NEXT) | instid1(VALU_DEP_1)
	v_fmac_f32_e32 v31, v32, v29
	v_fma_f32 v27, -v27, v31, v30
	s_delay_alu instid0(VALU_DEP_1) | instskip(NEXT) | instid1(VALU_DEP_1)
	v_div_fmas_f32 v27, v27, v29, v31
	v_div_fixup_f32 v29, v27, v26, 1.0
	s_delay_alu instid0(VALU_DEP_1)
	v_mul_f32_e32 v27, v21, v29
.LBB145_196:                            ;   in Loop: Header=BB145_133 Depth=2
	s_or_b32 exec_lo, exec_lo, s60
                                        ; implicit-def: $vgpr26
                                        ; implicit-def: $vgpr21
.LBB145_197:                            ;   in Loop: Header=BB145_133 Depth=2
	s_and_not1_saveexec_b32 s59, s59
	s_cbranch_execz .LBB145_199
; %bb.198:                              ;   in Loop: Header=BB145_133 Depth=2
	v_div_scale_f32 v27, null, v26, v26, -v21
	v_div_scale_f32 v31, vcc_lo, -v21, v26, -v21
	s_delay_alu instid0(VALU_DEP_2) | instskip(SKIP_2) | instid1(VALU_DEP_1)
	v_rcp_f32_e32 v29, v27
	s_waitcnt_depctr 0xfff
	v_fma_f32 v30, -v27, v29, 1.0
	v_fmac_f32_e32 v29, v30, v29
	s_delay_alu instid0(VALU_DEP_1) | instskip(NEXT) | instid1(VALU_DEP_1)
	v_mul_f32_e32 v30, v31, v29
	v_fma_f32 v32, -v27, v30, v31
	s_delay_alu instid0(VALU_DEP_1) | instskip(NEXT) | instid1(VALU_DEP_1)
	v_fmac_f32_e32 v30, v32, v29
	v_fma_f32 v27, -v27, v30, v31
	s_delay_alu instid0(VALU_DEP_1) | instskip(NEXT) | instid1(VALU_DEP_1)
	v_div_fmas_f32 v27, v27, v29, v30
	v_div_fixup_f32 v21, v27, v26, -v21
	s_delay_alu instid0(VALU_DEP_1) | instskip(NEXT) | instid1(VALU_DEP_1)
	v_fma_f32 v26, v21, v21, 1.0
	v_mul_f32_e32 v27, 0x4f800000, v26
	v_cmp_gt_f32_e32 vcc_lo, 0xf800000, v26
	s_delay_alu instid0(VALU_DEP_2) | instskip(NEXT) | instid1(VALU_DEP_1)
	v_cndmask_b32_e32 v26, v26, v27, vcc_lo
	v_sqrt_f32_e32 v27, v26
	s_waitcnt_depctr 0xfff
	v_add_nc_u32_e32 v29, -1, v27
	v_add_nc_u32_e32 v30, 1, v27
	s_delay_alu instid0(VALU_DEP_2) | instskip(NEXT) | instid1(VALU_DEP_2)
	v_fma_f32 v31, -v29, v27, v26
	v_fma_f32 v32, -v30, v27, v26
	s_delay_alu instid0(VALU_DEP_2) | instskip(NEXT) | instid1(VALU_DEP_1)
	v_cmp_ge_f32_e64 s3, 0, v31
	v_cndmask_b32_e64 v27, v27, v29, s3
	s_delay_alu instid0(VALU_DEP_3) | instskip(NEXT) | instid1(VALU_DEP_1)
	v_cmp_lt_f32_e64 s3, 0, v32
	v_cndmask_b32_e64 v27, v27, v30, s3
	s_delay_alu instid0(VALU_DEP_1) | instskip(NEXT) | instid1(VALU_DEP_1)
	v_mul_f32_e32 v29, 0x37800000, v27
	v_cndmask_b32_e32 v27, v27, v29, vcc_lo
	v_cmp_class_f32_e64 vcc_lo, v26, 0x260
	s_delay_alu instid0(VALU_DEP_2) | instskip(NEXT) | instid1(VALU_DEP_1)
	v_cndmask_b32_e32 v26, v27, v26, vcc_lo
	v_div_scale_f32 v27, null, v26, v26, 1.0
	s_delay_alu instid0(VALU_DEP_1) | instskip(SKIP_2) | instid1(VALU_DEP_1)
	v_rcp_f32_e32 v29, v27
	s_waitcnt_depctr 0xfff
	v_fma_f32 v30, -v27, v29, 1.0
	v_fmac_f32_e32 v29, v30, v29
	v_div_scale_f32 v30, vcc_lo, 1.0, v26, 1.0
	s_delay_alu instid0(VALU_DEP_1) | instskip(NEXT) | instid1(VALU_DEP_1)
	v_mul_f32_e32 v31, v30, v29
	v_fma_f32 v32, -v27, v31, v30
	s_delay_alu instid0(VALU_DEP_1) | instskip(NEXT) | instid1(VALU_DEP_1)
	v_fmac_f32_e32 v31, v32, v29
	v_fma_f32 v27, -v27, v31, v30
	s_delay_alu instid0(VALU_DEP_1) | instskip(NEXT) | instid1(VALU_DEP_1)
	v_div_fmas_f32 v27, v27, v29, v31
	v_div_fixup_f32 v27, v27, v26, 1.0
	s_delay_alu instid0(VALU_DEP_1)
	v_mul_f32_e32 v29, v21, v27
.LBB145_199:                            ;   in Loop: Header=BB145_133 Depth=2
	s_or_b32 exec_lo, exec_lo, s59
	v_cndmask_b32_e64 v21, 1, -1, s1
	v_add_co_u32 v19, s1, s72, v19
	s_delay_alu instid0(VALU_DEP_1) | instskip(NEXT) | instid1(VALU_DEP_3)
	v_add_co_ci_u32_e64 v20, s1, s73, v20, s1
	v_cmp_eq_u32_e32 vcc_lo, v28, v21
	v_add_nc_u32_e32 v16, -2, v16
	v_cndmask_b32_e64 v28, v29, -v27, vcc_lo
	v_cndmask_b32_e32 v29, v27, v29, vcc_lo
	v_add_co_u32 v26, vcc_lo, v19, s46
	v_add_co_ci_u32_e32 v27, vcc_lo, s47, v20, vcc_lo
	v_add_co_u32 v21, vcc_lo, s42, v22
	v_add_co_ci_u32_e32 v22, vcc_lo, s43, v23, vcc_lo
	s_clause 0x1
	global_store_b32 v[19:20], v28, off
	global_store_b32 v[26:27], v29, off offset:-4
	global_store_b64 v[17:18], v[24:25], off offset:-4
	global_store_b32 v[21:22], v0, off
	ds_store_b32 v0, v16
	s_or_b32 exec_lo, exec_lo, s58
                                        ; implicit-def: $vgpr21
.LBB145_200:                            ;   in Loop: Header=BB145_133 Depth=2
	s_and_not1_saveexec_b32 s1, s37
	s_cbranch_execz .LBB145_202
.LBB145_201:                            ;   in Loop: Header=BB145_133 Depth=2
	ds_store_b32 v0, v21
.LBB145_202:                            ;   in Loop: Header=BB145_133 Depth=2
	s_or_b32 exec_lo, exec_lo, s1
.LBB145_203:                            ;   in Loop: Header=BB145_133 Depth=2
	s_delay_alu instid0(SALU_CYCLE_1)
	s_or_b32 exec_lo, exec_lo, s4
	s_waitcnt lgkmcnt(0)
	s_waitcnt_vscnt null, 0x0
	s_barrier
	buffer_gl0_inv
	ds_load_b64 v[16:17], v0
	s_waitcnt lgkmcnt(0)
	v_readfirstlane_b32 s58, v17
	s_delay_alu instid0(VALU_DEP_1)
	v_cmp_eq_u32_e32 vcc_lo, s58, v16
	v_mov_b32_e32 v16, s58
	s_cbranch_vccnz .LBB145_132
; %bb.204:                              ;   in Loop: Header=BB145_133 Depth=2
	s_and_saveexec_b32 s3, s0
	s_cbranch_execz .LBB145_131
; %bb.205:                              ;   in Loop: Header=BB145_133 Depth=2
	ds_load_b32 v16, v0 offset:16
	s_ashr_i32 s59, s58, 31
	s_mul_i32 s60, s58, s11
	s_lshl_b64 s[62:63], s[58:59], 2
	v_mov_b32_e32 v18, v1
	s_waitcnt lgkmcnt(0)
	v_readfirstlane_b32 s1, v16
	s_delay_alu instid0(VALU_DEP_1)
	s_sub_i32 s4, s1, s58
	s_add_u32 s58, s72, s62
	s_addc_u32 s59, s73, s63
	s_ashr_i32 s61, s60, 31
	s_mul_hi_i32 s65, s4, s40
	s_lshl_b64 s[60:61], s[60:61], 3
	s_mul_i32 s64, s4, s40
	s_add_u32 s37, s70, s60
	s_addc_u32 s62, s71, s61
	s_cmp_gt_i32 s4, 0
	v_add_co_u32 v16, vcc_lo, v38, s60
	v_add_co_ci_u32_e32 v17, vcc_lo, s61, v39, vcc_lo
	s_cselect_b32 s63, -1, 0
	s_lshl_b64 s[60:61], s[64:65], 3
	s_mov_b32 s64, 0
	s_add_u32 s65, s37, s60
	s_addc_u32 s66, s62, s61
	s_branch .LBB145_207
.LBB145_206:                            ;   in Loop: Header=BB145_207 Depth=3
	v_add_nc_u32_e32 v18, s30, v18
	v_add_co_u32 v19, vcc_lo, s65, v19
	v_add_co_ci_u32_e32 v20, vcc_lo, s66, v20, vcc_lo
	s_delay_alu instid0(VALU_DEP_3) | instskip(SKIP_1) | instid1(VALU_DEP_1)
	v_cmp_le_i32_e32 vcc_lo, s6, v18
	v_add_co_u32 v16, s1, v16, s54
	v_add_co_ci_u32_e64 v17, s1, s55, v17, s1
	s_or_b32 s64, vcc_lo, s64
	s_waitcnt vmcnt(0)
	global_store_b64 v[19:20], v[21:22], off
	s_and_not1_b32 exec_lo, exec_lo, s64
	s_cbranch_execz .LBB145_131
.LBB145_207:                            ;   Parent Loop BB145_7 Depth=1
                                        ;     Parent Loop BB145_133 Depth=2
                                        ; =>    This Loop Header: Depth=3
                                        ;         Child Loop BB145_208 Depth 4
	v_ashrrev_i32_e32 v19, 31, v18
	v_dual_mov_b32 v24, v17 :: v_dual_mov_b32 v23, v16
	s_mov_b64 s[60:61], s[58:59]
	s_mov_b32 s1, s4
	s_delay_alu instid0(VALU_DEP_2) | instskip(NEXT) | instid1(VALU_DEP_1)
	v_lshlrev_b64 v[19:20], 3, v[18:19]
	v_add_co_u32 v21, vcc_lo, s37, v19
	s_delay_alu instid0(VALU_DEP_2)
	v_add_co_ci_u32_e32 v22, vcc_lo, s62, v20, vcc_lo
	s_and_not1_b32 vcc_lo, exec_lo, s63
	global_load_b64 v[21:22], v[21:22], off
	s_cbranch_vccnz .LBB145_206
	.p2align	6
.LBB145_208:                            ;   Parent Loop BB145_7 Depth=1
                                        ;     Parent Loop BB145_133 Depth=2
                                        ;       Parent Loop BB145_207 Depth=3
                                        ; =>      This Inner Loop Header: Depth=4
	s_delay_alu instid0(VALU_DEP_1) | instskip(NEXT) | instid1(VALU_DEP_2)
	v_add_co_u32 v25, vcc_lo, v23, s52
	v_add_co_ci_u32_e32 v26, vcc_lo, s53, v24, vcc_lo
	s_add_u32 s68, s60, s7
	s_addc_u32 s69, s61, s78
	global_load_b32 v31, v0, s[68:69]
	global_load_b64 v[27:28], v[25:26], off offset:-4
	global_load_b32 v32, v0, s[60:61]
	s_add_i32 s1, s1, -1
	s_add_u32 s60, s60, 4
	s_addc_u32 s61, s61, 0
	s_cmp_eq_u32 s1, 0
	s_waitcnt vmcnt(1)
	v_dual_mul_f32 v33, v21, v31 :: v_dual_mul_f32 v30, v31, v28
	v_mul_f32_e32 v29, v31, v27
	v_mul_f32_e32 v31, v22, v31
	s_waitcnt vmcnt(0)
	s_delay_alu instid0(VALU_DEP_3) | instskip(NEXT) | instid1(VALU_DEP_3)
	v_fmac_f32_e32 v30, v22, v32
	v_fmac_f32_e32 v29, v21, v32
	v_fma_f32 v21, v32, v27, -v33
	v_fma_f32 v22, v32, v28, -v31
	global_store_b64 v[23:24], v[29:30], off offset:-4
	v_dual_mov_b32 v23, v25 :: v_dual_mov_b32 v24, v26
	s_cbranch_scc0 .LBB145_208
	s_branch .LBB145_206
.LBB145_209:                            ;   in Loop: Header=BB145_133 Depth=2
	s_or_b32 exec_lo, exec_lo, s58
                                        ; implicit-def: $vgpr21
	s_and_not1_saveexec_b32 s1, s37
	s_cbranch_execnz .LBB145_201
	s_branch .LBB145_202
.LBB145_210:                            ;   in Loop: Header=BB145_7 Depth=1
	v_mov_b32_e32 v21, v13
	v_dual_mov_b32 v23, v15 :: v_dual_mov_b32 v22, v14
	v_dual_mov_b32 v17, v41 :: v_dual_mov_b32 v20, v12
.LBB145_211:                            ;   in Loop: Header=BB145_7 Depth=1
	s_barrier
	buffer_gl0_inv
	ds_load_b32 v18, v0 offset:24
	s_waitcnt lgkmcnt(0)
	v_cmp_nlt_f32_e32 vcc_lo, s27, v18
	s_cbranch_vccnz .LBB145_218
; %bb.212:                              ;   in Loop: Header=BB145_7 Depth=1
	v_div_scale_f32 v14, null, v18, v18, s27
	v_div_scale_f32 v16, vcc_lo, s27, v18, s27
	s_delay_alu instid0(VALU_DEP_2) | instskip(SKIP_2) | instid1(VALU_DEP_1)
	v_rcp_f32_e32 v15, v14
	s_waitcnt_depctr 0xfff
	v_fma_f32 v12, -v14, v15, 1.0
	v_fmac_f32_e32 v15, v12, v15
	ds_load_2addr_b32 v[12:13], v0 offset0:4 offset1:8
	v_mul_f32_e32 v19, v16, v15
	s_delay_alu instid0(VALU_DEP_1) | instskip(NEXT) | instid1(VALU_DEP_1)
	v_fma_f32 v24, -v14, v19, v16
	v_fmac_f32_e32 v19, v24, v15
	s_delay_alu instid0(VALU_DEP_1) | instskip(NEXT) | instid1(VALU_DEP_1)
	v_fma_f32 v14, -v14, v19, v16
	v_div_fmas_f32 v14, v14, v15, v19
	s_delay_alu instid0(VALU_DEP_1)
	v_div_fixup_f32 v19, v14, v18, s27
	s_and_saveexec_b32 s1, s2
	s_cbranch_execz .LBB145_214
; %bb.213:                              ;   in Loop: Header=BB145_7 Depth=1
	s_waitcnt lgkmcnt(0)
	v_ashrrev_i32_e32 v15, 31, v13
	v_mov_b32_e32 v14, v13
	s_delay_alu instid0(VALU_DEP_1) | instskip(NEXT) | instid1(VALU_DEP_1)
	v_lshlrev_b64 v[14:15], 2, v[14:15]
	v_add_co_u32 v14, vcc_lo, s18, v14
	s_delay_alu instid0(VALU_DEP_2)
	v_add_co_ci_u32_e32 v15, vcc_lo, s19, v15, vcc_lo
	global_load_b32 v16, v[14:15], off
	s_waitcnt vmcnt(0)
	v_mul_f32_e32 v16, v19, v16
	global_store_b32 v[14:15], v16, off
.LBB145_214:                            ;   in Loop: Header=BB145_7 Depth=1
	s_or_b32 exec_lo, exec_lo, s1
	s_waitcnt lgkmcnt(0)
	v_add_nc_u32_e32 v14, v12, v1
	s_mov_b32 s3, exec_lo
	s_delay_alu instid0(VALU_DEP_1)
	v_cmpx_lt_i32_e64 v14, v13
	s_cbranch_execz .LBB145_217
; %bb.215:                              ;   in Loop: Header=BB145_7 Depth=1
	v_ashrrev_i32_e32 v15, 31, v14
	s_mov_b32 s4, 0
	s_delay_alu instid0(VALU_DEP_1)
	v_lshlrev_b64 v[15:16], 2, v[14:15]
	.p2align	6
.LBB145_216:                            ;   Parent Loop BB145_7 Depth=1
                                        ; =>  This Inner Loop Header: Depth=2
	s_delay_alu instid0(VALU_DEP_1) | instskip(NEXT) | instid1(VALU_DEP_2)
	v_add_co_u32 v24, vcc_lo, s18, v15
	v_add_co_ci_u32_e32 v25, vcc_lo, s19, v16, vcc_lo
	v_add_co_u32 v26, vcc_lo, s10, v15
	v_add_co_ci_u32_e32 v27, vcc_lo, s33, v16, vcc_lo
	global_load_b32 v12, v[24:25], off
	v_add_nc_u32_e32 v14, s30, v14
	v_add_co_u32 v15, vcc_lo, v15, s48
	v_add_co_ci_u32_e32 v16, vcc_lo, s49, v16, vcc_lo
	s_delay_alu instid0(VALU_DEP_3) | instskip(NEXT) | instid1(VALU_DEP_1)
	v_cmp_ge_i32_e64 s1, v14, v13
	s_or_b32 s4, s1, s4
	s_waitcnt vmcnt(0)
	v_mul_f32_e32 v12, v19, v12
	global_store_b32 v[24:25], v12, off
	global_load_b32 v12, v[26:27], off
	s_waitcnt vmcnt(0)
	v_mul_f32_e32 v12, v19, v12
	global_store_b32 v[26:27], v12, off
	s_and_not1_b32 exec_lo, exec_lo, s4
	s_cbranch_execnz .LBB145_216
.LBB145_217:                            ;   in Loop: Header=BB145_7 Depth=1
	s_or_b32 exec_lo, exec_lo, s3
.LBB145_218:                            ;   in Loop: Header=BB145_7 Depth=1
	v_cmp_ngt_f32_e32 vcc_lo, s26, v18
	s_cbranch_vccnz .LBB145_5
; %bb.219:                              ;   in Loop: Header=BB145_7 Depth=1
	v_div_scale_f32 v14, null, v18, v18, s26
	v_div_scale_f32 v16, vcc_lo, s26, v18, s26
	s_delay_alu instid0(VALU_DEP_2) | instskip(SKIP_2) | instid1(VALU_DEP_1)
	v_rcp_f32_e32 v15, v14
	s_waitcnt_depctr 0xfff
	v_fma_f32 v12, -v14, v15, 1.0
	v_fmac_f32_e32 v15, v12, v15
	ds_load_2addr_b32 v[12:13], v0 offset0:4 offset1:8
	v_mul_f32_e32 v19, v16, v15
	s_delay_alu instid0(VALU_DEP_1) | instskip(NEXT) | instid1(VALU_DEP_1)
	v_fma_f32 v24, -v14, v19, v16
	v_fmac_f32_e32 v19, v24, v15
	s_delay_alu instid0(VALU_DEP_1) | instskip(NEXT) | instid1(VALU_DEP_1)
	v_fma_f32 v14, -v14, v19, v16
	v_div_fmas_f32 v14, v14, v15, v19
	s_delay_alu instid0(VALU_DEP_1)
	v_div_fixup_f32 v18, v14, v18, s26
	s_and_saveexec_b32 s1, s2
	s_cbranch_execz .LBB145_221
; %bb.220:                              ;   in Loop: Header=BB145_7 Depth=1
	s_waitcnt lgkmcnt(0)
	v_ashrrev_i32_e32 v15, 31, v13
	v_mov_b32_e32 v14, v13
	s_delay_alu instid0(VALU_DEP_1) | instskip(NEXT) | instid1(VALU_DEP_1)
	v_lshlrev_b64 v[14:15], 2, v[14:15]
	v_add_co_u32 v14, vcc_lo, s18, v14
	s_delay_alu instid0(VALU_DEP_2)
	v_add_co_ci_u32_e32 v15, vcc_lo, s19, v15, vcc_lo
	global_load_b32 v16, v[14:15], off
	s_waitcnt vmcnt(0)
	v_mul_f32_e32 v16, v18, v16
	global_store_b32 v[14:15], v16, off
.LBB145_221:                            ;   in Loop: Header=BB145_7 Depth=1
	s_or_b32 exec_lo, exec_lo, s1
	s_waitcnt lgkmcnt(0)
	v_add_nc_u32_e32 v14, v12, v1
	s_mov_b32 s3, exec_lo
	s_delay_alu instid0(VALU_DEP_1)
	v_cmpx_lt_i32_e64 v14, v13
	s_cbranch_execz .LBB145_4
; %bb.222:                              ;   in Loop: Header=BB145_7 Depth=1
	v_ashrrev_i32_e32 v15, 31, v14
	s_mov_b32 s4, 0
	s_delay_alu instid0(VALU_DEP_1)
	v_lshlrev_b64 v[15:16], 2, v[14:15]
	.p2align	6
.LBB145_223:                            ;   Parent Loop BB145_7 Depth=1
                                        ; =>  This Inner Loop Header: Depth=2
	s_delay_alu instid0(VALU_DEP_1) | instskip(NEXT) | instid1(VALU_DEP_2)
	v_add_co_u32 v24, vcc_lo, s18, v15
	v_add_co_ci_u32_e32 v25, vcc_lo, s19, v16, vcc_lo
	v_add_co_u32 v26, vcc_lo, s10, v15
	v_add_co_ci_u32_e32 v27, vcc_lo, s33, v16, vcc_lo
	global_load_b32 v12, v[24:25], off
	v_add_nc_u32_e32 v14, s30, v14
	v_add_co_u32 v15, vcc_lo, v15, s48
	v_add_co_ci_u32_e32 v16, vcc_lo, s49, v16, vcc_lo
	s_delay_alu instid0(VALU_DEP_3) | instskip(NEXT) | instid1(VALU_DEP_1)
	v_cmp_ge_i32_e64 s1, v14, v13
	s_or_b32 s4, s1, s4
	s_waitcnt vmcnt(0)
	v_mul_f32_e32 v12, v18, v12
	global_store_b32 v[24:25], v12, off
	global_load_b32 v12, v[26:27], off
	s_waitcnt vmcnt(0)
	v_mul_f32_e32 v12, v18, v12
	global_store_b32 v[26:27], v12, off
	s_and_not1_b32 exec_lo, exec_lo, s4
	s_cbranch_execnz .LBB145_223
	s_branch .LBB145_4
.LBB145_224:
	s_mov_b32 s1, exec_lo
	v_cmpx_gt_i32_e64 s36, v1
	s_cbranch_execz .LBB145_230
; %bb.225:
	v_ashrrev_i32_e32 v2, 31, v1
	s_lshl_b64 s[4:5], s[28:29], 2
	v_mov_b32_e32 v0, 0
	s_add_u32 s4, s14, s4
	s_addc_u32 s5, s15, s5
	v_lshlrev_b64 v[2:3], 2, v[1:2]
	s_lshl_b64 s[14:15], s[38:39], 2
	s_delay_alu instid0(SALU_CYCLE_1) | instskip(SKIP_2) | instid1(VALU_DEP_1)
	s_add_u32 s0, s20, s14
	s_addc_u32 s3, s21, s15
	s_ashr_i32 s31, s30, 31
	v_add_co_u32 v2, vcc_lo, s0, v2
	v_add_co_ci_u32_e32 v3, vcc_lo, s3, v3, vcc_lo
	s_lshl_b64 s[14:15], s[30:31], 2
	s_mov_b32 s3, 0
	s_set_inst_prefetch_distance 0x1
	s_branch .LBB145_227
	.p2align	6
.LBB145_226:                            ;   in Loop: Header=BB145_227 Depth=1
	s_or_b32 exec_lo, exec_lo, s0
	v_add_nc_u32_e32 v1, s30, v1
	v_add_co_u32 v2, s0, v2, s14
	s_delay_alu instid0(VALU_DEP_1) | instskip(NEXT) | instid1(VALU_DEP_3)
	v_add_co_ci_u32_e64 v3, s0, s15, v3, s0
	v_cmp_le_i32_e32 vcc_lo, s36, v1
	s_or_b32 s3, vcc_lo, s3
	s_delay_alu instid0(SALU_CYCLE_1)
	s_and_not1_b32 exec_lo, exec_lo, s3
	s_cbranch_execz .LBB145_230
.LBB145_227:                            ; =>This Inner Loop Header: Depth=1
	global_load_b32 v4, v[2:3], off
	s_mov_b32 s0, exec_lo
	s_waitcnt vmcnt(0)
	v_cmpx_neq_f32_e32 0, v4
	s_cbranch_execz .LBB145_226
; %bb.228:                              ;   in Loop: Header=BB145_227 Depth=1
	s_mov_b32 s7, exec_lo
	s_delay_alu instid0(SALU_CYCLE_1) | instskip(NEXT) | instid1(VALU_DEP_1)
	v_mbcnt_lo_u32_b32 v4, s7, 0
	v_cmp_eq_u32_e32 vcc_lo, 0, v4
	s_and_b32 s10, exec_lo, vcc_lo
	s_delay_alu instid0(SALU_CYCLE_1)
	s_mov_b32 exec_lo, s10
	s_cbranch_execz .LBB145_226
; %bb.229:                              ;   in Loop: Header=BB145_227 Depth=1
	s_bcnt1_i32_b32 s7, s7
	s_delay_alu instid0(SALU_CYCLE_1)
	v_mov_b32_e32 v4, s7
	global_atomic_add_u32 v0, v4, s[4:5]
	s_branch .LBB145_226
.LBB145_230:
	s_set_inst_prefetch_distance 0x2
	s_or_b32 exec_lo, exec_lo, s1
	s_cmp_lt_i32 s6, 2
	s_cbranch_scc1 .LBB145_243
; %bb.231:
	s_add_u32 s3, s18, -4
	s_addc_u32 s7, s19, -1
	s_add_u32 s0, s22, s16
	s_addc_u32 s1, s23, s17
	s_add_u32 s0, s0, 4
	s_addc_u32 s1, s1, 0
	s_lshl_b64 s[4:5], s[12:13], 3
	s_lshl_b64 s[12:13], s[34:35], 3
	v_mov_b32_e32 v0, 0
	s_add_u32 s4, s4, s12
	s_addc_u32 s5, s5, s13
	s_add_u32 s10, s8, s4
	s_addc_u32 s16, s9, s5
	s_mov_b32 s4, 1
	s_branch .LBB145_233
.LBB145_232:                            ;   in Loop: Header=BB145_233 Depth=1
	s_add_i32 s4, s4, 1
	s_add_u32 s0, s0, 4
	s_addc_u32 s1, s1, 0
	s_cmp_lg_u32 s4, s6
	s_waitcnt_vscnt null, 0x0
	s_barrier
	buffer_gl0_inv
	s_cbranch_scc0 .LBB145_243
.LBB145_233:                            ; =>This Loop Header: Depth=1
                                        ;     Child Loop BB145_236 Depth 2
                                        ;     Child Loop BB145_242 Depth 2
	s_and_saveexec_b32 s17, s2
	s_cbranch_execz .LBB145_240
; %bb.234:                              ;   in Loop: Header=BB145_233 Depth=1
	s_ashr_i32 s5, s4, 31
	s_mov_b64 s[12:13], s[0:1]
	s_lshl_b64 s[8:9], s[4:5], 2
	s_add_i32 s5, s4, -1
	s_add_u32 s8, s3, s8
	s_addc_u32 s9, s7, s9
	v_dual_mov_b32 v3, s5 :: v_dual_mov_b32 v4, s5
	global_load_b32 v1, v0, s[8:9]
	s_mov_b32 s14, s5
	s_mov_b32 s15, s4
	ds_store_b64 v0, v[3:4]
	s_waitcnt vmcnt(0)
	ds_store_b32 v0, v1 offset:8
	v_mov_b32_e32 v2, v1
	s_branch .LBB145_236
.LBB145_235:                            ;   in Loop: Header=BB145_236 Depth=2
	s_add_i32 s15, s15, 1
	s_add_u32 s12, s12, 4
	s_addc_u32 s13, s13, 0
	s_cmp_ge_i32 s15, s6
	s_cbranch_scc1 .LBB145_238
.LBB145_236:                            ;   Parent Loop BB145_233 Depth=1
                                        ; =>  This Inner Loop Header: Depth=2
	global_load_b32 v3, v0, s[12:13]
	s_waitcnt vmcnt(0)
	v_cmp_nlt_f32_e32 vcc_lo, v3, v2
	s_cbranch_vccnz .LBB145_235
; %bb.237:                              ;   in Loop: Header=BB145_236 Depth=2
	v_mov_b32_e32 v4, s15
	v_mov_b32_e32 v2, v3
	s_mov_b32 s14, s15
	ds_store_2addr_b32 v0, v4, v3 offset0:1 offset1:2
	s_branch .LBB145_235
.LBB145_238:                            ;   in Loop: Header=BB145_233 Depth=1
	s_cmp_lg_u32 s14, s5
	s_cbranch_scc0 .LBB145_240
; %bb.239:                              ;   in Loop: Header=BB145_233 Depth=1
	s_ashr_i32 s15, s14, 31
	s_delay_alu instid0(SALU_CYCLE_1) | instskip(NEXT) | instid1(SALU_CYCLE_1)
	s_lshl_b64 s[12:13], s[14:15], 2
	s_add_u32 s12, s18, s12
	s_addc_u32 s13, s19, s13
	s_clause 0x1
	global_store_b32 v0, v1, s[12:13]
	global_store_b32 v0, v2, s[8:9]
.LBB145_240:                            ;   in Loop: Header=BB145_233 Depth=1
	s_or_b32 exec_lo, exec_lo, s17
	s_waitcnt lgkmcnt(0)
	s_waitcnt_vscnt null, 0x0
	s_barrier
	buffer_gl0_inv
	ds_load_b64 v[1:2], v0
	s_waitcnt lgkmcnt(0)
	v_readfirstlane_b32 s5, v1
	v_readfirstlane_b32 s8, v2
	s_delay_alu instid0(VALU_DEP_1)
	s_cmp_eq_u32 s8, s5
	s_cbranch_scc1 .LBB145_232
; %bb.241:                              ;   in Loop: Header=BB145_233 Depth=1
	s_mul_i32 s8, s8, s11
	s_mul_i32 s12, s5, s11
	s_ashr_i32 s9, s8, 31
	s_mov_b32 s5, s6
	s_lshl_b64 s[8:9], s[8:9], 3
	s_delay_alu instid0(SALU_CYCLE_1) | instskip(SKIP_2) | instid1(SALU_CYCLE_1)
	s_add_u32 s8, s10, s8
	s_addc_u32 s9, s16, s9
	s_ashr_i32 s13, s12, 31
	s_lshl_b64 s[12:13], s[12:13], 3
	s_delay_alu instid0(SALU_CYCLE_1)
	s_add_u32 s12, s10, s12
	s_addc_u32 s13, s16, s13
.LBB145_242:                            ;   Parent Loop BB145_233 Depth=1
                                        ; =>  This Inner Loop Header: Depth=2
	s_clause 0x1
	global_load_b64 v[1:2], v0, s[8:9]
	global_load_b64 v[3:4], v0, s[12:13]
	s_add_i32 s5, s5, -1
	s_waitcnt vmcnt(1)
	global_store_b64 v0, v[1:2], s[12:13]
	s_waitcnt vmcnt(0)
	global_store_b64 v0, v[3:4], s[8:9]
	s_add_u32 s8, s8, 8
	s_addc_u32 s9, s9, 0
	s_add_u32 s12, s12, 8
	s_addc_u32 s13, s13, 0
	s_cmp_lg_u32 s5, 0
	s_cbranch_scc1 .LBB145_242
	s_branch .LBB145_232
.LBB145_243:
	s_nop 0
	s_sendmsg sendmsg(MSG_DEALLOC_VGPRS)
	s_endpgm
	.section	.rodata,"a",@progbits
	.p2align	6, 0x0
	.amdhsa_kernel _ZN9rocsolver6v33100L12steqr_kernelI19rocblas_complex_numIfEfPS3_EEviPT0_lS6_lT1_iilPiS6_iS5_S5_S5_
		.amdhsa_group_segment_fixed_size 36
		.amdhsa_private_segment_fixed_size 0
		.amdhsa_kernarg_size 352
		.amdhsa_user_sgpr_count 14
		.amdhsa_user_sgpr_dispatch_ptr 0
		.amdhsa_user_sgpr_queue_ptr 0
		.amdhsa_user_sgpr_kernarg_segment_ptr 1
		.amdhsa_user_sgpr_dispatch_id 0
		.amdhsa_user_sgpr_private_segment_size 0
		.amdhsa_wavefront_size32 1
		.amdhsa_uses_dynamic_stack 0
		.amdhsa_enable_private_segment 0
		.amdhsa_system_sgpr_workgroup_id_x 1
		.amdhsa_system_sgpr_workgroup_id_y 1
		.amdhsa_system_sgpr_workgroup_id_z 0
		.amdhsa_system_sgpr_workgroup_info 0
		.amdhsa_system_vgpr_workitem_id 0
		.amdhsa_next_free_vgpr 66
		.amdhsa_next_free_sgpr 86
		.amdhsa_reserve_vcc 1
		.amdhsa_float_round_mode_32 0
		.amdhsa_float_round_mode_16_64 0
		.amdhsa_float_denorm_mode_32 3
		.amdhsa_float_denorm_mode_16_64 3
		.amdhsa_dx10_clamp 1
		.amdhsa_ieee_mode 1
		.amdhsa_fp16_overflow 0
		.amdhsa_workgroup_processor_mode 1
		.amdhsa_memory_ordered 1
		.amdhsa_forward_progress 0
		.amdhsa_shared_vgpr_count 0
		.amdhsa_exception_fp_ieee_invalid_op 0
		.amdhsa_exception_fp_denorm_src 0
		.amdhsa_exception_fp_ieee_div_zero 0
		.amdhsa_exception_fp_ieee_overflow 0
		.amdhsa_exception_fp_ieee_underflow 0
		.amdhsa_exception_fp_ieee_inexact 0
		.amdhsa_exception_int_div_zero 0
	.end_amdhsa_kernel
	.section	.text._ZN9rocsolver6v33100L12steqr_kernelI19rocblas_complex_numIfEfPS3_EEviPT0_lS6_lT1_iilPiS6_iS5_S5_S5_,"axG",@progbits,_ZN9rocsolver6v33100L12steqr_kernelI19rocblas_complex_numIfEfPS3_EEviPT0_lS6_lT1_iilPiS6_iS5_S5_S5_,comdat
.Lfunc_end145:
	.size	_ZN9rocsolver6v33100L12steqr_kernelI19rocblas_complex_numIfEfPS3_EEviPT0_lS6_lT1_iilPiS6_iS5_S5_S5_, .Lfunc_end145-_ZN9rocsolver6v33100L12steqr_kernelI19rocblas_complex_numIfEfPS3_EEviPT0_lS6_lT1_iilPiS6_iS5_S5_S5_
                                        ; -- End function
	.section	.AMDGPU.csdata,"",@progbits
; Kernel info:
; codeLenInByte = 15672
; NumSgprs: 88
; NumVgprs: 66
; ScratchSize: 0
; MemoryBound: 0
; FloatMode: 240
; IeeeMode: 1
; LDSByteSize: 36 bytes/workgroup (compile time only)
; SGPRBlocks: 10
; VGPRBlocks: 8
; NumSGPRsForWavesPerEU: 88
; NumVGPRsForWavesPerEU: 66
; Occupancy: 16
; WaveLimiterHint : 0
; COMPUTE_PGM_RSRC2:SCRATCH_EN: 0
; COMPUTE_PGM_RSRC2:USER_SGPR: 14
; COMPUTE_PGM_RSRC2:TRAP_HANDLER: 0
; COMPUTE_PGM_RSRC2:TGID_X_EN: 1
; COMPUTE_PGM_RSRC2:TGID_Y_EN: 1
; COMPUTE_PGM_RSRC2:TGID_Z_EN: 0
; COMPUTE_PGM_RSRC2:TIDIG_COMP_CNT: 0
	.section	.text._ZN9rocsolver6v33100L8copy_matI19rocblas_complex_numIfEfLb0EPS3_TnNSt9enable_ifIX18rocblas_is_complexIT_EEiE4typeELi0EEEvNS0_17copymat_directionEiiT2_iilPT0_13rocblas_fill_17rocblas_diagonal_,"axG",@progbits,_ZN9rocsolver6v33100L8copy_matI19rocblas_complex_numIfEfLb0EPS3_TnNSt9enable_ifIX18rocblas_is_complexIT_EEiE4typeELi0EEEvNS0_17copymat_directionEiiT2_iilPT0_13rocblas_fill_17rocblas_diagonal_,comdat
	.globl	_ZN9rocsolver6v33100L8copy_matI19rocblas_complex_numIfEfLb0EPS3_TnNSt9enable_ifIX18rocblas_is_complexIT_EEiE4typeELi0EEEvNS0_17copymat_directionEiiT2_iilPT0_13rocblas_fill_17rocblas_diagonal_ ; -- Begin function _ZN9rocsolver6v33100L8copy_matI19rocblas_complex_numIfEfLb0EPS3_TnNSt9enable_ifIX18rocblas_is_complexIT_EEiE4typeELi0EEEvNS0_17copymat_directionEiiT2_iilPT0_13rocblas_fill_17rocblas_diagonal_
	.p2align	8
	.type	_ZN9rocsolver6v33100L8copy_matI19rocblas_complex_numIfEfLb0EPS3_TnNSt9enable_ifIX18rocblas_is_complexIT_EEiE4typeELi0EEEvNS0_17copymat_directionEiiT2_iilPT0_13rocblas_fill_17rocblas_diagonal_,@function
_ZN9rocsolver6v33100L8copy_matI19rocblas_complex_numIfEfLb0EPS3_TnNSt9enable_ifIX18rocblas_is_complexIT_EEiE4typeELi0EEEvNS0_17copymat_directionEiiT2_iilPT0_13rocblas_fill_17rocblas_diagonal_: ; @_ZN9rocsolver6v33100L8copy_matI19rocblas_complex_numIfEfLb0EPS3_TnNSt9enable_ifIX18rocblas_is_complexIT_EEiE4typeELi0EEEvNS0_17copymat_directionEiiT2_iilPT0_13rocblas_fill_17rocblas_diagonal_
; %bb.0:
	s_clause 0x1
	s_load_b32 s2, s[0:1], 0x44
	s_load_b128 s[8:11], s[0:1], 0x0
	v_and_b32_e32 v2, 0x3ff, v0
	v_bfe_u32 v3, v0, 10, 10
	s_waitcnt lgkmcnt(0)
	s_lshr_b32 s3, s2, 16
	s_and_b32 s2, s2, 0xffff
	s_delay_alu instid0(VALU_DEP_1) | instid1(SALU_CYCLE_1)
	v_mad_u64_u32 v[0:1], null, s13, s2, v[2:3]
	v_mad_u64_u32 v[1:2], null, s14, s3, v[3:4]
	s_delay_alu instid0(VALU_DEP_2) | instskip(NEXT) | instid1(VALU_DEP_2)
	v_cmp_gt_u32_e32 vcc_lo, s9, v0
	v_cmp_gt_u32_e64 s2, s10, v1
	s_delay_alu instid0(VALU_DEP_1) | instskip(NEXT) | instid1(SALU_CYCLE_1)
	s_and_b32 s2, s2, vcc_lo
	s_and_saveexec_b32 s3, s2
	s_cbranch_execz .LBB146_16
; %bb.1:
	s_load_b64 s[4:5], s[0:1], 0x30
	s_mov_b32 s11, s9
	s_waitcnt lgkmcnt(0)
	s_cmpk_lt_i32 s4, 0x7a
	s_cbranch_scc1 .LBB146_4
; %bb.2:
	s_cmpk_gt_i32 s4, 0x7a
	s_cbranch_scc0 .LBB146_5
; %bb.3:
	s_cmpk_lg_i32 s4, 0x7b
	s_mov_b32 s3, -1
	s_cselect_b32 s6, -1, 0
	s_cbranch_execz .LBB146_6
	s_branch .LBB146_7
.LBB146_4:
	s_mov_b32 s6, 0
	s_mov_b32 s3, 0
	s_cbranch_execnz .LBB146_8
	s_branch .LBB146_10
.LBB146_5:
	s_mov_b32 s3, 0
	s_mov_b32 s6, 0
.LBB146_6:
	v_cmp_gt_u32_e32 vcc_lo, v0, v1
	v_cmp_le_u32_e64 s2, v0, v1
	s_and_not1_b32 s3, s3, exec_lo
	s_and_not1_b32 s6, s6, exec_lo
	s_and_b32 s7, vcc_lo, exec_lo
	s_delay_alu instid0(VALU_DEP_1)
	s_and_b32 s2, s2, exec_lo
	s_or_b32 s3, s3, s7
	s_or_b32 s6, s6, s2
.LBB146_7:
	s_branch .LBB146_10
.LBB146_8:
	s_cmpk_eq_i32 s4, 0x79
	s_mov_b32 s6, -1
	s_cbranch_scc0 .LBB146_10
; %bb.9:
	v_cmp_gt_u32_e32 vcc_lo, v1, v0
	v_cmp_le_u32_e64 s2, v1, v0
	s_and_not1_b32 s3, s3, exec_lo
	s_and_b32 s4, vcc_lo, exec_lo
	s_delay_alu instid0(VALU_DEP_1)
	s_or_not1_b32 s6, s2, exec_lo
	s_or_b32 s3, s3, s4
.LBB146_10:
	s_and_saveexec_b32 s2, s6
; %bb.11:
	v_cmp_eq_u32_e32 vcc_lo, v0, v1
	s_cmpk_eq_i32 s5, 0x83
	s_cselect_b32 s4, -1, 0
	s_and_not1_b32 s3, s3, exec_lo
	s_and_b32 s4, s4, vcc_lo
	s_delay_alu instid0(SALU_CYCLE_1) | instskip(NEXT) | instid1(SALU_CYCLE_1)
	s_and_b32 s4, s4, exec_lo
	s_or_b32 s3, s3, s4
; %bb.12:
	s_or_b32 exec_lo, exec_lo, s2
	s_delay_alu instid0(SALU_CYCLE_1)
	s_and_b32 exec_lo, exec_lo, s3
	s_cbranch_execz .LBB146_16
; %bb.13:
	s_load_b256 s[0:7], s[0:1], 0x10
	s_ashr_i32 s12, s9, 31
	s_ashr_i32 s13, s10, 31
	s_mul_i32 s16, s12, s15
	s_mul_hi_u32 s14, s9, s15
	s_mul_i32 s9, s9, s15
	s_delay_alu instid0(SALU_CYCLE_1)
	s_mul_i32 s17, s9, s13
	s_mul_hi_u32 s18, s9, s10
	s_waitcnt lgkmcnt(0)
	s_mul_i32 s5, s15, s5
	s_mul_hi_u32 s12, s15, s4
	s_mul_i32 s4, s15, s4
	s_add_i32 s5, s12, s5
	s_ashr_i32 s13, s2, 31
	s_lshl_b64 s[4:5], s[4:5], 3
	s_mov_b32 s12, s2
	s_add_u32 s2, s0, s4
	s_addc_u32 s4, s1, s5
	s_lshl_b64 s[0:1], s[12:13], 3
	v_mad_u64_u32 v[3:4], null, v1, s3, v[0:1]
	s_add_u32 s0, s2, s0
	s_addc_u32 s1, s4, s1
	s_add_i32 s2, s14, s16
	v_mov_b32_e32 v4, 0
	s_add_i32 s3, s18, s17
	s_mul_i32 s2, s2, s10
	s_mov_b32 s4, 0
	s_add_i32 s3, s3, s2
	s_mul_i32 s2, s9, s10
	v_lshlrev_b64 v[2:3], 3, v[3:4]
	s_lshl_b64 s[2:3], s[2:3], 2
	s_delay_alu instid0(SALU_CYCLE_1)
	s_add_u32 s2, s6, s2
	s_addc_u32 s3, s7, s3
	s_cmp_lg_u32 s8, 0
	s_cbranch_scc0 .LBB146_17
; %bb.14:
	v_mad_u64_u32 v[5:6], null, v1, s11, v[0:1]
	v_mov_b32_e32 v6, v4
	s_delay_alu instid0(VALU_DEP_1) | instskip(NEXT) | instid1(VALU_DEP_1)
	v_lshlrev_b64 v[4:5], 2, v[5:6]
	v_add_co_u32 v4, vcc_lo, s2, v4
	s_delay_alu instid0(VALU_DEP_2)
	v_add_co_ci_u32_e32 v5, vcc_lo, s3, v5, vcc_lo
	global_load_b32 v6, v[4:5], off
	v_add_co_u32 v4, vcc_lo, s0, v2
	v_add_co_ci_u32_e32 v5, vcc_lo, s1, v3, vcc_lo
	s_waitcnt vmcnt(0)
	global_store_b32 v[4:5], v6, off offset:4
	s_and_not1_b32 vcc_lo, exec_lo, s4
	s_cbranch_vccnz .LBB146_16
.LBB146_15:
	v_add_co_u32 v2, vcc_lo, s0, v2
	v_add_co_ci_u32_e32 v3, vcc_lo, s1, v3, vcc_lo
	global_load_b32 v4, v[2:3], off offset:4
	v_mad_u64_u32 v[2:3], null, v1, s11, v[0:1]
	v_mov_b32_e32 v3, 0
	s_delay_alu instid0(VALU_DEP_1) | instskip(NEXT) | instid1(VALU_DEP_1)
	v_lshlrev_b64 v[0:1], 2, v[2:3]
	v_add_co_u32 v0, vcc_lo, s2, v0
	s_delay_alu instid0(VALU_DEP_2)
	v_add_co_ci_u32_e32 v1, vcc_lo, s3, v1, vcc_lo
	s_waitcnt vmcnt(0)
	global_store_b32 v[0:1], v4, off
.LBB146_16:
	s_nop 0
	s_sendmsg sendmsg(MSG_DEALLOC_VGPRS)
	s_endpgm
.LBB146_17:
	s_branch .LBB146_15
	.section	.rodata,"a",@progbits
	.p2align	6, 0x0
	.amdhsa_kernel _ZN9rocsolver6v33100L8copy_matI19rocblas_complex_numIfEfLb0EPS3_TnNSt9enable_ifIX18rocblas_is_complexIT_EEiE4typeELi0EEEvNS0_17copymat_directionEiiT2_iilPT0_13rocblas_fill_17rocblas_diagonal_
		.amdhsa_group_segment_fixed_size 0
		.amdhsa_private_segment_fixed_size 0
		.amdhsa_kernarg_size 312
		.amdhsa_user_sgpr_count 13
		.amdhsa_user_sgpr_dispatch_ptr 0
		.amdhsa_user_sgpr_queue_ptr 0
		.amdhsa_user_sgpr_kernarg_segment_ptr 1
		.amdhsa_user_sgpr_dispatch_id 0
		.amdhsa_user_sgpr_private_segment_size 0
		.amdhsa_wavefront_size32 1
		.amdhsa_uses_dynamic_stack 0
		.amdhsa_enable_private_segment 0
		.amdhsa_system_sgpr_workgroup_id_x 1
		.amdhsa_system_sgpr_workgroup_id_y 1
		.amdhsa_system_sgpr_workgroup_id_z 1
		.amdhsa_system_sgpr_workgroup_info 0
		.amdhsa_system_vgpr_workitem_id 1
		.amdhsa_next_free_vgpr 7
		.amdhsa_next_free_sgpr 19
		.amdhsa_reserve_vcc 1
		.amdhsa_float_round_mode_32 0
		.amdhsa_float_round_mode_16_64 0
		.amdhsa_float_denorm_mode_32 3
		.amdhsa_float_denorm_mode_16_64 3
		.amdhsa_dx10_clamp 1
		.amdhsa_ieee_mode 1
		.amdhsa_fp16_overflow 0
		.amdhsa_workgroup_processor_mode 1
		.amdhsa_memory_ordered 1
		.amdhsa_forward_progress 0
		.amdhsa_shared_vgpr_count 0
		.amdhsa_exception_fp_ieee_invalid_op 0
		.amdhsa_exception_fp_denorm_src 0
		.amdhsa_exception_fp_ieee_div_zero 0
		.amdhsa_exception_fp_ieee_overflow 0
		.amdhsa_exception_fp_ieee_underflow 0
		.amdhsa_exception_fp_ieee_inexact 0
		.amdhsa_exception_int_div_zero 0
	.end_amdhsa_kernel
	.section	.text._ZN9rocsolver6v33100L8copy_matI19rocblas_complex_numIfEfLb0EPS3_TnNSt9enable_ifIX18rocblas_is_complexIT_EEiE4typeELi0EEEvNS0_17copymat_directionEiiT2_iilPT0_13rocblas_fill_17rocblas_diagonal_,"axG",@progbits,_ZN9rocsolver6v33100L8copy_matI19rocblas_complex_numIfEfLb0EPS3_TnNSt9enable_ifIX18rocblas_is_complexIT_EEiE4typeELi0EEEvNS0_17copymat_directionEiiT2_iilPT0_13rocblas_fill_17rocblas_diagonal_,comdat
.Lfunc_end146:
	.size	_ZN9rocsolver6v33100L8copy_matI19rocblas_complex_numIfEfLb0EPS3_TnNSt9enable_ifIX18rocblas_is_complexIT_EEiE4typeELi0EEEvNS0_17copymat_directionEiiT2_iilPT0_13rocblas_fill_17rocblas_diagonal_, .Lfunc_end146-_ZN9rocsolver6v33100L8copy_matI19rocblas_complex_numIfEfLb0EPS3_TnNSt9enable_ifIX18rocblas_is_complexIT_EEiE4typeELi0EEEvNS0_17copymat_directionEiiT2_iilPT0_13rocblas_fill_17rocblas_diagonal_
                                        ; -- End function
	.section	.AMDGPU.csdata,"",@progbits
; Kernel info:
; codeLenInByte = 648
; NumSgprs: 21
; NumVgprs: 7
; ScratchSize: 0
; MemoryBound: 0
; FloatMode: 240
; IeeeMode: 1
; LDSByteSize: 0 bytes/workgroup (compile time only)
; SGPRBlocks: 2
; VGPRBlocks: 0
; NumSGPRsForWavesPerEU: 21
; NumVGPRsForWavesPerEU: 7
; Occupancy: 16
; WaveLimiterHint : 0
; COMPUTE_PGM_RSRC2:SCRATCH_EN: 0
; COMPUTE_PGM_RSRC2:USER_SGPR: 13
; COMPUTE_PGM_RSRC2:TRAP_HANDLER: 0
; COMPUTE_PGM_RSRC2:TGID_X_EN: 1
; COMPUTE_PGM_RSRC2:TGID_Y_EN: 1
; COMPUTE_PGM_RSRC2:TGID_Z_EN: 1
; COMPUTE_PGM_RSRC2:TIDIG_COMP_CNT: 1
	.section	.text._ZN9rocsolver6v33100L8set_zeroI19rocblas_complex_numIfEPS3_EEviiT0_iil13rocblas_fill_,"axG",@progbits,_ZN9rocsolver6v33100L8set_zeroI19rocblas_complex_numIfEPS3_EEviiT0_iil13rocblas_fill_,comdat
	.globl	_ZN9rocsolver6v33100L8set_zeroI19rocblas_complex_numIfEPS3_EEviiT0_iil13rocblas_fill_ ; -- Begin function _ZN9rocsolver6v33100L8set_zeroI19rocblas_complex_numIfEPS3_EEviiT0_iil13rocblas_fill_
	.p2align	8
	.type	_ZN9rocsolver6v33100L8set_zeroI19rocblas_complex_numIfEPS3_EEviiT0_iil13rocblas_fill_,@function
_ZN9rocsolver6v33100L8set_zeroI19rocblas_complex_numIfEPS3_EEviiT0_iil13rocblas_fill_: ; @_ZN9rocsolver6v33100L8set_zeroI19rocblas_complex_numIfEPS3_EEviiT0_iil13rocblas_fill_
; %bb.0:
	s_clause 0x1
	s_load_b32 s4, s[0:1], 0x34
	s_load_b64 s[2:3], s[0:1], 0x0
	v_and_b32_e32 v2, 0x3ff, v0
	v_bfe_u32 v3, v0, 10, 10
	s_waitcnt lgkmcnt(0)
	s_lshr_b32 s5, s4, 16
	s_and_b32 s4, s4, 0xffff
	s_delay_alu instid0(VALU_DEP_1) | instid1(SALU_CYCLE_1)
	v_mad_u64_u32 v[0:1], null, s13, s4, v[2:3]
	v_mad_u64_u32 v[1:2], null, s14, s5, v[3:4]
	s_delay_alu instid0(VALU_DEP_2) | instskip(NEXT) | instid1(VALU_DEP_2)
	v_cmp_gt_u32_e32 vcc_lo, s2, v0
	v_cmp_gt_u32_e64 s2, s3, v1
	s_delay_alu instid0(VALU_DEP_1) | instskip(NEXT) | instid1(SALU_CYCLE_1)
	s_and_b32 s2, vcc_lo, s2
	s_and_saveexec_b32 s3, s2
	s_cbranch_execz .LBB147_12
; %bb.1:
	s_load_b32 s3, s[0:1], 0x20
	s_waitcnt lgkmcnt(0)
	s_cmpk_lt_i32 s3, 0x7a
	s_cbranch_scc1 .LBB147_4
; %bb.2:
	s_cmpk_gt_i32 s3, 0x7a
	s_cbranch_scc0 .LBB147_5
; %bb.3:
	s_cmpk_eq_i32 s3, 0x7b
	s_cselect_b32 s2, -1, 0
	s_cbranch_execz .LBB147_6
	s_branch .LBB147_7
.LBB147_4:
	s_mov_b32 s2, 0
	s_cbranch_execnz .LBB147_8
	s_branch .LBB147_10
.LBB147_5:
	s_mov_b32 s2, 0
.LBB147_6:
	v_cmp_gt_u32_e32 vcc_lo, v1, v0
	s_and_not1_b32 s2, s2, exec_lo
	s_and_b32 s4, vcc_lo, exec_lo
	s_delay_alu instid0(SALU_CYCLE_1)
	s_or_b32 s2, s2, s4
.LBB147_7:
	s_branch .LBB147_10
.LBB147_8:
	s_cmpk_eq_i32 s3, 0x79
	s_cbranch_scc0 .LBB147_10
; %bb.9:
	v_cmp_gt_u32_e32 vcc_lo, v0, v1
	s_and_not1_b32 s2, s2, exec_lo
	s_and_b32 s3, vcc_lo, exec_lo
	s_delay_alu instid0(SALU_CYCLE_1)
	s_or_b32 s2, s2, s3
.LBB147_10:
	s_delay_alu instid0(SALU_CYCLE_1)
	s_and_b32 exec_lo, exec_lo, s2
	s_cbranch_execz .LBB147_12
; %bb.11:
	s_clause 0x1
	s_load_b128 s[4:7], s[0:1], 0x8
	s_load_b64 s[0:1], s[0:1], 0x18
	s_waitcnt lgkmcnt(0)
	v_mad_u64_u32 v[2:3], null, v1, s7, v[0:1]
	s_mul_i32 s1, s15, s1
	s_mul_hi_u32 s2, s15, s0
	v_mov_b32_e32 v3, 0
	s_mul_i32 s0, s15, s0
	s_add_i32 s1, s2, s1
	s_ashr_i32 s3, s6, 31
	s_lshl_b64 s[0:1], s[0:1], 3
	s_mov_b32 s2, s6
	v_lshlrev_b64 v[0:1], 3, v[2:3]
	s_add_u32 s4, s4, s0
	s_addc_u32 s5, s5, s1
	s_lshl_b64 s[0:1], s[2:3], 3
	v_mov_b32_e32 v2, v3
	s_add_u32 s0, s4, s0
	s_addc_u32 s1, s5, s1
	v_add_co_u32 v0, vcc_lo, s0, v0
	v_add_co_ci_u32_e32 v1, vcc_lo, s1, v1, vcc_lo
	global_store_b64 v[0:1], v[2:3], off
.LBB147_12:
	s_nop 0
	s_sendmsg sendmsg(MSG_DEALLOC_VGPRS)
	s_endpgm
	.section	.rodata,"a",@progbits
	.p2align	6, 0x0
	.amdhsa_kernel _ZN9rocsolver6v33100L8set_zeroI19rocblas_complex_numIfEPS3_EEviiT0_iil13rocblas_fill_
		.amdhsa_group_segment_fixed_size 0
		.amdhsa_private_segment_fixed_size 0
		.amdhsa_kernarg_size 296
		.amdhsa_user_sgpr_count 13
		.amdhsa_user_sgpr_dispatch_ptr 0
		.amdhsa_user_sgpr_queue_ptr 0
		.amdhsa_user_sgpr_kernarg_segment_ptr 1
		.amdhsa_user_sgpr_dispatch_id 0
		.amdhsa_user_sgpr_private_segment_size 0
		.amdhsa_wavefront_size32 1
		.amdhsa_uses_dynamic_stack 0
		.amdhsa_enable_private_segment 0
		.amdhsa_system_sgpr_workgroup_id_x 1
		.amdhsa_system_sgpr_workgroup_id_y 1
		.amdhsa_system_sgpr_workgroup_id_z 1
		.amdhsa_system_sgpr_workgroup_info 0
		.amdhsa_system_vgpr_workitem_id 1
		.amdhsa_next_free_vgpr 5
		.amdhsa_next_free_sgpr 16
		.amdhsa_reserve_vcc 1
		.amdhsa_float_round_mode_32 0
		.amdhsa_float_round_mode_16_64 0
		.amdhsa_float_denorm_mode_32 3
		.amdhsa_float_denorm_mode_16_64 3
		.amdhsa_dx10_clamp 1
		.amdhsa_ieee_mode 1
		.amdhsa_fp16_overflow 0
		.amdhsa_workgroup_processor_mode 1
		.amdhsa_memory_ordered 1
		.amdhsa_forward_progress 0
		.amdhsa_shared_vgpr_count 0
		.amdhsa_exception_fp_ieee_invalid_op 0
		.amdhsa_exception_fp_denorm_src 0
		.amdhsa_exception_fp_ieee_div_zero 0
		.amdhsa_exception_fp_ieee_overflow 0
		.amdhsa_exception_fp_ieee_underflow 0
		.amdhsa_exception_fp_ieee_inexact 0
		.amdhsa_exception_int_div_zero 0
	.end_amdhsa_kernel
	.section	.text._ZN9rocsolver6v33100L8set_zeroI19rocblas_complex_numIfEPS3_EEviiT0_iil13rocblas_fill_,"axG",@progbits,_ZN9rocsolver6v33100L8set_zeroI19rocblas_complex_numIfEPS3_EEviiT0_iil13rocblas_fill_,comdat
.Lfunc_end147:
	.size	_ZN9rocsolver6v33100L8set_zeroI19rocblas_complex_numIfEPS3_EEviiT0_iil13rocblas_fill_, .Lfunc_end147-_ZN9rocsolver6v33100L8set_zeroI19rocblas_complex_numIfEPS3_EEviiT0_iil13rocblas_fill_
                                        ; -- End function
	.section	.AMDGPU.csdata,"",@progbits
; Kernel info:
; codeLenInByte = 356
; NumSgprs: 18
; NumVgprs: 5
; ScratchSize: 0
; MemoryBound: 0
; FloatMode: 240
; IeeeMode: 1
; LDSByteSize: 0 bytes/workgroup (compile time only)
; SGPRBlocks: 2
; VGPRBlocks: 0
; NumSGPRsForWavesPerEU: 18
; NumVGPRsForWavesPerEU: 5
; Occupancy: 16
; WaveLimiterHint : 0
; COMPUTE_PGM_RSRC2:SCRATCH_EN: 0
; COMPUTE_PGM_RSRC2:USER_SGPR: 13
; COMPUTE_PGM_RSRC2:TRAP_HANDLER: 0
; COMPUTE_PGM_RSRC2:TGID_X_EN: 1
; COMPUTE_PGM_RSRC2:TGID_Y_EN: 1
; COMPUTE_PGM_RSRC2:TGID_Z_EN: 1
; COMPUTE_PGM_RSRC2:TIDIG_COMP_CNT: 1
	.section	.text._ZN9rocsolver6v33100L8copy_matI19rocblas_complex_numIfEfLb1EPS3_TnNSt9enable_ifIX18rocblas_is_complexIT_EEiE4typeELi0EEEvNS0_17copymat_directionEiiT2_iilPT0_13rocblas_fill_17rocblas_diagonal_,"axG",@progbits,_ZN9rocsolver6v33100L8copy_matI19rocblas_complex_numIfEfLb1EPS3_TnNSt9enable_ifIX18rocblas_is_complexIT_EEiE4typeELi0EEEvNS0_17copymat_directionEiiT2_iilPT0_13rocblas_fill_17rocblas_diagonal_,comdat
	.globl	_ZN9rocsolver6v33100L8copy_matI19rocblas_complex_numIfEfLb1EPS3_TnNSt9enable_ifIX18rocblas_is_complexIT_EEiE4typeELi0EEEvNS0_17copymat_directionEiiT2_iilPT0_13rocblas_fill_17rocblas_diagonal_ ; -- Begin function _ZN9rocsolver6v33100L8copy_matI19rocblas_complex_numIfEfLb1EPS3_TnNSt9enable_ifIX18rocblas_is_complexIT_EEiE4typeELi0EEEvNS0_17copymat_directionEiiT2_iilPT0_13rocblas_fill_17rocblas_diagonal_
	.p2align	8
	.type	_ZN9rocsolver6v33100L8copy_matI19rocblas_complex_numIfEfLb1EPS3_TnNSt9enable_ifIX18rocblas_is_complexIT_EEiE4typeELi0EEEvNS0_17copymat_directionEiiT2_iilPT0_13rocblas_fill_17rocblas_diagonal_,@function
_ZN9rocsolver6v33100L8copy_matI19rocblas_complex_numIfEfLb1EPS3_TnNSt9enable_ifIX18rocblas_is_complexIT_EEiE4typeELi0EEEvNS0_17copymat_directionEiiT2_iilPT0_13rocblas_fill_17rocblas_diagonal_: ; @_ZN9rocsolver6v33100L8copy_matI19rocblas_complex_numIfEfLb1EPS3_TnNSt9enable_ifIX18rocblas_is_complexIT_EEiE4typeELi0EEEvNS0_17copymat_directionEiiT2_iilPT0_13rocblas_fill_17rocblas_diagonal_
; %bb.0:
	s_clause 0x1
	s_load_b32 s2, s[0:1], 0x44
	s_load_b128 s[8:11], s[0:1], 0x0
	v_and_b32_e32 v2, 0x3ff, v0
	v_bfe_u32 v3, v0, 10, 10
	s_waitcnt lgkmcnt(0)
	s_lshr_b32 s3, s2, 16
	s_and_b32 s2, s2, 0xffff
	s_delay_alu instid0(VALU_DEP_1) | instid1(SALU_CYCLE_1)
	v_mad_u64_u32 v[0:1], null, s13, s2, v[2:3]
	v_mad_u64_u32 v[1:2], null, s14, s3, v[3:4]
	s_delay_alu instid0(VALU_DEP_2) | instskip(NEXT) | instid1(VALU_DEP_2)
	v_cmp_gt_u32_e32 vcc_lo, s9, v0
	v_cmp_gt_u32_e64 s2, s10, v1
	s_delay_alu instid0(VALU_DEP_1) | instskip(NEXT) | instid1(SALU_CYCLE_1)
	s_and_b32 s2, s2, vcc_lo
	s_and_saveexec_b32 s3, s2
	s_cbranch_execz .LBB148_16
; %bb.1:
	s_load_b64 s[4:5], s[0:1], 0x30
	s_mov_b32 s11, s9
	s_waitcnt lgkmcnt(0)
	s_cmpk_lt_i32 s4, 0x7a
	s_cbranch_scc1 .LBB148_4
; %bb.2:
	s_cmpk_gt_i32 s4, 0x7a
	s_cbranch_scc0 .LBB148_5
; %bb.3:
	s_cmpk_lg_i32 s4, 0x7b
	s_mov_b32 s3, -1
	s_cselect_b32 s6, -1, 0
	s_cbranch_execz .LBB148_6
	s_branch .LBB148_7
.LBB148_4:
	s_mov_b32 s6, 0
	s_mov_b32 s3, 0
	s_cbranch_execnz .LBB148_8
	s_branch .LBB148_10
.LBB148_5:
	s_mov_b32 s3, 0
	s_mov_b32 s6, 0
.LBB148_6:
	v_cmp_gt_u32_e32 vcc_lo, v0, v1
	v_cmp_le_u32_e64 s2, v0, v1
	s_and_not1_b32 s3, s3, exec_lo
	s_and_not1_b32 s6, s6, exec_lo
	s_and_b32 s7, vcc_lo, exec_lo
	s_delay_alu instid0(VALU_DEP_1)
	s_and_b32 s2, s2, exec_lo
	s_or_b32 s3, s3, s7
	s_or_b32 s6, s6, s2
.LBB148_7:
	s_branch .LBB148_10
.LBB148_8:
	s_cmpk_eq_i32 s4, 0x79
	s_mov_b32 s6, -1
	s_cbranch_scc0 .LBB148_10
; %bb.9:
	v_cmp_gt_u32_e32 vcc_lo, v1, v0
	v_cmp_le_u32_e64 s2, v1, v0
	s_and_not1_b32 s3, s3, exec_lo
	s_and_b32 s4, vcc_lo, exec_lo
	s_delay_alu instid0(VALU_DEP_1)
	s_or_not1_b32 s6, s2, exec_lo
	s_or_b32 s3, s3, s4
.LBB148_10:
	s_and_saveexec_b32 s2, s6
; %bb.11:
	v_cmp_eq_u32_e32 vcc_lo, v0, v1
	s_cmpk_eq_i32 s5, 0x83
	s_cselect_b32 s4, -1, 0
	s_and_not1_b32 s3, s3, exec_lo
	s_and_b32 s4, s4, vcc_lo
	s_delay_alu instid0(SALU_CYCLE_1) | instskip(NEXT) | instid1(SALU_CYCLE_1)
	s_and_b32 s4, s4, exec_lo
	s_or_b32 s3, s3, s4
; %bb.12:
	s_or_b32 exec_lo, exec_lo, s2
	s_delay_alu instid0(SALU_CYCLE_1)
	s_and_b32 exec_lo, exec_lo, s3
	s_cbranch_execz .LBB148_16
; %bb.13:
	s_load_b256 s[0:7], s[0:1], 0x10
	s_ashr_i32 s12, s9, 31
	s_ashr_i32 s13, s10, 31
	s_mul_i32 s16, s12, s15
	s_mul_hi_u32 s14, s9, s15
	s_mul_i32 s9, s9, s15
	s_delay_alu instid0(SALU_CYCLE_1)
	s_mul_i32 s17, s9, s13
	s_waitcnt lgkmcnt(0)
	s_mul_i32 s5, s15, s5
	s_mul_hi_u32 s12, s15, s4
	s_mul_i32 s4, s15, s4
	s_add_i32 s5, s12, s5
	s_ashr_i32 s13, s2, 31
	s_lshl_b64 s[4:5], s[4:5], 3
	s_mov_b32 s12, s2
	s_add_u32 s2, s0, s4
	s_addc_u32 s4, s1, s5
	s_lshl_b64 s[0:1], s[12:13], 3
	s_mul_hi_u32 s5, s9, s10
	s_add_u32 s0, s2, s0
	s_addc_u32 s1, s4, s1
	s_add_i32 s2, s14, s16
	s_add_i32 s4, s5, s17
	s_mul_i32 s2, s2, s10
	s_delay_alu instid0(SALU_CYCLE_1) | instskip(SKIP_1) | instid1(SALU_CYCLE_1)
	s_add_i32 s5, s4, s2
	s_mul_i32 s4, s9, s10
	s_lshl_b64 s[4:5], s[4:5], 2
	s_delay_alu instid0(SALU_CYCLE_1)
	s_add_u32 s2, s6, s4
	s_addc_u32 s4, s7, s5
	s_cmp_lg_u32 s8, 0
	s_mov_b32 s5, 0
	s_cbranch_scc0 .LBB148_17
; %bb.14:
	v_mad_u64_u32 v[2:3], null, v1, s11, v[0:1]
	v_mov_b32_e32 v3, 0
	s_delay_alu instid0(VALU_DEP_1) | instskip(NEXT) | instid1(VALU_DEP_1)
	v_lshlrev_b64 v[4:5], 2, v[2:3]
	v_add_co_u32 v4, vcc_lo, s2, v4
	s_delay_alu instid0(VALU_DEP_2) | instskip(SKIP_3) | instid1(VALU_DEP_1)
	v_add_co_ci_u32_e32 v5, vcc_lo, s4, v5, vcc_lo
	global_load_b32 v6, v[4:5], off
	v_mad_u64_u32 v[4:5], null, v1, s3, v[0:1]
	v_mov_b32_e32 v5, v3
	v_lshlrev_b64 v[2:3], 3, v[4:5]
	s_delay_alu instid0(VALU_DEP_1) | instskip(NEXT) | instid1(VALU_DEP_2)
	v_add_co_u32 v2, vcc_lo, s0, v2
	v_add_co_ci_u32_e32 v3, vcc_lo, s1, v3, vcc_lo
	s_waitcnt vmcnt(0)
	global_store_b32 v[2:3], v6, off
	s_and_not1_b32 vcc_lo, exec_lo, s5
	s_cbranch_vccnz .LBB148_16
.LBB148_15:
	v_mad_u64_u32 v[2:3], null, v1, s3, v[0:1]
	v_mov_b32_e32 v3, 0
	s_delay_alu instid0(VALU_DEP_1) | instskip(NEXT) | instid1(VALU_DEP_1)
	v_lshlrev_b64 v[4:5], 3, v[2:3]
	v_add_co_u32 v4, vcc_lo, s0, v4
	s_delay_alu instid0(VALU_DEP_2) | instskip(SKIP_3) | instid1(VALU_DEP_1)
	v_add_co_ci_u32_e32 v5, vcc_lo, s1, v5, vcc_lo
	global_load_b32 v2, v[4:5], off
	v_mad_u64_u32 v[4:5], null, v1, s11, v[0:1]
	v_mov_b32_e32 v5, v3
	v_lshlrev_b64 v[0:1], 2, v[4:5]
	s_delay_alu instid0(VALU_DEP_1) | instskip(NEXT) | instid1(VALU_DEP_2)
	v_add_co_u32 v0, vcc_lo, s2, v0
	v_add_co_ci_u32_e32 v1, vcc_lo, s4, v1, vcc_lo
	s_waitcnt vmcnt(0)
	global_store_b32 v[0:1], v2, off
.LBB148_16:
	s_nop 0
	s_sendmsg sendmsg(MSG_DEALLOC_VGPRS)
	s_endpgm
.LBB148_17:
	s_branch .LBB148_15
	.section	.rodata,"a",@progbits
	.p2align	6, 0x0
	.amdhsa_kernel _ZN9rocsolver6v33100L8copy_matI19rocblas_complex_numIfEfLb1EPS3_TnNSt9enable_ifIX18rocblas_is_complexIT_EEiE4typeELi0EEEvNS0_17copymat_directionEiiT2_iilPT0_13rocblas_fill_17rocblas_diagonal_
		.amdhsa_group_segment_fixed_size 0
		.amdhsa_private_segment_fixed_size 0
		.amdhsa_kernarg_size 312
		.amdhsa_user_sgpr_count 13
		.amdhsa_user_sgpr_dispatch_ptr 0
		.amdhsa_user_sgpr_queue_ptr 0
		.amdhsa_user_sgpr_kernarg_segment_ptr 1
		.amdhsa_user_sgpr_dispatch_id 0
		.amdhsa_user_sgpr_private_segment_size 0
		.amdhsa_wavefront_size32 1
		.amdhsa_uses_dynamic_stack 0
		.amdhsa_enable_private_segment 0
		.amdhsa_system_sgpr_workgroup_id_x 1
		.amdhsa_system_sgpr_workgroup_id_y 1
		.amdhsa_system_sgpr_workgroup_id_z 1
		.amdhsa_system_sgpr_workgroup_info 0
		.amdhsa_system_vgpr_workitem_id 1
		.amdhsa_next_free_vgpr 7
		.amdhsa_next_free_sgpr 18
		.amdhsa_reserve_vcc 1
		.amdhsa_float_round_mode_32 0
		.amdhsa_float_round_mode_16_64 0
		.amdhsa_float_denorm_mode_32 3
		.amdhsa_float_denorm_mode_16_64 3
		.amdhsa_dx10_clamp 1
		.amdhsa_ieee_mode 1
		.amdhsa_fp16_overflow 0
		.amdhsa_workgroup_processor_mode 1
		.amdhsa_memory_ordered 1
		.amdhsa_forward_progress 0
		.amdhsa_shared_vgpr_count 0
		.amdhsa_exception_fp_ieee_invalid_op 0
		.amdhsa_exception_fp_denorm_src 0
		.amdhsa_exception_fp_ieee_div_zero 0
		.amdhsa_exception_fp_ieee_overflow 0
		.amdhsa_exception_fp_ieee_underflow 0
		.amdhsa_exception_fp_ieee_inexact 0
		.amdhsa_exception_int_div_zero 0
	.end_amdhsa_kernel
	.section	.text._ZN9rocsolver6v33100L8copy_matI19rocblas_complex_numIfEfLb1EPS3_TnNSt9enable_ifIX18rocblas_is_complexIT_EEiE4typeELi0EEEvNS0_17copymat_directionEiiT2_iilPT0_13rocblas_fill_17rocblas_diagonal_,"axG",@progbits,_ZN9rocsolver6v33100L8copy_matI19rocblas_complex_numIfEfLb1EPS3_TnNSt9enable_ifIX18rocblas_is_complexIT_EEiE4typeELi0EEEvNS0_17copymat_directionEiiT2_iilPT0_13rocblas_fill_17rocblas_diagonal_,comdat
.Lfunc_end148:
	.size	_ZN9rocsolver6v33100L8copy_matI19rocblas_complex_numIfEfLb1EPS3_TnNSt9enable_ifIX18rocblas_is_complexIT_EEiE4typeELi0EEEvNS0_17copymat_directionEiiT2_iilPT0_13rocblas_fill_17rocblas_diagonal_, .Lfunc_end148-_ZN9rocsolver6v33100L8copy_matI19rocblas_complex_numIfEfLb1EPS3_TnNSt9enable_ifIX18rocblas_is_complexIT_EEiE4typeELi0EEEvNS0_17copymat_directionEiiT2_iilPT0_13rocblas_fill_17rocblas_diagonal_
                                        ; -- End function
	.section	.AMDGPU.csdata,"",@progbits
; Kernel info:
; codeLenInByte = 680
; NumSgprs: 20
; NumVgprs: 7
; ScratchSize: 0
; MemoryBound: 0
; FloatMode: 240
; IeeeMode: 1
; LDSByteSize: 0 bytes/workgroup (compile time only)
; SGPRBlocks: 2
; VGPRBlocks: 0
; NumSGPRsForWavesPerEU: 20
; NumVGPRsForWavesPerEU: 7
; Occupancy: 16
; WaveLimiterHint : 0
; COMPUTE_PGM_RSRC2:SCRATCH_EN: 0
; COMPUTE_PGM_RSRC2:USER_SGPR: 13
; COMPUTE_PGM_RSRC2:TRAP_HANDLER: 0
; COMPUTE_PGM_RSRC2:TGID_X_EN: 1
; COMPUTE_PGM_RSRC2:TGID_Y_EN: 1
; COMPUTE_PGM_RSRC2:TGID_Z_EN: 1
; COMPUTE_PGM_RSRC2:TIDIG_COMP_CNT: 1
	.section	.text._ZN9rocsolver6v33100L11stedc_copyCI19rocblas_complex_numIfEPS3_S4_EEviT0_iilT1_iil,"axG",@progbits,_ZN9rocsolver6v33100L11stedc_copyCI19rocblas_complex_numIfEPS3_S4_EEviT0_iilT1_iil,comdat
	.globl	_ZN9rocsolver6v33100L11stedc_copyCI19rocblas_complex_numIfEPS3_S4_EEviT0_iilT1_iil ; -- Begin function _ZN9rocsolver6v33100L11stedc_copyCI19rocblas_complex_numIfEPS3_S4_EEviT0_iilT1_iil
	.p2align	8
	.type	_ZN9rocsolver6v33100L11stedc_copyCI19rocblas_complex_numIfEPS3_S4_EEviT0_iilT1_iil,@function
_ZN9rocsolver6v33100L11stedc_copyCI19rocblas_complex_numIfEPS3_S4_EEviT0_iilT1_iil: ; @_ZN9rocsolver6v33100L11stedc_copyCI19rocblas_complex_numIfEPS3_S4_EEviT0_iilT1_iil
; %bb.0:
	s_clause 0x1
	s_load_b32 s2, s[0:1], 0x44
	s_load_b32 s18, s[0:1], 0x0
	s_waitcnt lgkmcnt(0)
	s_and_b32 s16, s2, 0xffff
	s_add_i32 s4, s18, -1
	s_lshl_b32 s17, s16, 4
	s_abs_i32 s5, s4
	v_cvt_f32_u32_e32 v1, s17
	s_sub_i32 s3, 0, s17
	s_ashr_i32 s4, s4, 31
	s_delay_alu instid0(VALU_DEP_1) | instskip(SKIP_2) | instid1(VALU_DEP_1)
	v_rcp_iflag_f32_e32 v1, v1
	s_waitcnt_depctr 0xfff
	v_mul_f32_e32 v1, 0x4f7ffffe, v1
	v_cvt_u32_f32_e32 v1, v1
	s_delay_alu instid0(VALU_DEP_1) | instskip(NEXT) | instid1(VALU_DEP_1)
	v_readfirstlane_b32 s2, v1
	s_mul_i32 s3, s3, s2
	s_delay_alu instid0(SALU_CYCLE_1) | instskip(NEXT) | instid1(SALU_CYCLE_1)
	s_mul_hi_u32 s3, s2, s3
	s_add_i32 s2, s2, s3
	s_delay_alu instid0(SALU_CYCLE_1) | instskip(NEXT) | instid1(SALU_CYCLE_1)
	s_mul_hi_u32 s2, s5, s2
	s_mul_i32 s3, s2, s17
	s_delay_alu instid0(SALU_CYCLE_1)
	s_sub_i32 s3, s5, s3
	s_add_i32 s5, s2, 1
	s_sub_i32 s6, s3, s17
	s_cmp_ge_u32 s3, s17
	s_cselect_b32 s2, s5, s2
	s_cselect_b32 s3, s6, s3
	s_add_i32 s5, s2, 1
	s_cmp_ge_u32 s3, s17
	s_cselect_b32 s2, s5, s2
	s_delay_alu instid0(SALU_CYCLE_1) | instskip(NEXT) | instid1(SALU_CYCLE_1)
	s_xor_b32 s2, s2, s4
	s_sub_i32 s12, s2, s4
	s_delay_alu instid0(SALU_CYCLE_1)
	s_cmp_lt_i32 s12, 0
	s_cbranch_scc1 .LBB149_67
; %bb.1:
	s_clause 0x1
	s_load_b256 s[4:11], s[0:1], 0x8
	s_load_b128 s[0:3], s[0:1], 0x28
	s_ashr_i32 s13, s15, 31
	s_mul_i32 s19, s16, 3
	s_mul_i32 s20, s16, 5
	s_mul_i32 s21, s16, 6
	s_mul_i32 s22, s16, 7
	s_mul_i32 s23, s16, 9
	s_mul_i32 s27, s16, 11
	s_mul_i32 s28, s16, 12
	s_mul_i32 s36, s16, 13
	s_mul_i32 s37, s16, 14
	s_mul_i32 s38, s16, 15
                                        ; implicit-def: $vgpr2_vgpr3
                                        ; implicit-def: $vgpr4_vgpr5
                                        ; implicit-def: $vgpr6_vgpr7
                                        ; implicit-def: $vgpr8_vgpr9
                                        ; implicit-def: $vgpr10_vgpr11
                                        ; implicit-def: $vgpr12_vgpr13
                                        ; implicit-def: $vgpr14_vgpr15
                                        ; implicit-def: $vgpr16_vgpr17
                                        ; implicit-def: $vgpr18_vgpr19
                                        ; implicit-def: $vgpr20_vgpr21
                                        ; implicit-def: $vgpr22_vgpr23
                                        ; implicit-def: $vgpr24_vgpr25
                                        ; implicit-def: $vgpr26_vgpr27
                                        ; implicit-def: $vgpr28_vgpr29
                                        ; implicit-def: $vgpr30_vgpr31
                                        ; implicit-def: $vgpr32_vgpr33
	s_waitcnt lgkmcnt(0)
	s_ashr_i32 s25, s6, 31
	s_mov_b32 s24, s6
	s_mul_i32 s6, s15, s9
	s_mul_hi_u32 s9, s15, s8
	s_mul_i32 s26, s13, s8
	s_add_i32 s6, s9, s6
	s_mul_i32 s8, s15, s8
	s_add_i32 s9, s6, s26
	s_mul_i32 s3, s15, s3
	s_lshl_b64 s[8:9], s[8:9], 3
	s_mul_hi_u32 s6, s15, s2
	s_add_u32 s8, s4, s8
	s_addc_u32 s9, s5, s9
	s_lshl_b64 s[4:5], s[24:25], 3
	s_mul_i32 s13, s13, s2
	s_add_u32 s8, s8, s4
	s_addc_u32 s9, s9, s5
	s_add_i32 s3, s6, s3
	s_mul_i32 s2, s15, s2
	s_add_i32 s3, s3, s13
	s_mov_b32 s4, s0
	s_lshl_b64 s[2:3], s[2:3], 3
	s_ashr_i32 s5, s0, 31
	s_add_u32 s0, s10, s2
	s_addc_u32 s6, s11, s3
	s_lshl_b64 s[2:3], s[4:5], 3
	s_mul_i32 s4, s14, s7
	s_add_u32 s7, s0, s2
	s_addc_u32 s6, s6, s3
	s_ashr_i32 s5, s4, 31
	s_mul_i32 s0, s14, s1
	s_lshl_b64 s[2:3], s[4:5], 3
	s_mul_i32 s24, s16, 10
	s_add_u32 s25, s8, s2
	s_addc_u32 s26, s9, s3
	s_ashr_i32 s1, s0, 31
	s_delay_alu instid0(SALU_CYCLE_1) | instskip(NEXT) | instid1(SALU_CYCLE_1)
	s_lshl_b64 s[0:1], s[0:1], 3
	s_add_u32 s29, s7, s0
	s_addc_u32 s30, s6, s1
	s_add_i32 s31, s12, 1
	s_lshl_b32 s33, s16, 1
	s_lshl_b32 s34, s16, 2
	;; [unrolled: 1-line block ×3, first 2 shown]
	s_branch .LBB149_3
.LBB149_2:                              ;   in Loop: Header=BB149_3 Depth=1
	s_or_b32 exec_lo, exec_lo, s0
	v_add_nc_u32_e32 v0, s17, v0
	s_add_i32 s31, s31, -1
	s_delay_alu instid0(SALU_CYCLE_1)
	s_cmp_eq_u32 s31, 0
	s_cbranch_scc1 .LBB149_67
.LBB149_3:                              ; =>This Inner Loop Header: Depth=1
	s_delay_alu instid0(VALU_DEP_1)
	v_cmp_gt_i32_e32 vcc_lo, s18, v0
	v_ashrrev_i32_e32 v1, 31, v0
	s_and_saveexec_b32 s1, vcc_lo
	s_cbranch_execz .LBB149_5
; %bb.4:                                ;   in Loop: Header=BB149_3 Depth=1
	s_waitcnt vmcnt(0)
	s_delay_alu instid0(VALU_DEP_1) | instskip(NEXT) | instid1(VALU_DEP_1)
	v_lshlrev_b64 v[32:33], 3, v[0:1]
	v_add_co_u32 v32, s0, s25, v32
	s_delay_alu instid0(VALU_DEP_1)
	v_add_co_ci_u32_e64 v33, s0, s26, v33, s0
	global_load_b64 v[32:33], v[32:33], off
.LBB149_5:                              ;   in Loop: Header=BB149_3 Depth=1
	s_or_b32 exec_lo, exec_lo, s1
	v_add_nc_u32_e32 v34, s16, v0
	s_delay_alu instid0(VALU_DEP_1) | instskip(SKIP_1) | instid1(VALU_DEP_2)
	v_cmp_gt_i32_e64 s0, s18, v34
	v_ashrrev_i32_e32 v35, 31, v34
	s_and_saveexec_b32 s2, s0
	s_cbranch_execz .LBB149_7
; %bb.6:                                ;   in Loop: Header=BB149_3 Depth=1
	s_waitcnt vmcnt(0)
	s_delay_alu instid0(VALU_DEP_1) | instskip(NEXT) | instid1(VALU_DEP_1)
	v_lshlrev_b64 v[30:31], 3, v[34:35]
	v_add_co_u32 v30, s1, s25, v30
	s_delay_alu instid0(VALU_DEP_1)
	v_add_co_ci_u32_e64 v31, s1, s26, v31, s1
	global_load_b64 v[30:31], v[30:31], off
.LBB149_7:                              ;   in Loop: Header=BB149_3 Depth=1
	s_or_b32 exec_lo, exec_lo, s2
	v_add_nc_u32_e32 v38, s16, v34
	v_add_nc_u32_e32 v36, s33, v0
	s_delay_alu instid0(VALU_DEP_2) | instskip(NEXT) | instid1(VALU_DEP_2)
	v_cmp_gt_i32_e64 s1, s18, v38
	v_ashrrev_i32_e32 v37, 31, v36
	s_delay_alu instid0(VALU_DEP_2)
	s_and_saveexec_b32 s3, s1
	s_cbranch_execz .LBB149_9
; %bb.8:                                ;   in Loop: Header=BB149_3 Depth=1
	s_waitcnt vmcnt(0)
	s_delay_alu instid0(VALU_DEP_1) | instskip(NEXT) | instid1(VALU_DEP_1)
	v_lshlrev_b64 v[28:29], 3, v[36:37]
	v_add_co_u32 v28, s2, s25, v28
	s_delay_alu instid0(VALU_DEP_1)
	v_add_co_ci_u32_e64 v29, s2, s26, v29, s2
	global_load_b64 v[28:29], v[28:29], off
.LBB149_9:                              ;   in Loop: Header=BB149_3 Depth=1
	s_or_b32 exec_lo, exec_lo, s3
	v_add_nc_u32_e32 v40, s16, v38
	v_add_nc_u32_e32 v38, s19, v0
	s_delay_alu instid0(VALU_DEP_2) | instskip(NEXT) | instid1(VALU_DEP_2)
	v_cmp_gt_i32_e64 s2, s18, v40
	v_ashrrev_i32_e32 v39, 31, v38
	s_delay_alu instid0(VALU_DEP_2)
	s_and_saveexec_b32 s4, s2
	s_cbranch_execz .LBB149_11
; %bb.10:                               ;   in Loop: Header=BB149_3 Depth=1
	s_waitcnt vmcnt(0)
	s_delay_alu instid0(VALU_DEP_1) | instskip(NEXT) | instid1(VALU_DEP_1)
	v_lshlrev_b64 v[26:27], 3, v[38:39]
	v_add_co_u32 v26, s3, s25, v26
	s_delay_alu instid0(VALU_DEP_1)
	v_add_co_ci_u32_e64 v27, s3, s26, v27, s3
	global_load_b64 v[26:27], v[26:27], off
.LBB149_11:                             ;   in Loop: Header=BB149_3 Depth=1
	s_or_b32 exec_lo, exec_lo, s4
	v_add_nc_u32_e32 v42, s16, v40
	v_add_nc_u32_e32 v40, s34, v0
	s_delay_alu instid0(VALU_DEP_2) | instskip(NEXT) | instid1(VALU_DEP_2)
	v_cmp_gt_i32_e64 s3, s18, v42
	v_ashrrev_i32_e32 v41, 31, v40
	s_delay_alu instid0(VALU_DEP_2)
	s_and_saveexec_b32 s5, s3
	s_cbranch_execz .LBB149_13
; %bb.12:                               ;   in Loop: Header=BB149_3 Depth=1
	s_waitcnt vmcnt(0)
	s_delay_alu instid0(VALU_DEP_1) | instskip(NEXT) | instid1(VALU_DEP_1)
	v_lshlrev_b64 v[24:25], 3, v[40:41]
	v_add_co_u32 v24, s4, s25, v24
	s_delay_alu instid0(VALU_DEP_1)
	v_add_co_ci_u32_e64 v25, s4, s26, v25, s4
	global_load_b64 v[24:25], v[24:25], off
.LBB149_13:                             ;   in Loop: Header=BB149_3 Depth=1
	;; [unrolled: 18-line block ×12, first 2 shown]
	s_or_b32 exec_lo, exec_lo, s15
	v_add_nc_u32_e32 v63, s16, v62
	v_add_nc_u32_e32 v62, s38, v0
	s_delay_alu instid0(VALU_DEP_2) | instskip(NEXT) | instid1(VALU_DEP_2)
	v_cmp_gt_i32_e64 s14, s18, v63
	v_ashrrev_i32_e32 v63, 31, v62
	s_delay_alu instid0(VALU_DEP_2)
	s_and_saveexec_b32 s39, s14
	s_cbranch_execnz .LBB149_50
; %bb.34:                               ;   in Loop: Header=BB149_3 Depth=1
	s_or_b32 exec_lo, exec_lo, s39
	s_and_saveexec_b32 s15, vcc_lo
	s_cbranch_execnz .LBB149_51
.LBB149_35:                             ;   in Loop: Header=BB149_3 Depth=1
	s_or_b32 exec_lo, exec_lo, s15
	s_and_saveexec_b32 s15, s0
	s_cbranch_execnz .LBB149_52
.LBB149_36:                             ;   in Loop: Header=BB149_3 Depth=1
	s_or_b32 exec_lo, exec_lo, s15
	s_and_saveexec_b32 s0, s1
	s_cbranch_execnz .LBB149_53
.LBB149_37:                             ;   in Loop: Header=BB149_3 Depth=1
	s_or_b32 exec_lo, exec_lo, s0
	s_and_saveexec_b32 s0, s2
	s_cbranch_execnz .LBB149_54
.LBB149_38:                             ;   in Loop: Header=BB149_3 Depth=1
	s_or_b32 exec_lo, exec_lo, s0
	s_and_saveexec_b32 s0, s3
	s_cbranch_execnz .LBB149_55
.LBB149_39:                             ;   in Loop: Header=BB149_3 Depth=1
	s_or_b32 exec_lo, exec_lo, s0
	s_and_saveexec_b32 s0, s4
	s_cbranch_execnz .LBB149_56
.LBB149_40:                             ;   in Loop: Header=BB149_3 Depth=1
	s_or_b32 exec_lo, exec_lo, s0
	s_and_saveexec_b32 s0, s5
	s_cbranch_execnz .LBB149_57
.LBB149_41:                             ;   in Loop: Header=BB149_3 Depth=1
	s_or_b32 exec_lo, exec_lo, s0
	s_and_saveexec_b32 s0, s6
	s_cbranch_execnz .LBB149_58
.LBB149_42:                             ;   in Loop: Header=BB149_3 Depth=1
	s_or_b32 exec_lo, exec_lo, s0
	s_and_saveexec_b32 s0, s7
	s_cbranch_execnz .LBB149_59
.LBB149_43:                             ;   in Loop: Header=BB149_3 Depth=1
	s_or_b32 exec_lo, exec_lo, s0
	s_and_saveexec_b32 s0, s8
	s_cbranch_execnz .LBB149_60
.LBB149_44:                             ;   in Loop: Header=BB149_3 Depth=1
	s_or_b32 exec_lo, exec_lo, s0
	s_and_saveexec_b32 s0, s9
	s_cbranch_execnz .LBB149_61
.LBB149_45:                             ;   in Loop: Header=BB149_3 Depth=1
	s_or_b32 exec_lo, exec_lo, s0
	s_and_saveexec_b32 s0, s10
	s_cbranch_execnz .LBB149_62
.LBB149_46:                             ;   in Loop: Header=BB149_3 Depth=1
	s_or_b32 exec_lo, exec_lo, s0
	s_and_saveexec_b32 s0, s11
	s_cbranch_execnz .LBB149_63
.LBB149_47:                             ;   in Loop: Header=BB149_3 Depth=1
	s_or_b32 exec_lo, exec_lo, s0
	s_and_saveexec_b32 s0, s12
	s_cbranch_execnz .LBB149_64
.LBB149_48:                             ;   in Loop: Header=BB149_3 Depth=1
	s_or_b32 exec_lo, exec_lo, s0
	s_and_saveexec_b32 s0, s13
	s_cbranch_execnz .LBB149_65
.LBB149_49:                             ;   in Loop: Header=BB149_3 Depth=1
	s_or_b32 exec_lo, exec_lo, s0
	s_and_saveexec_b32 s0, s14
	s_cbranch_execz .LBB149_2
	s_branch .LBB149_66
.LBB149_50:                             ;   in Loop: Header=BB149_3 Depth=1
	s_waitcnt vmcnt(0)
	s_delay_alu instid0(VALU_DEP_1) | instskip(NEXT) | instid1(VALU_DEP_1)
	v_lshlrev_b64 v[2:3], 3, v[62:63]
	v_add_co_u32 v2, s15, s25, v2
	s_delay_alu instid0(VALU_DEP_1)
	v_add_co_ci_u32_e64 v3, s15, s26, v3, s15
	global_load_b64 v[2:3], v[2:3], off
	s_or_b32 exec_lo, exec_lo, s39
	s_and_saveexec_b32 s15, vcc_lo
	s_cbranch_execz .LBB149_35
.LBB149_51:                             ;   in Loop: Header=BB149_3 Depth=1
	v_lshlrev_b64 v[64:65], 3, v[0:1]
	s_delay_alu instid0(VALU_DEP_1) | instskip(NEXT) | instid1(VALU_DEP_2)
	v_add_co_u32 v64, vcc_lo, s29, v64
	v_add_co_ci_u32_e32 v65, vcc_lo, s30, v65, vcc_lo
	s_waitcnt vmcnt(0)
	global_store_b64 v[64:65], v[32:33], off
	s_or_b32 exec_lo, exec_lo, s15
	s_and_saveexec_b32 s15, s0
	s_cbranch_execz .LBB149_36
.LBB149_52:                             ;   in Loop: Header=BB149_3 Depth=1
	v_lshlrev_b64 v[34:35], 3, v[34:35]
	s_delay_alu instid0(VALU_DEP_1) | instskip(NEXT) | instid1(VALU_DEP_2)
	v_add_co_u32 v34, vcc_lo, s29, v34
	v_add_co_ci_u32_e32 v35, vcc_lo, s30, v35, vcc_lo
	s_waitcnt vmcnt(0)
	global_store_b64 v[34:35], v[30:31], off
	s_or_b32 exec_lo, exec_lo, s15
	s_and_saveexec_b32 s0, s1
	s_cbranch_execz .LBB149_37
.LBB149_53:                             ;   in Loop: Header=BB149_3 Depth=1
	v_lshlrev_b64 v[34:35], 3, v[36:37]
	s_delay_alu instid0(VALU_DEP_1) | instskip(NEXT) | instid1(VALU_DEP_2)
	v_add_co_u32 v34, vcc_lo, s29, v34
	v_add_co_ci_u32_e32 v35, vcc_lo, s30, v35, vcc_lo
	s_waitcnt vmcnt(0)
	global_store_b64 v[34:35], v[28:29], off
	s_or_b32 exec_lo, exec_lo, s0
	s_and_saveexec_b32 s0, s2
	s_cbranch_execz .LBB149_38
.LBB149_54:                             ;   in Loop: Header=BB149_3 Depth=1
	v_lshlrev_b64 v[34:35], 3, v[38:39]
	s_delay_alu instid0(VALU_DEP_1) | instskip(NEXT) | instid1(VALU_DEP_2)
	v_add_co_u32 v34, vcc_lo, s29, v34
	v_add_co_ci_u32_e32 v35, vcc_lo, s30, v35, vcc_lo
	s_waitcnt vmcnt(0)
	global_store_b64 v[34:35], v[26:27], off
	s_or_b32 exec_lo, exec_lo, s0
	s_and_saveexec_b32 s0, s3
	s_cbranch_execz .LBB149_39
.LBB149_55:                             ;   in Loop: Header=BB149_3 Depth=1
	v_lshlrev_b64 v[34:35], 3, v[40:41]
	s_delay_alu instid0(VALU_DEP_1) | instskip(NEXT) | instid1(VALU_DEP_2)
	v_add_co_u32 v34, vcc_lo, s29, v34
	v_add_co_ci_u32_e32 v35, vcc_lo, s30, v35, vcc_lo
	s_waitcnt vmcnt(0)
	global_store_b64 v[34:35], v[24:25], off
	s_or_b32 exec_lo, exec_lo, s0
	s_and_saveexec_b32 s0, s4
	s_cbranch_execz .LBB149_40
.LBB149_56:                             ;   in Loop: Header=BB149_3 Depth=1
	v_lshlrev_b64 v[34:35], 3, v[42:43]
	s_delay_alu instid0(VALU_DEP_1) | instskip(NEXT) | instid1(VALU_DEP_2)
	v_add_co_u32 v34, vcc_lo, s29, v34
	v_add_co_ci_u32_e32 v35, vcc_lo, s30, v35, vcc_lo
	s_waitcnt vmcnt(0)
	global_store_b64 v[34:35], v[22:23], off
	s_or_b32 exec_lo, exec_lo, s0
	s_and_saveexec_b32 s0, s5
	s_cbranch_execz .LBB149_41
.LBB149_57:                             ;   in Loop: Header=BB149_3 Depth=1
	v_lshlrev_b64 v[34:35], 3, v[44:45]
	s_delay_alu instid0(VALU_DEP_1) | instskip(NEXT) | instid1(VALU_DEP_2)
	v_add_co_u32 v34, vcc_lo, s29, v34
	v_add_co_ci_u32_e32 v35, vcc_lo, s30, v35, vcc_lo
	s_waitcnt vmcnt(0)
	global_store_b64 v[34:35], v[20:21], off
	s_or_b32 exec_lo, exec_lo, s0
	s_and_saveexec_b32 s0, s6
	s_cbranch_execz .LBB149_42
.LBB149_58:                             ;   in Loop: Header=BB149_3 Depth=1
	v_lshlrev_b64 v[34:35], 3, v[46:47]
	s_delay_alu instid0(VALU_DEP_1) | instskip(NEXT) | instid1(VALU_DEP_2)
	v_add_co_u32 v34, vcc_lo, s29, v34
	v_add_co_ci_u32_e32 v35, vcc_lo, s30, v35, vcc_lo
	s_waitcnt vmcnt(0)
	global_store_b64 v[34:35], v[18:19], off
	s_or_b32 exec_lo, exec_lo, s0
	s_and_saveexec_b32 s0, s7
	s_cbranch_execz .LBB149_43
.LBB149_59:                             ;   in Loop: Header=BB149_3 Depth=1
	v_lshlrev_b64 v[34:35], 3, v[48:49]
	s_delay_alu instid0(VALU_DEP_1) | instskip(NEXT) | instid1(VALU_DEP_2)
	v_add_co_u32 v34, vcc_lo, s29, v34
	v_add_co_ci_u32_e32 v35, vcc_lo, s30, v35, vcc_lo
	s_waitcnt vmcnt(0)
	global_store_b64 v[34:35], v[16:17], off
	s_or_b32 exec_lo, exec_lo, s0
	s_and_saveexec_b32 s0, s8
	s_cbranch_execz .LBB149_44
.LBB149_60:                             ;   in Loop: Header=BB149_3 Depth=1
	v_lshlrev_b64 v[34:35], 3, v[50:51]
	s_delay_alu instid0(VALU_DEP_1) | instskip(NEXT) | instid1(VALU_DEP_2)
	v_add_co_u32 v34, vcc_lo, s29, v34
	v_add_co_ci_u32_e32 v35, vcc_lo, s30, v35, vcc_lo
	s_waitcnt vmcnt(0)
	global_store_b64 v[34:35], v[14:15], off
	s_or_b32 exec_lo, exec_lo, s0
	s_and_saveexec_b32 s0, s9
	s_cbranch_execz .LBB149_45
.LBB149_61:                             ;   in Loop: Header=BB149_3 Depth=1
	v_lshlrev_b64 v[34:35], 3, v[52:53]
	s_delay_alu instid0(VALU_DEP_1) | instskip(NEXT) | instid1(VALU_DEP_2)
	v_add_co_u32 v34, vcc_lo, s29, v34
	v_add_co_ci_u32_e32 v35, vcc_lo, s30, v35, vcc_lo
	s_waitcnt vmcnt(0)
	global_store_b64 v[34:35], v[12:13], off
	s_or_b32 exec_lo, exec_lo, s0
	s_and_saveexec_b32 s0, s10
	s_cbranch_execz .LBB149_46
.LBB149_62:                             ;   in Loop: Header=BB149_3 Depth=1
	v_lshlrev_b64 v[34:35], 3, v[54:55]
	s_delay_alu instid0(VALU_DEP_1) | instskip(NEXT) | instid1(VALU_DEP_2)
	v_add_co_u32 v34, vcc_lo, s29, v34
	v_add_co_ci_u32_e32 v35, vcc_lo, s30, v35, vcc_lo
	s_waitcnt vmcnt(0)
	global_store_b64 v[34:35], v[10:11], off
	s_or_b32 exec_lo, exec_lo, s0
	s_and_saveexec_b32 s0, s11
	s_cbranch_execz .LBB149_47
.LBB149_63:                             ;   in Loop: Header=BB149_3 Depth=1
	v_lshlrev_b64 v[34:35], 3, v[56:57]
	s_delay_alu instid0(VALU_DEP_1) | instskip(NEXT) | instid1(VALU_DEP_2)
	v_add_co_u32 v34, vcc_lo, s29, v34
	v_add_co_ci_u32_e32 v35, vcc_lo, s30, v35, vcc_lo
	s_waitcnt vmcnt(0)
	global_store_b64 v[34:35], v[8:9], off
	s_or_b32 exec_lo, exec_lo, s0
	s_and_saveexec_b32 s0, s12
	s_cbranch_execz .LBB149_48
.LBB149_64:                             ;   in Loop: Header=BB149_3 Depth=1
	v_lshlrev_b64 v[34:35], 3, v[58:59]
	s_delay_alu instid0(VALU_DEP_1) | instskip(NEXT) | instid1(VALU_DEP_2)
	v_add_co_u32 v34, vcc_lo, s29, v34
	v_add_co_ci_u32_e32 v35, vcc_lo, s30, v35, vcc_lo
	s_waitcnt vmcnt(0)
	global_store_b64 v[34:35], v[6:7], off
	s_or_b32 exec_lo, exec_lo, s0
	s_and_saveexec_b32 s0, s13
	s_cbranch_execz .LBB149_49
.LBB149_65:                             ;   in Loop: Header=BB149_3 Depth=1
	v_lshlrev_b64 v[34:35], 3, v[60:61]
	s_delay_alu instid0(VALU_DEP_1) | instskip(NEXT) | instid1(VALU_DEP_2)
	v_add_co_u32 v34, vcc_lo, s29, v34
	v_add_co_ci_u32_e32 v35, vcc_lo, s30, v35, vcc_lo
	s_waitcnt vmcnt(0)
	global_store_b64 v[34:35], v[4:5], off
	s_or_b32 exec_lo, exec_lo, s0
	s_and_saveexec_b32 s0, s14
	s_cbranch_execz .LBB149_2
.LBB149_66:                             ;   in Loop: Header=BB149_3 Depth=1
	v_lshlrev_b64 v[34:35], 3, v[62:63]
	s_delay_alu instid0(VALU_DEP_1) | instskip(NEXT) | instid1(VALU_DEP_2)
	v_add_co_u32 v34, vcc_lo, s29, v34
	v_add_co_ci_u32_e32 v35, vcc_lo, s30, v35, vcc_lo
	s_waitcnt vmcnt(0)
	global_store_b64 v[34:35], v[2:3], off
	s_branch .LBB149_2
.LBB149_67:
	s_nop 0
	s_sendmsg sendmsg(MSG_DEALLOC_VGPRS)
	s_endpgm
	.section	.rodata,"a",@progbits
	.p2align	6, 0x0
	.amdhsa_kernel _ZN9rocsolver6v33100L11stedc_copyCI19rocblas_complex_numIfEPS3_S4_EEviT0_iilT1_iil
		.amdhsa_group_segment_fixed_size 0
		.amdhsa_private_segment_fixed_size 0
		.amdhsa_kernarg_size 312
		.amdhsa_user_sgpr_count 14
		.amdhsa_user_sgpr_dispatch_ptr 0
		.amdhsa_user_sgpr_queue_ptr 0
		.amdhsa_user_sgpr_kernarg_segment_ptr 1
		.amdhsa_user_sgpr_dispatch_id 0
		.amdhsa_user_sgpr_private_segment_size 0
		.amdhsa_wavefront_size32 1
		.amdhsa_uses_dynamic_stack 0
		.amdhsa_enable_private_segment 0
		.amdhsa_system_sgpr_workgroup_id_x 1
		.amdhsa_system_sgpr_workgroup_id_y 1
		.amdhsa_system_sgpr_workgroup_id_z 0
		.amdhsa_system_sgpr_workgroup_info 0
		.amdhsa_system_vgpr_workitem_id 0
		.amdhsa_next_free_vgpr 66
		.amdhsa_next_free_sgpr 40
		.amdhsa_reserve_vcc 1
		.amdhsa_float_round_mode_32 0
		.amdhsa_float_round_mode_16_64 0
		.amdhsa_float_denorm_mode_32 3
		.amdhsa_float_denorm_mode_16_64 3
		.amdhsa_dx10_clamp 1
		.amdhsa_ieee_mode 1
		.amdhsa_fp16_overflow 0
		.amdhsa_workgroup_processor_mode 1
		.amdhsa_memory_ordered 1
		.amdhsa_forward_progress 0
		.amdhsa_shared_vgpr_count 0
		.amdhsa_exception_fp_ieee_invalid_op 0
		.amdhsa_exception_fp_denorm_src 0
		.amdhsa_exception_fp_ieee_div_zero 0
		.amdhsa_exception_fp_ieee_overflow 0
		.amdhsa_exception_fp_ieee_underflow 0
		.amdhsa_exception_fp_ieee_inexact 0
		.amdhsa_exception_int_div_zero 0
	.end_amdhsa_kernel
	.section	.text._ZN9rocsolver6v33100L11stedc_copyCI19rocblas_complex_numIfEPS3_S4_EEviT0_iilT1_iil,"axG",@progbits,_ZN9rocsolver6v33100L11stedc_copyCI19rocblas_complex_numIfEPS3_S4_EEviT0_iilT1_iil,comdat
.Lfunc_end149:
	.size	_ZN9rocsolver6v33100L11stedc_copyCI19rocblas_complex_numIfEPS3_S4_EEviT0_iilT1_iil, .Lfunc_end149-_ZN9rocsolver6v33100L11stedc_copyCI19rocblas_complex_numIfEPS3_S4_EEviT0_iilT1_iil
                                        ; -- End function
	.section	.AMDGPU.csdata,"",@progbits
; Kernel info:
; codeLenInByte = 2748
; NumSgprs: 42
; NumVgprs: 66
; ScratchSize: 0
; MemoryBound: 0
; FloatMode: 240
; IeeeMode: 1
; LDSByteSize: 0 bytes/workgroup (compile time only)
; SGPRBlocks: 5
; VGPRBlocks: 8
; NumSGPRsForWavesPerEU: 42
; NumVGPRsForWavesPerEU: 66
; Occupancy: 16
; WaveLimiterHint : 0
; COMPUTE_PGM_RSRC2:SCRATCH_EN: 0
; COMPUTE_PGM_RSRC2:USER_SGPR: 14
; COMPUTE_PGM_RSRC2:TRAP_HANDLER: 0
; COMPUTE_PGM_RSRC2:TGID_X_EN: 1
; COMPUTE_PGM_RSRC2:TGID_Y_EN: 1
; COMPUTE_PGM_RSRC2:TGID_Z_EN: 0
; COMPUTE_PGM_RSRC2:TIDIG_COMP_CNT: 0
	.section	.text._ZN9rocsolver6v33100L10stedc_sortI19rocblas_complex_numIfEfPS3_S4_EEviPT0_lS6_lT1_iilT2_iil,"axG",@progbits,_ZN9rocsolver6v33100L10stedc_sortI19rocblas_complex_numIfEfPS3_S4_EEviPT0_lS6_lT1_iilT2_iil,comdat
	.globl	_ZN9rocsolver6v33100L10stedc_sortI19rocblas_complex_numIfEfPS3_S4_EEviPT0_lS6_lT1_iilT2_iil ; -- Begin function _ZN9rocsolver6v33100L10stedc_sortI19rocblas_complex_numIfEfPS3_S4_EEviPT0_lS6_lT1_iilT2_iil
	.p2align	8
	.type	_ZN9rocsolver6v33100L10stedc_sortI19rocblas_complex_numIfEfPS3_S4_EEviPT0_lS6_lT1_iilT2_iil,@function
_ZN9rocsolver6v33100L10stedc_sortI19rocblas_complex_numIfEfPS3_S4_EEviPT0_lS6_lT1_iilT2_iil: ; @_ZN9rocsolver6v33100L10stedc_sortI19rocblas_complex_numIfEfPS3_S4_EEviPT0_lS6_lT1_iilT2_iil
; %bb.0:
	s_clause 0x1
	s_load_b256 s[20:27], s[0:1], 0x8
	s_load_b32 s3, s[0:1], 0x64
	s_ashr_i32 s44, s15, 31
	s_mov_b32 s2, s15
	s_load_b32 s31, s[0:1], 0x0
	s_waitcnt lgkmcnt(0)
	s_mul_i32 s4, s15, s23
	s_mul_hi_u32 s5, s15, s22
	s_mul_i32 s6, s44, s22
	s_add_i32 s5, s5, s4
	s_mul_i32 s4, s15, s22
	s_load_b64 s[22:23], s[0:1], 0x28
	s_add_i32 s5, s5, s6
	s_delay_alu instid0(SALU_CYCLE_1) | instskip(NEXT) | instid1(SALU_CYCLE_1)
	s_lshl_b64 s[4:5], s[4:5], 2
	s_add_u32 s48, s20, s4
	s_addc_u32 s49, s21, s5
	s_ashr_i32 s15, s14, 31
	s_delay_alu instid0(SALU_CYCLE_1) | instskip(NEXT) | instid1(SALU_CYCLE_1)
	s_lshl_b64 s[28:29], s[14:15], 2
	s_add_u32 s4, s48, s28
	s_addc_u32 s5, s49, s29
	s_and_b32 s21, s3, 0xffff
	s_add_i32 s7, s31, -1
	s_lshl_b32 s30, s21, 4
	s_load_b32 s46, s[4:5], 0x0
	v_cvt_f32_u32_e32 v1, s30
	s_sub_i32 s8, 0, s30
	s_ashr_i32 s4, s7, 31
	s_abs_i32 s7, s7
	s_mov_b32 s3, -1
	v_rcp_iflag_f32_e32 v1, v1
	s_mul_i32 s33, s21, 3
	s_mul_i32 s34, s21, 5
	;; [unrolled: 1-line block ×9, first 2 shown]
	s_waitcnt_depctr 0xfff
	v_mul_f32_e32 v1, 0x4f7ffffe, v1
	s_mul_i32 s42, s21, 14
	s_mul_i32 s43, s21, 15
	s_delay_alu instid0(VALU_DEP_1) | instskip(NEXT) | instid1(VALU_DEP_1)
	v_cvt_u32_f32_e32 v1, v1
	v_readfirstlane_b32 s6, v1
	v_mov_b32_e32 v1, 0
	s_delay_alu instid0(VALU_DEP_2) | instskip(NEXT) | instid1(SALU_CYCLE_1)
	s_mul_i32 s8, s8, s6
	s_mul_hi_u32 s5, s6, s8
	s_delay_alu instid0(SALU_CYCLE_1) | instskip(NEXT) | instid1(SALU_CYCLE_1)
	s_add_i32 s6, s6, s5
	s_mul_hi_u32 s5, s7, s6
	s_delay_alu instid0(SALU_CYCLE_1) | instskip(NEXT) | instid1(SALU_CYCLE_1)
	s_mul_i32 s6, s5, s30
	s_sub_i32 s6, s7, s6
	s_add_i32 s7, s5, 1
	s_sub_i32 s8, s6, s30
	s_cmp_ge_u32 s6, s30
	s_cselect_b32 s5, s7, s5
	s_cselect_b32 s6, s8, s6
	s_add_i32 s7, s5, 1
	s_cmp_ge_u32 s6, s30
	s_cselect_b32 s5, s7, s5
	s_delay_alu instid0(SALU_CYCLE_1) | instskip(NEXT) | instid1(SALU_CYCLE_1)
	s_xor_b32 s5, s5, s4
	s_sub_i32 s45, s5, s4
	s_delay_alu instid0(SALU_CYCLE_1)
	s_cmp_gt_i32 s45, -1
	s_cselect_b32 s47, -1, 0
	s_cmp_lt_i32 s45, 0
	s_cbranch_scc1 .LBB150_67
; %bb.1:
	v_dual_mov_b32 v48, 0 :: v_dual_mov_b32 v1, v0
	v_dual_mov_b32 v49, 0 :: v_dual_mov_b32 v50, 0
	s_add_i32 s50, s45, 1
	s_lshl_b32 s51, s21, 1
	s_lshl_b32 s52, s21, 2
	;; [unrolled: 1-line block ×3, first 2 shown]
                                        ; implicit-def: $vgpr17
                                        ; implicit-def: $vgpr15
                                        ; implicit-def: $vgpr13
                                        ; implicit-def: $vgpr11
                                        ; implicit-def: $vgpr9
                                        ; implicit-def: $vgpr7
                                        ; implicit-def: $vgpr5
                                        ; implicit-def: $vgpr3
	s_branch .LBB150_3
.LBB150_2:                              ;   in Loop: Header=BB150_3 Depth=1
	s_or_b32 exec_lo, exec_lo, s5
	v_add_nc_u32_e32 v1, s30, v1
	s_add_i32 s50, s50, -1
	s_delay_alu instid0(SALU_CYCLE_1)
	s_cmp_eq_u32 s50, 0
	s_cbranch_scc1 .LBB150_68
.LBB150_3:                              ; =>This Inner Loop Header: Depth=1
	s_delay_alu instid0(VALU_DEP_1) | instskip(NEXT) | instid1(VALU_DEP_1)
	v_cmp_gt_i32_e64 s18, s31, v1
	s_and_saveexec_b32 s3, s18
	s_cbranch_execz .LBB150_5
; %bb.4:                                ;   in Loop: Header=BB150_3 Depth=1
	s_waitcnt vmcnt(0)
	v_ashrrev_i32_e32 v2, 31, v1
	s_delay_alu instid0(VALU_DEP_1) | instskip(NEXT) | instid1(VALU_DEP_1)
	v_lshlrev_b64 v[18:19], 2, v[1:2]
	v_add_co_u32 v18, vcc_lo, s48, v18
	s_delay_alu instid0(VALU_DEP_2)
	v_add_co_ci_u32_e32 v19, vcc_lo, s49, v19, vcc_lo
	global_load_b32 v2, v[18:19], off
.LBB150_5:                              ;   in Loop: Header=BB150_3 Depth=1
	s_or_b32 exec_lo, exec_lo, s3
	v_add_nc_u32_e32 v46, s21, v1
	s_delay_alu instid0(VALU_DEP_1) | instskip(NEXT) | instid1(VALU_DEP_1)
	v_cmp_gt_i32_e64 s17, s31, v46
	s_and_saveexec_b32 s3, s17
	s_cbranch_execz .LBB150_7
; %bb.6:                                ;   in Loop: Header=BB150_3 Depth=1
	v_ashrrev_i32_e32 v47, 31, v46
	s_delay_alu instid0(VALU_DEP_1) | instskip(NEXT) | instid1(VALU_DEP_1)
	v_lshlrev_b64 v[18:19], 2, v[46:47]
	v_add_co_u32 v18, vcc_lo, s48, v18
	s_delay_alu instid0(VALU_DEP_2)
	v_add_co_ci_u32_e32 v19, vcc_lo, s49, v19, vcc_lo
	global_load_b32 v3, v[18:19], off
.LBB150_7:                              ;   in Loop: Header=BB150_3 Depth=1
	s_or_b32 exec_lo, exec_lo, s3
	v_add_nc_u32_e32 v44, s51, v1
	s_delay_alu instid0(VALU_DEP_1) | instskip(NEXT) | instid1(VALU_DEP_1)
	v_cmp_gt_i32_e64 s16, s31, v44
	s_and_saveexec_b32 s3, s16
	s_cbranch_execz .LBB150_9
; %bb.8:                                ;   in Loop: Header=BB150_3 Depth=1
	v_ashrrev_i32_e32 v45, 31, v44
	s_delay_alu instid0(VALU_DEP_1) | instskip(NEXT) | instid1(VALU_DEP_1)
	v_lshlrev_b64 v[18:19], 2, v[44:45]
	v_add_co_u32 v18, vcc_lo, s48, v18
	s_delay_alu instid0(VALU_DEP_2)
	v_add_co_ci_u32_e32 v19, vcc_lo, s49, v19, vcc_lo
	global_load_b32 v4, v[18:19], off
.LBB150_9:                              ;   in Loop: Header=BB150_3 Depth=1
	s_or_b32 exec_lo, exec_lo, s3
	v_add_nc_u32_e32 v42, s33, v1
	s_delay_alu instid0(VALU_DEP_1) | instskip(NEXT) | instid1(VALU_DEP_1)
	v_cmp_gt_i32_e64 s15, s31, v42
	s_and_saveexec_b32 s3, s15
	s_cbranch_execz .LBB150_11
; %bb.10:                               ;   in Loop: Header=BB150_3 Depth=1
	v_ashrrev_i32_e32 v43, 31, v42
	s_delay_alu instid0(VALU_DEP_1) | instskip(NEXT) | instid1(VALU_DEP_1)
	v_lshlrev_b64 v[18:19], 2, v[42:43]
	v_add_co_u32 v18, vcc_lo, s48, v18
	s_delay_alu instid0(VALU_DEP_2)
	v_add_co_ci_u32_e32 v19, vcc_lo, s49, v19, vcc_lo
	global_load_b32 v5, v[18:19], off
.LBB150_11:                             ;   in Loop: Header=BB150_3 Depth=1
	s_or_b32 exec_lo, exec_lo, s3
	v_add_nc_u32_e32 v40, s52, v1
	s_delay_alu instid0(VALU_DEP_1) | instskip(NEXT) | instid1(VALU_DEP_1)
	v_cmp_gt_i32_e64 s13, s31, v40
	s_and_saveexec_b32 s3, s13
	s_cbranch_execz .LBB150_13
; %bb.12:                               ;   in Loop: Header=BB150_3 Depth=1
	v_ashrrev_i32_e32 v41, 31, v40
	s_delay_alu instid0(VALU_DEP_1) | instskip(NEXT) | instid1(VALU_DEP_1)
	v_lshlrev_b64 v[18:19], 2, v[40:41]
	v_add_co_u32 v18, vcc_lo, s48, v18
	s_delay_alu instid0(VALU_DEP_2)
	v_add_co_ci_u32_e32 v19, vcc_lo, s49, v19, vcc_lo
	global_load_b32 v6, v[18:19], off
.LBB150_13:                             ;   in Loop: Header=BB150_3 Depth=1
	;; [unrolled: 15-line block ×12, first 2 shown]
	s_or_b32 exec_lo, exec_lo, s19
	v_add_nc_u32_e32 v18, s43, v1
	s_delay_alu instid0(VALU_DEP_1)
	v_cmp_gt_i32_e32 vcc_lo, s31, v18
	s_and_saveexec_b32 s20, vcc_lo
	s_cbranch_execnz .LBB150_50
; %bb.34:                               ;   in Loop: Header=BB150_3 Depth=1
	s_or_b32 exec_lo, exec_lo, s20
	s_and_saveexec_b32 s54, s18
	s_cbranch_execnz .LBB150_51
.LBB150_35:                             ;   in Loop: Header=BB150_3 Depth=1
	s_or_b32 exec_lo, exec_lo, s54
	s_and_saveexec_b32 s20, s17
	s_cbranch_execnz .LBB150_52
.LBB150_36:                             ;   in Loop: Header=BB150_3 Depth=1
	s_or_b32 exec_lo, exec_lo, s20
	s_and_saveexec_b32 s19, s16
	s_cbranch_execnz .LBB150_53
.LBB150_37:                             ;   in Loop: Header=BB150_3 Depth=1
	s_or_b32 exec_lo, exec_lo, s19
	s_and_saveexec_b32 s18, s15
	s_cbranch_execnz .LBB150_54
.LBB150_38:                             ;   in Loop: Header=BB150_3 Depth=1
	s_or_b32 exec_lo, exec_lo, s18
	s_and_saveexec_b32 s17, s13
	s_cbranch_execnz .LBB150_55
.LBB150_39:                             ;   in Loop: Header=BB150_3 Depth=1
	s_or_b32 exec_lo, exec_lo, s17
	s_and_saveexec_b32 s16, s12
	s_cbranch_execnz .LBB150_56
.LBB150_40:                             ;   in Loop: Header=BB150_3 Depth=1
	s_or_b32 exec_lo, exec_lo, s16
	s_and_saveexec_b32 s15, s11
	s_cbranch_execnz .LBB150_57
.LBB150_41:                             ;   in Loop: Header=BB150_3 Depth=1
	s_or_b32 exec_lo, exec_lo, s15
	s_and_saveexec_b32 s13, s10
	s_cbranch_execnz .LBB150_58
.LBB150_42:                             ;   in Loop: Header=BB150_3 Depth=1
	s_or_b32 exec_lo, exec_lo, s13
	s_and_saveexec_b32 s12, s9
	s_cbranch_execnz .LBB150_59
.LBB150_43:                             ;   in Loop: Header=BB150_3 Depth=1
	s_or_b32 exec_lo, exec_lo, s12
	s_and_saveexec_b32 s11, s8
	s_cbranch_execnz .LBB150_60
.LBB150_44:                             ;   in Loop: Header=BB150_3 Depth=1
	s_or_b32 exec_lo, exec_lo, s11
	s_and_saveexec_b32 s10, s7
	s_cbranch_execnz .LBB150_61
.LBB150_45:                             ;   in Loop: Header=BB150_3 Depth=1
	s_or_b32 exec_lo, exec_lo, s10
	s_and_saveexec_b32 s9, s6
	s_cbranch_execnz .LBB150_62
.LBB150_46:                             ;   in Loop: Header=BB150_3 Depth=1
	s_or_b32 exec_lo, exec_lo, s9
	s_and_saveexec_b32 s8, s5
	s_cbranch_execnz .LBB150_63
.LBB150_47:                             ;   in Loop: Header=BB150_3 Depth=1
	s_or_b32 exec_lo, exec_lo, s8
	s_and_saveexec_b32 s7, s4
	s_cbranch_execnz .LBB150_64
.LBB150_48:                             ;   in Loop: Header=BB150_3 Depth=1
	s_or_b32 exec_lo, exec_lo, s7
	s_and_saveexec_b32 s6, s3
	s_cbranch_execnz .LBB150_65
.LBB150_49:                             ;   in Loop: Header=BB150_3 Depth=1
	s_or_b32 exec_lo, exec_lo, s6
	s_and_saveexec_b32 s5, vcc_lo
	s_cbranch_execz .LBB150_2
	s_branch .LBB150_66
.LBB150_50:                             ;   in Loop: Header=BB150_3 Depth=1
	v_ashrrev_i32_e32 v19, 31, v18
	s_delay_alu instid0(VALU_DEP_1) | instskip(NEXT) | instid1(VALU_DEP_1)
	v_lshlrev_b64 v[51:52], 2, v[18:19]
	v_add_co_u32 v51, s19, s48, v51
	s_delay_alu instid0(VALU_DEP_1)
	v_add_co_ci_u32_e64 v52, s19, s49, v52, s19
	global_load_b32 v17, v[51:52], off
	s_or_b32 exec_lo, exec_lo, s20
	s_and_saveexec_b32 s54, s18
	s_cbranch_execz .LBB150_35
.LBB150_51:                             ;   in Loop: Header=BB150_3 Depth=1
	s_waitcnt vmcnt(0)
	v_cmp_u_f32_e64 s20, v2, v2
	s_waitcnt lgkmcnt(0)
	v_cmp_eq_f32_e64 s18, s46, v2
	v_cmp_gt_i32_e64 s19, s14, v1
	s_delay_alu instid0(VALU_DEP_3) | instskip(SKIP_1) | instid1(VALU_DEP_3)
	v_add_co_ci_u32_e64 v48, s20, 0, v48, s20
	v_cmp_gt_f32_e64 s20, s46, v2
	s_and_b32 s18, s19, s18
	s_delay_alu instid0(SALU_CYCLE_1) | instskip(NEXT) | instid1(VALU_DEP_2)
	v_add_co_ci_u32_e64 v50, s18, 0, v50, s18
	v_add_co_ci_u32_e64 v49, s20, 0, v49, s20
	s_or_b32 exec_lo, exec_lo, s54
	s_and_saveexec_b32 s20, s17
	s_cbranch_execz .LBB150_36
.LBB150_52:                             ;   in Loop: Header=BB150_3 Depth=1
	s_waitcnt vmcnt(0)
	v_cmp_u_f32_e64 s19, v3, v3
	s_waitcnt lgkmcnt(0)
	v_cmp_eq_f32_e64 s17, s46, v3
	v_cmp_gt_i32_e64 s18, s14, v46
	s_delay_alu instid0(VALU_DEP_3) | instskip(SKIP_1) | instid1(VALU_DEP_3)
	v_add_co_ci_u32_e64 v48, s19, 0, v48, s19
	v_cmp_gt_f32_e64 s19, s46, v3
	s_and_b32 s17, s18, s17
	s_delay_alu instid0(SALU_CYCLE_1) | instskip(NEXT) | instid1(VALU_DEP_2)
	v_add_co_ci_u32_e64 v50, s17, 0, v50, s17
	v_add_co_ci_u32_e64 v49, s19, 0, v49, s19
	s_or_b32 exec_lo, exec_lo, s20
	s_and_saveexec_b32 s19, s16
	s_cbranch_execz .LBB150_37
.LBB150_53:                             ;   in Loop: Header=BB150_3 Depth=1
	s_waitcnt vmcnt(0)
	v_cmp_u_f32_e64 s18, v4, v4
	s_waitcnt lgkmcnt(0)
	v_cmp_eq_f32_e64 s16, s46, v4
	v_cmp_gt_i32_e64 s17, s14, v44
	s_delay_alu instid0(VALU_DEP_3) | instskip(SKIP_1) | instid1(VALU_DEP_3)
	v_add_co_ci_u32_e64 v48, s18, 0, v48, s18
	v_cmp_gt_f32_e64 s18, s46, v4
	s_and_b32 s16, s17, s16
	s_delay_alu instid0(SALU_CYCLE_1) | instskip(NEXT) | instid1(VALU_DEP_2)
	v_add_co_ci_u32_e64 v50, s16, 0, v50, s16
	v_add_co_ci_u32_e64 v49, s18, 0, v49, s18
	s_or_b32 exec_lo, exec_lo, s19
	s_and_saveexec_b32 s18, s15
	s_cbranch_execz .LBB150_38
.LBB150_54:                             ;   in Loop: Header=BB150_3 Depth=1
	s_waitcnt vmcnt(0)
	v_cmp_u_f32_e64 s17, v5, v5
	s_waitcnt lgkmcnt(0)
	v_cmp_eq_f32_e64 s15, s46, v5
	v_cmp_gt_i32_e64 s16, s14, v42
	s_delay_alu instid0(VALU_DEP_3) | instskip(SKIP_1) | instid1(VALU_DEP_3)
	v_add_co_ci_u32_e64 v48, s17, 0, v48, s17
	v_cmp_gt_f32_e64 s17, s46, v5
	s_and_b32 s15, s16, s15
	s_delay_alu instid0(SALU_CYCLE_1) | instskip(NEXT) | instid1(VALU_DEP_2)
	v_add_co_ci_u32_e64 v50, s15, 0, v50, s15
	v_add_co_ci_u32_e64 v49, s17, 0, v49, s17
	s_or_b32 exec_lo, exec_lo, s18
	s_and_saveexec_b32 s17, s13
	s_cbranch_execz .LBB150_39
.LBB150_55:                             ;   in Loop: Header=BB150_3 Depth=1
	s_waitcnt vmcnt(0)
	v_cmp_u_f32_e64 s16, v6, v6
	s_waitcnt lgkmcnt(0)
	v_cmp_eq_f32_e64 s13, s46, v6
	v_cmp_gt_i32_e64 s15, s14, v40
	s_delay_alu instid0(VALU_DEP_3) | instskip(SKIP_1) | instid1(VALU_DEP_3)
	v_add_co_ci_u32_e64 v48, s16, 0, v48, s16
	v_cmp_gt_f32_e64 s16, s46, v6
	s_and_b32 s13, s15, s13
	s_delay_alu instid0(SALU_CYCLE_1) | instskip(NEXT) | instid1(VALU_DEP_2)
	v_add_co_ci_u32_e64 v50, s13, 0, v50, s13
	v_add_co_ci_u32_e64 v49, s16, 0, v49, s16
	s_or_b32 exec_lo, exec_lo, s17
	s_and_saveexec_b32 s16, s12
	s_cbranch_execz .LBB150_40
.LBB150_56:                             ;   in Loop: Header=BB150_3 Depth=1
	s_waitcnt vmcnt(0)
	v_cmp_u_f32_e64 s15, v7, v7
	s_waitcnt lgkmcnt(0)
	v_cmp_eq_f32_e64 s12, s46, v7
	v_cmp_gt_i32_e64 s13, s14, v38
	s_delay_alu instid0(VALU_DEP_3) | instskip(SKIP_1) | instid1(VALU_DEP_3)
	v_add_co_ci_u32_e64 v48, s15, 0, v48, s15
	v_cmp_gt_f32_e64 s15, s46, v7
	s_and_b32 s12, s13, s12
	s_delay_alu instid0(SALU_CYCLE_1) | instskip(NEXT) | instid1(VALU_DEP_2)
	v_add_co_ci_u32_e64 v50, s12, 0, v50, s12
	v_add_co_ci_u32_e64 v49, s15, 0, v49, s15
	s_or_b32 exec_lo, exec_lo, s16
	s_and_saveexec_b32 s15, s11
	s_cbranch_execz .LBB150_41
.LBB150_57:                             ;   in Loop: Header=BB150_3 Depth=1
	s_waitcnt vmcnt(0)
	v_cmp_u_f32_e64 s13, v8, v8
	s_waitcnt lgkmcnt(0)
	v_cmp_eq_f32_e64 s11, s46, v8
	v_cmp_gt_i32_e64 s12, s14, v36
	s_delay_alu instid0(VALU_DEP_3) | instskip(SKIP_1) | instid1(VALU_DEP_3)
	v_add_co_ci_u32_e64 v48, s13, 0, v48, s13
	v_cmp_gt_f32_e64 s13, s46, v8
	s_and_b32 s11, s12, s11
	s_delay_alu instid0(SALU_CYCLE_1) | instskip(NEXT) | instid1(VALU_DEP_2)
	v_add_co_ci_u32_e64 v50, s11, 0, v50, s11
	v_add_co_ci_u32_e64 v49, s13, 0, v49, s13
	s_or_b32 exec_lo, exec_lo, s15
	s_and_saveexec_b32 s13, s10
	s_cbranch_execz .LBB150_42
.LBB150_58:                             ;   in Loop: Header=BB150_3 Depth=1
	s_waitcnt vmcnt(0)
	v_cmp_u_f32_e64 s12, v9, v9
	s_waitcnt lgkmcnt(0)
	v_cmp_eq_f32_e64 s10, s46, v9
	v_cmp_gt_i32_e64 s11, s14, v34
	s_delay_alu instid0(VALU_DEP_3) | instskip(SKIP_1) | instid1(VALU_DEP_3)
	v_add_co_ci_u32_e64 v48, s12, 0, v48, s12
	v_cmp_gt_f32_e64 s12, s46, v9
	s_and_b32 s10, s11, s10
	s_delay_alu instid0(SALU_CYCLE_1) | instskip(NEXT) | instid1(VALU_DEP_2)
	v_add_co_ci_u32_e64 v50, s10, 0, v50, s10
	v_add_co_ci_u32_e64 v49, s12, 0, v49, s12
	s_or_b32 exec_lo, exec_lo, s13
	s_and_saveexec_b32 s12, s9
	s_cbranch_execz .LBB150_43
.LBB150_59:                             ;   in Loop: Header=BB150_3 Depth=1
	s_waitcnt vmcnt(0)
	v_cmp_u_f32_e64 s11, v10, v10
	s_waitcnt lgkmcnt(0)
	v_cmp_eq_f32_e64 s9, s46, v10
	v_cmp_gt_i32_e64 s10, s14, v32
	s_delay_alu instid0(VALU_DEP_3) | instskip(SKIP_1) | instid1(VALU_DEP_3)
	v_add_co_ci_u32_e64 v48, s11, 0, v48, s11
	v_cmp_gt_f32_e64 s11, s46, v10
	s_and_b32 s9, s10, s9
	s_delay_alu instid0(SALU_CYCLE_1) | instskip(NEXT) | instid1(VALU_DEP_2)
	v_add_co_ci_u32_e64 v50, s9, 0, v50, s9
	v_add_co_ci_u32_e64 v49, s11, 0, v49, s11
	s_or_b32 exec_lo, exec_lo, s12
	s_and_saveexec_b32 s11, s8
	s_cbranch_execz .LBB150_44
.LBB150_60:                             ;   in Loop: Header=BB150_3 Depth=1
	s_waitcnt vmcnt(0)
	v_cmp_u_f32_e64 s10, v11, v11
	s_waitcnt lgkmcnt(0)
	v_cmp_eq_f32_e64 s8, s46, v11
	v_cmp_gt_i32_e64 s9, s14, v30
	s_delay_alu instid0(VALU_DEP_3) | instskip(SKIP_1) | instid1(VALU_DEP_3)
	v_add_co_ci_u32_e64 v48, s10, 0, v48, s10
	v_cmp_gt_f32_e64 s10, s46, v11
	s_and_b32 s8, s9, s8
	s_delay_alu instid0(SALU_CYCLE_1) | instskip(NEXT) | instid1(VALU_DEP_2)
	v_add_co_ci_u32_e64 v50, s8, 0, v50, s8
	v_add_co_ci_u32_e64 v49, s10, 0, v49, s10
	s_or_b32 exec_lo, exec_lo, s11
	s_and_saveexec_b32 s10, s7
	s_cbranch_execz .LBB150_45
.LBB150_61:                             ;   in Loop: Header=BB150_3 Depth=1
	s_waitcnt vmcnt(0)
	v_cmp_u_f32_e64 s9, v12, v12
	s_waitcnt lgkmcnt(0)
	v_cmp_eq_f32_e64 s7, s46, v12
	v_cmp_gt_i32_e64 s8, s14, v28
	s_delay_alu instid0(VALU_DEP_3) | instskip(SKIP_1) | instid1(VALU_DEP_3)
	v_add_co_ci_u32_e64 v48, s9, 0, v48, s9
	v_cmp_gt_f32_e64 s9, s46, v12
	s_and_b32 s7, s8, s7
	s_delay_alu instid0(SALU_CYCLE_1) | instskip(NEXT) | instid1(VALU_DEP_2)
	v_add_co_ci_u32_e64 v50, s7, 0, v50, s7
	v_add_co_ci_u32_e64 v49, s9, 0, v49, s9
	s_or_b32 exec_lo, exec_lo, s10
	s_and_saveexec_b32 s9, s6
	s_cbranch_execz .LBB150_46
.LBB150_62:                             ;   in Loop: Header=BB150_3 Depth=1
	s_waitcnt vmcnt(0)
	v_cmp_u_f32_e64 s8, v13, v13
	s_waitcnt lgkmcnt(0)
	v_cmp_eq_f32_e64 s6, s46, v13
	v_cmp_gt_i32_e64 s7, s14, v26
	s_delay_alu instid0(VALU_DEP_3) | instskip(SKIP_1) | instid1(VALU_DEP_3)
	v_add_co_ci_u32_e64 v48, s8, 0, v48, s8
	v_cmp_gt_f32_e64 s8, s46, v13
	s_and_b32 s6, s7, s6
	s_delay_alu instid0(SALU_CYCLE_1) | instskip(NEXT) | instid1(VALU_DEP_2)
	v_add_co_ci_u32_e64 v50, s6, 0, v50, s6
	v_add_co_ci_u32_e64 v49, s8, 0, v49, s8
	s_or_b32 exec_lo, exec_lo, s9
	s_and_saveexec_b32 s8, s5
	s_cbranch_execz .LBB150_47
.LBB150_63:                             ;   in Loop: Header=BB150_3 Depth=1
	s_waitcnt vmcnt(0)
	v_cmp_u_f32_e64 s7, v14, v14
	s_waitcnt lgkmcnt(0)
	v_cmp_eq_f32_e64 s5, s46, v14
	v_cmp_gt_i32_e64 s6, s14, v24
	s_delay_alu instid0(VALU_DEP_3) | instskip(SKIP_1) | instid1(VALU_DEP_3)
	v_add_co_ci_u32_e64 v48, s7, 0, v48, s7
	v_cmp_gt_f32_e64 s7, s46, v14
	s_and_b32 s5, s6, s5
	s_delay_alu instid0(SALU_CYCLE_1) | instskip(NEXT) | instid1(VALU_DEP_2)
	v_add_co_ci_u32_e64 v50, s5, 0, v50, s5
	v_add_co_ci_u32_e64 v49, s7, 0, v49, s7
	s_or_b32 exec_lo, exec_lo, s8
	s_and_saveexec_b32 s7, s4
	s_cbranch_execz .LBB150_48
.LBB150_64:                             ;   in Loop: Header=BB150_3 Depth=1
	s_waitcnt vmcnt(0)
	v_cmp_u_f32_e64 s6, v15, v15
	s_waitcnt lgkmcnt(0)
	v_cmp_eq_f32_e64 s4, s46, v15
	v_cmp_gt_i32_e64 s5, s14, v22
	s_delay_alu instid0(VALU_DEP_3) | instskip(SKIP_1) | instid1(VALU_DEP_3)
	v_add_co_ci_u32_e64 v48, s6, 0, v48, s6
	v_cmp_gt_f32_e64 s6, s46, v15
	s_and_b32 s4, s5, s4
	s_delay_alu instid0(SALU_CYCLE_1) | instskip(NEXT) | instid1(VALU_DEP_2)
	v_add_co_ci_u32_e64 v50, s4, 0, v50, s4
	v_add_co_ci_u32_e64 v49, s6, 0, v49, s6
	s_or_b32 exec_lo, exec_lo, s7
	s_and_saveexec_b32 s6, s3
	s_cbranch_execz .LBB150_49
.LBB150_65:                             ;   in Loop: Header=BB150_3 Depth=1
	s_waitcnt vmcnt(0)
	v_cmp_u_f32_e64 s5, v16, v16
	s_waitcnt lgkmcnt(0)
	v_cmp_eq_f32_e64 s3, s46, v16
	v_cmp_gt_i32_e64 s4, s14, v20
	s_delay_alu instid0(VALU_DEP_3) | instskip(SKIP_1) | instid1(VALU_DEP_3)
	v_add_co_ci_u32_e64 v48, s5, 0, v48, s5
	v_cmp_gt_f32_e64 s5, s46, v16
	s_and_b32 s3, s4, s3
	s_delay_alu instid0(SALU_CYCLE_1) | instskip(NEXT) | instid1(VALU_DEP_2)
	v_add_co_ci_u32_e64 v50, s3, 0, v50, s3
	v_add_co_ci_u32_e64 v49, s5, 0, v49, s5
	s_or_b32 exec_lo, exec_lo, s6
	s_and_saveexec_b32 s5, vcc_lo
	s_cbranch_execz .LBB150_2
.LBB150_66:                             ;   in Loop: Header=BB150_3 Depth=1
	s_waitcnt vmcnt(0)
	v_cmp_u_f32_e64 s4, v17, v17
	s_waitcnt lgkmcnt(0)
	v_cmp_eq_f32_e32 vcc_lo, s46, v17
	v_cmp_gt_i32_e64 s3, s14, v18
	s_delay_alu instid0(VALU_DEP_3) | instskip(SKIP_1) | instid1(VALU_DEP_3)
	v_add_co_ci_u32_e64 v48, s4, 0, v48, s4
	v_cmp_gt_f32_e64 s4, s46, v17
	s_and_b32 vcc_lo, s3, vcc_lo
	v_add_co_ci_u32_e32 v50, vcc_lo, 0, v50, vcc_lo
	s_delay_alu instid0(VALU_DEP_2)
	v_add_co_ci_u32_e64 v49, s4, 0, v49, s4
	s_branch .LBB150_2
.LBB150_67:
                                        ; implicit-def: $vgpr2
                                        ; implicit-def: $vgpr4
                                        ; implicit-def: $vgpr6
                                        ; implicit-def: $vgpr8
                                        ; implicit-def: $vgpr10
                                        ; implicit-def: $vgpr12
                                        ; implicit-def: $vgpr14
                                        ; implicit-def: $vgpr16
	v_lshlrev_b32_e32 v18, 2, v0
	s_cmp_lt_u32 s21, 2
	ds_store_b32 v18, v1
	s_cbranch_scc0 .LBB150_69
	s_branch .LBB150_73
.LBB150_68:
	v_add_nc_u32_e32 v1, v49, v50
	v_cmp_eq_u32_e64 s3, 0, v48
	v_lshlrev_b32_e32 v18, 2, v0
	s_cmp_lt_u32 s21, 2
	ds_store_b32 v18, v1
	s_cbranch_scc1 .LBB150_73
.LBB150_69:
	s_mov_b32 s4, s21
	s_branch .LBB150_71
	.p2align	6
.LBB150_70:                             ;   in Loop: Header=BB150_71 Depth=1
	s_or_b32 exec_lo, exec_lo, s6
	s_cmp_lt_u32 s4, 4
	s_mov_b32 s4, s5
	s_cbranch_scc1 .LBB150_73
.LBB150_71:                             ; =>This Inner Loop Header: Depth=1
	s_lshr_b32 s5, s4, 1
	s_mov_b32 s6, exec_lo
	s_waitcnt vmcnt(0) lgkmcnt(0)
	s_barrier
	buffer_gl0_inv
	v_cmpx_gt_u32_e64 s5, v0
	s_cbranch_execz .LBB150_70
; %bb.72:                               ;   in Loop: Header=BB150_71 Depth=1
	v_lshl_add_u32 v19, s5, 2, v18
	ds_load_b32 v19, v19
	s_waitcnt lgkmcnt(0)
	v_add_nc_u32_e32 v1, v19, v1
	ds_store_b32 v18, v1
	s_branch .LBB150_70
.LBB150_73:
	v_mov_b32_e32 v1, 0
	s_waitcnt vmcnt(0) lgkmcnt(0)
	s_barrier
	buffer_gl0_inv
	s_mul_i32 s4, s2, s27
	ds_load_b32 v18, v1
	s_mul_hi_u32 s5, s2, s26
	s_mul_i32 s6, s44, s26
	s_add_i32 s5, s5, s4
	s_mul_i32 s4, s2, s26
	s_add_i32 s5, s5, s6
	s_delay_alu instid0(SALU_CYCLE_1)
	s_lshl_b64 s[6:7], s[4:5], 2
	s_xor_b32 s5, s3, -1
	s_add_u32 s3, s24, s6
	s_addc_u32 s4, s25, s7
	s_mov_b32 s6, exec_lo
	s_waitcnt lgkmcnt(0)
	v_readfirstlane_b32 s12, v18
	v_cmpx_eq_u32_e32 0, v0
	s_cbranch_execnz .LBB150_76
; %bb.74:
	s_or_b32 exec_lo, exec_lo, s6
	s_and_saveexec_b32 s6, s5
	s_cbranch_execnz .LBB150_77
.LBB150_75:
	s_or_b32 exec_lo, exec_lo, s6
	s_delay_alu instid0(SALU_CYCLE_1)
	s_and_not1_b32 vcc_lo, exec_lo, s47
	s_cbranch_vccz .LBB150_78
	s_branch .LBB150_144
.LBB150_76:
	s_delay_alu instid0(VALU_DEP_2) | instskip(SKIP_2) | instid1(SALU_CYCLE_1)
	s_ashr_i32 s13, s12, 31
	v_mov_b32_e32 v18, s46
	s_lshl_b64 s[8:9], s[12:13], 2
	s_add_u32 s8, s3, s8
	s_addc_u32 s9, s4, s9
	global_store_b32 v1, v18, s[8:9]
	s_or_b32 exec_lo, exec_lo, s6
	s_and_saveexec_b32 s6, s5
	s_cbranch_execz .LBB150_75
.LBB150_77:
	v_dual_mov_b32 v1, 0 :: v_dual_mov_b32 v18, 0x7fc00000
	s_add_u32 s8, s3, s28
	s_addc_u32 s9, s4, s29
	global_store_b32 v1, v18, s[8:9]
	s_or_b32 exec_lo, exec_lo, s6
	s_delay_alu instid0(SALU_CYCLE_1)
	s_and_not1_b32 vcc_lo, exec_lo, s47
	s_cbranch_vccnz .LBB150_144
.LBB150_78:
	s_clause 0x1
	s_load_b64 s[16:17], s[0:1], 0x30
	s_load_b256 s[4:11], s[0:1], 0x38
                                        ; implicit-def: $vgpr18_vgpr19
                                        ; implicit-def: $vgpr20_vgpr21
                                        ; implicit-def: $vgpr22_vgpr23
                                        ; implicit-def: $vgpr24_vgpr25
                                        ; implicit-def: $vgpr26_vgpr27
                                        ; implicit-def: $vgpr28_vgpr29
                                        ; implicit-def: $vgpr30_vgpr31
                                        ; implicit-def: $vgpr32_vgpr33
	s_waitcnt lgkmcnt(0)
	s_ashr_i32 s1, s16, 31
	s_mul_i32 s3, s2, s5
	s_mul_hi_u32 s5, s2, s4
	s_mul_i32 s13, s44, s4
	s_add_i32 s3, s5, s3
	s_mul_i32 s4, s2, s4
	s_add_i32 s5, s3, s13
	s_mov_b32 s0, s16
	s_lshl_b64 s[4:5], s[4:5], 3
	s_mul_i32 s3, s2, s11
	s_add_u32 s4, s22, s4
	s_addc_u32 s5, s23, s5
	s_lshl_b64 s[0:1], s[0:1], 3
	s_mul_hi_u32 s11, s2, s10
	s_add_u32 s4, s4, s0
	s_mul_i32 s13, s44, s10
	s_addc_u32 s5, s5, s1
	s_add_i32 s1, s11, s3
	s_mul_i32 s0, s2, s10
	s_add_i32 s1, s1, s13
	s_mov_b32 s2, s8
	s_lshl_b64 s[0:1], s[0:1], 3
	s_ashr_i32 s3, s8, 31
	s_add_u32 s6, s6, s0
	s_addc_u32 s7, s7, s1
	s_lshl_b64 s[0:1], s[2:3], 3
	s_mul_i32 s2, s14, s17
	s_add_u32 s6, s6, s0
	s_addc_u32 s7, s7, s1
	s_ashr_i32 s3, s2, 31
	s_delay_alu instid0(SALU_CYCLE_1) | instskip(SKIP_4) | instid1(SALU_CYCLE_1)
	s_lshl_b64 s[0:1], s[2:3], 3
	s_mul_i32 s2, s12, s9
	s_add_u32 s16, s4, s0
	s_addc_u32 s17, s5, s1
	s_ashr_i32 s3, s2, 31
	s_lshl_b64 s[0:1], s[2:3], 3
	s_delay_alu instid0(SALU_CYCLE_1)
	s_add_u32 s18, s6, s0
	s_addc_u32 s19, s7, s1
	s_add_i32 s20, s45, 1
	s_lshl_b32 s22, s21, 1
	s_lshl_b32 s23, s21, 2
	;; [unrolled: 1-line block ×3, first 2 shown]
	s_branch .LBB150_80
.LBB150_79:                             ;   in Loop: Header=BB150_80 Depth=1
	s_or_b32 exec_lo, exec_lo, s0
	v_add_nc_u32_e32 v0, s30, v0
	s_add_i32 s20, s20, -1
	s_delay_alu instid0(SALU_CYCLE_1)
	s_cmp_eq_u32 s20, 0
	s_cbranch_scc1 .LBB150_144
.LBB150_80:                             ; =>This Inner Loop Header: Depth=1
	s_delay_alu instid0(VALU_DEP_1)
	v_cmp_gt_i32_e32 vcc_lo, s31, v0
	v_ashrrev_i32_e32 v1, 31, v0
	s_and_saveexec_b32 s1, vcc_lo
	s_cbranch_execz .LBB150_82
; %bb.81:                               ;   in Loop: Header=BB150_80 Depth=1
	s_waitcnt vmcnt(0)
	s_delay_alu instid0(VALU_DEP_1) | instskip(NEXT) | instid1(VALU_DEP_1)
	v_lshlrev_b64 v[2:3], 3, v[0:1]
	v_add_co_u32 v2, s0, s16, v2
	s_delay_alu instid0(VALU_DEP_1)
	v_add_co_ci_u32_e64 v3, s0, s17, v3, s0
	global_load_b64 v[2:3], v[2:3], off
.LBB150_82:                             ;   in Loop: Header=BB150_80 Depth=1
	s_or_b32 exec_lo, exec_lo, s1
	v_add_nc_u32_e32 v34, s21, v0
	s_delay_alu instid0(VALU_DEP_1) | instskip(SKIP_1) | instid1(VALU_DEP_2)
	v_cmp_gt_i32_e64 s0, s31, v34
	v_ashrrev_i32_e32 v35, 31, v34
	s_and_saveexec_b32 s2, s0
	s_cbranch_execz .LBB150_84
; %bb.83:                               ;   in Loop: Header=BB150_80 Depth=1
	s_waitcnt vmcnt(0)
	s_delay_alu instid0(VALU_DEP_1) | instskip(NEXT) | instid1(VALU_DEP_1)
	v_lshlrev_b64 v[4:5], 3, v[34:35]
	v_add_co_u32 v4, s1, s16, v4
	s_delay_alu instid0(VALU_DEP_1)
	v_add_co_ci_u32_e64 v5, s1, s17, v5, s1
	global_load_b64 v[4:5], v[4:5], off
.LBB150_84:                             ;   in Loop: Header=BB150_80 Depth=1
	s_or_b32 exec_lo, exec_lo, s2
	v_add_nc_u32_e32 v38, s21, v34
	v_add_nc_u32_e32 v36, s22, v0
	s_delay_alu instid0(VALU_DEP_2) | instskip(NEXT) | instid1(VALU_DEP_2)
	v_cmp_gt_i32_e64 s1, s31, v38
	v_ashrrev_i32_e32 v37, 31, v36
	s_delay_alu instid0(VALU_DEP_2)
	s_and_saveexec_b32 s3, s1
	s_cbranch_execz .LBB150_86
; %bb.85:                               ;   in Loop: Header=BB150_80 Depth=1
	s_waitcnt vmcnt(0)
	s_delay_alu instid0(VALU_DEP_1) | instskip(NEXT) | instid1(VALU_DEP_1)
	v_lshlrev_b64 v[6:7], 3, v[36:37]
	v_add_co_u32 v6, s2, s16, v6
	s_delay_alu instid0(VALU_DEP_1)
	v_add_co_ci_u32_e64 v7, s2, s17, v7, s2
	global_load_b64 v[6:7], v[6:7], off
.LBB150_86:                             ;   in Loop: Header=BB150_80 Depth=1
	s_or_b32 exec_lo, exec_lo, s3
	v_add_nc_u32_e32 v40, s21, v38
	v_add_nc_u32_e32 v38, s33, v0
	s_delay_alu instid0(VALU_DEP_2) | instskip(NEXT) | instid1(VALU_DEP_2)
	v_cmp_gt_i32_e64 s2, s31, v40
	v_ashrrev_i32_e32 v39, 31, v38
	s_delay_alu instid0(VALU_DEP_2)
	;; [unrolled: 18-line block ×8, first 2 shown]
	s_and_saveexec_b32 s10, s8
	s_cbranch_execz .LBB150_100
; %bb.99:                               ;   in Loop: Header=BB150_80 Depth=1
	s_waitcnt vmcnt(0)
	s_delay_alu instid0(VALU_DEP_1) | instskip(NEXT) | instid1(VALU_DEP_1)
	v_lshlrev_b64 v[30:31], 3, v[50:51]
	v_add_co_u32 v30, s9, s16, v30
	s_delay_alu instid0(VALU_DEP_1)
	v_add_co_ci_u32_e64 v31, s9, s17, v31, s9
	global_load_b64 v[30:31], v[30:31], off
.LBB150_100:                            ;   in Loop: Header=BB150_80 Depth=1
	s_or_b32 exec_lo, exec_lo, s10
	v_add_nc_u32_e32 v54, s21, v52
	v_add_nc_u32_e32 v52, s38, v0
	s_delay_alu instid0(VALU_DEP_2) | instskip(NEXT) | instid1(VALU_DEP_2)
	v_cmp_gt_i32_e64 s9, s31, v54
	v_ashrrev_i32_e32 v53, 31, v52
	s_delay_alu instid0(VALU_DEP_2)
	s_and_saveexec_b32 s11, s9
	s_cbranch_execz .LBB150_102
; %bb.101:                              ;   in Loop: Header=BB150_80 Depth=1
	s_waitcnt vmcnt(0)
	s_delay_alu instid0(VALU_DEP_1) | instskip(NEXT) | instid1(VALU_DEP_1)
	v_lshlrev_b64 v[28:29], 3, v[52:53]
	v_add_co_u32 v28, s10, s16, v28
	s_delay_alu instid0(VALU_DEP_1)
	v_add_co_ci_u32_e64 v29, s10, s17, v29, s10
	global_load_b64 v[28:29], v[28:29], off
.LBB150_102:                            ;   in Loop: Header=BB150_80 Depth=1
	s_or_b32 exec_lo, exec_lo, s11
	v_add_nc_u32_e32 v56, s21, v54
	v_add_nc_u32_e32 v54, s39, v0
	s_delay_alu instid0(VALU_DEP_2) | instskip(NEXT) | instid1(VALU_DEP_2)
	v_cmp_gt_i32_e64 s10, s31, v56
	v_ashrrev_i32_e32 v55, 31, v54
	s_delay_alu instid0(VALU_DEP_2)
	s_and_saveexec_b32 s12, s10
	s_cbranch_execz .LBB150_104
; %bb.103:                              ;   in Loop: Header=BB150_80 Depth=1
	s_waitcnt vmcnt(0)
	s_delay_alu instid0(VALU_DEP_1) | instskip(NEXT) | instid1(VALU_DEP_1)
	v_lshlrev_b64 v[26:27], 3, v[54:55]
	v_add_co_u32 v26, s11, s16, v26
	s_delay_alu instid0(VALU_DEP_1)
	v_add_co_ci_u32_e64 v27, s11, s17, v27, s11
	global_load_b64 v[26:27], v[26:27], off
.LBB150_104:                            ;   in Loop: Header=BB150_80 Depth=1
	;; [unrolled: 18-line block ×5, first 2 shown]
	s_or_b32 exec_lo, exec_lo, s15
	v_add_nc_u32_e32 v63, s21, v62
	v_add_nc_u32_e32 v62, s43, v0
	s_delay_alu instid0(VALU_DEP_2) | instskip(NEXT) | instid1(VALU_DEP_2)
	v_cmp_gt_i32_e64 s14, s31, v63
	v_ashrrev_i32_e32 v63, 31, v62
	s_delay_alu instid0(VALU_DEP_2)
	s_and_saveexec_b32 s25, s14
	s_cbranch_execnz .LBB150_127
; %bb.111:                              ;   in Loop: Header=BB150_80 Depth=1
	s_or_b32 exec_lo, exec_lo, s25
	s_and_saveexec_b32 s15, vcc_lo
	s_cbranch_execnz .LBB150_128
.LBB150_112:                            ;   in Loop: Header=BB150_80 Depth=1
	s_or_b32 exec_lo, exec_lo, s15
	s_and_saveexec_b32 s15, s0
	s_cbranch_execnz .LBB150_129
.LBB150_113:                            ;   in Loop: Header=BB150_80 Depth=1
	s_or_b32 exec_lo, exec_lo, s15
	s_and_saveexec_b32 s0, s1
	s_cbranch_execnz .LBB150_130
.LBB150_114:                            ;   in Loop: Header=BB150_80 Depth=1
	s_or_b32 exec_lo, exec_lo, s0
	s_and_saveexec_b32 s0, s2
	s_cbranch_execnz .LBB150_131
.LBB150_115:                            ;   in Loop: Header=BB150_80 Depth=1
	s_or_b32 exec_lo, exec_lo, s0
	s_and_saveexec_b32 s0, s3
	s_cbranch_execnz .LBB150_132
.LBB150_116:                            ;   in Loop: Header=BB150_80 Depth=1
	s_or_b32 exec_lo, exec_lo, s0
	s_and_saveexec_b32 s0, s4
	s_cbranch_execnz .LBB150_133
.LBB150_117:                            ;   in Loop: Header=BB150_80 Depth=1
	s_or_b32 exec_lo, exec_lo, s0
	s_and_saveexec_b32 s0, s5
	s_cbranch_execnz .LBB150_134
.LBB150_118:                            ;   in Loop: Header=BB150_80 Depth=1
	s_or_b32 exec_lo, exec_lo, s0
	s_and_saveexec_b32 s0, s6
	s_cbranch_execnz .LBB150_135
.LBB150_119:                            ;   in Loop: Header=BB150_80 Depth=1
	s_or_b32 exec_lo, exec_lo, s0
	s_and_saveexec_b32 s0, s7
	s_cbranch_execnz .LBB150_136
.LBB150_120:                            ;   in Loop: Header=BB150_80 Depth=1
	s_or_b32 exec_lo, exec_lo, s0
	s_and_saveexec_b32 s0, s8
	s_cbranch_execnz .LBB150_137
.LBB150_121:                            ;   in Loop: Header=BB150_80 Depth=1
	s_or_b32 exec_lo, exec_lo, s0
	s_and_saveexec_b32 s0, s9
	s_cbranch_execnz .LBB150_138
.LBB150_122:                            ;   in Loop: Header=BB150_80 Depth=1
	s_or_b32 exec_lo, exec_lo, s0
	s_and_saveexec_b32 s0, s10
	s_cbranch_execnz .LBB150_139
.LBB150_123:                            ;   in Loop: Header=BB150_80 Depth=1
	s_or_b32 exec_lo, exec_lo, s0
	s_and_saveexec_b32 s0, s11
	s_cbranch_execnz .LBB150_140
.LBB150_124:                            ;   in Loop: Header=BB150_80 Depth=1
	s_or_b32 exec_lo, exec_lo, s0
	s_and_saveexec_b32 s0, s12
	s_cbranch_execnz .LBB150_141
.LBB150_125:                            ;   in Loop: Header=BB150_80 Depth=1
	s_or_b32 exec_lo, exec_lo, s0
	s_and_saveexec_b32 s0, s13
	s_cbranch_execnz .LBB150_142
.LBB150_126:                            ;   in Loop: Header=BB150_80 Depth=1
	s_or_b32 exec_lo, exec_lo, s0
	s_and_saveexec_b32 s0, s14
	s_cbranch_execz .LBB150_79
	s_branch .LBB150_143
.LBB150_127:                            ;   in Loop: Header=BB150_80 Depth=1
	s_waitcnt vmcnt(0)
	s_delay_alu instid0(VALU_DEP_1) | instskip(NEXT) | instid1(VALU_DEP_1)
	v_lshlrev_b64 v[18:19], 3, v[62:63]
	v_add_co_u32 v18, s15, s16, v18
	s_delay_alu instid0(VALU_DEP_1)
	v_add_co_ci_u32_e64 v19, s15, s17, v19, s15
	global_load_b64 v[18:19], v[18:19], off
	s_or_b32 exec_lo, exec_lo, s25
	s_and_saveexec_b32 s15, vcc_lo
	s_cbranch_execz .LBB150_112
.LBB150_128:                            ;   in Loop: Header=BB150_80 Depth=1
	v_lshlrev_b64 v[64:65], 3, v[0:1]
	s_delay_alu instid0(VALU_DEP_1) | instskip(NEXT) | instid1(VALU_DEP_2)
	v_add_co_u32 v64, vcc_lo, s18, v64
	v_add_co_ci_u32_e32 v65, vcc_lo, s19, v65, vcc_lo
	s_waitcnt vmcnt(0)
	global_store_b64 v[64:65], v[2:3], off
	s_or_b32 exec_lo, exec_lo, s15
	s_and_saveexec_b32 s15, s0
	s_cbranch_execz .LBB150_113
.LBB150_129:                            ;   in Loop: Header=BB150_80 Depth=1
	v_lshlrev_b64 v[34:35], 3, v[34:35]
	s_delay_alu instid0(VALU_DEP_1) | instskip(NEXT) | instid1(VALU_DEP_2)
	v_add_co_u32 v34, vcc_lo, s18, v34
	v_add_co_ci_u32_e32 v35, vcc_lo, s19, v35, vcc_lo
	s_waitcnt vmcnt(0)
	global_store_b64 v[34:35], v[4:5], off
	s_or_b32 exec_lo, exec_lo, s15
	s_and_saveexec_b32 s0, s1
	s_cbranch_execz .LBB150_114
.LBB150_130:                            ;   in Loop: Header=BB150_80 Depth=1
	v_lshlrev_b64 v[34:35], 3, v[36:37]
	s_delay_alu instid0(VALU_DEP_1) | instskip(NEXT) | instid1(VALU_DEP_2)
	v_add_co_u32 v34, vcc_lo, s18, v34
	v_add_co_ci_u32_e32 v35, vcc_lo, s19, v35, vcc_lo
	s_waitcnt vmcnt(0)
	global_store_b64 v[34:35], v[6:7], off
	s_or_b32 exec_lo, exec_lo, s0
	s_and_saveexec_b32 s0, s2
	s_cbranch_execz .LBB150_115
.LBB150_131:                            ;   in Loop: Header=BB150_80 Depth=1
	v_lshlrev_b64 v[34:35], 3, v[38:39]
	s_delay_alu instid0(VALU_DEP_1) | instskip(NEXT) | instid1(VALU_DEP_2)
	v_add_co_u32 v34, vcc_lo, s18, v34
	v_add_co_ci_u32_e32 v35, vcc_lo, s19, v35, vcc_lo
	s_waitcnt vmcnt(0)
	global_store_b64 v[34:35], v[8:9], off
	s_or_b32 exec_lo, exec_lo, s0
	s_and_saveexec_b32 s0, s3
	s_cbranch_execz .LBB150_116
.LBB150_132:                            ;   in Loop: Header=BB150_80 Depth=1
	v_lshlrev_b64 v[34:35], 3, v[40:41]
	s_delay_alu instid0(VALU_DEP_1) | instskip(NEXT) | instid1(VALU_DEP_2)
	v_add_co_u32 v34, vcc_lo, s18, v34
	v_add_co_ci_u32_e32 v35, vcc_lo, s19, v35, vcc_lo
	s_waitcnt vmcnt(0)
	global_store_b64 v[34:35], v[10:11], off
	s_or_b32 exec_lo, exec_lo, s0
	s_and_saveexec_b32 s0, s4
	s_cbranch_execz .LBB150_117
.LBB150_133:                            ;   in Loop: Header=BB150_80 Depth=1
	v_lshlrev_b64 v[34:35], 3, v[42:43]
	s_delay_alu instid0(VALU_DEP_1) | instskip(NEXT) | instid1(VALU_DEP_2)
	v_add_co_u32 v34, vcc_lo, s18, v34
	v_add_co_ci_u32_e32 v35, vcc_lo, s19, v35, vcc_lo
	s_waitcnt vmcnt(0)
	global_store_b64 v[34:35], v[12:13], off
	s_or_b32 exec_lo, exec_lo, s0
	s_and_saveexec_b32 s0, s5
	s_cbranch_execz .LBB150_118
.LBB150_134:                            ;   in Loop: Header=BB150_80 Depth=1
	v_lshlrev_b64 v[34:35], 3, v[44:45]
	s_delay_alu instid0(VALU_DEP_1) | instskip(NEXT) | instid1(VALU_DEP_2)
	v_add_co_u32 v34, vcc_lo, s18, v34
	v_add_co_ci_u32_e32 v35, vcc_lo, s19, v35, vcc_lo
	s_waitcnt vmcnt(0)
	global_store_b64 v[34:35], v[14:15], off
	s_or_b32 exec_lo, exec_lo, s0
	s_and_saveexec_b32 s0, s6
	s_cbranch_execz .LBB150_119
.LBB150_135:                            ;   in Loop: Header=BB150_80 Depth=1
	v_lshlrev_b64 v[34:35], 3, v[46:47]
	s_delay_alu instid0(VALU_DEP_1) | instskip(NEXT) | instid1(VALU_DEP_2)
	v_add_co_u32 v34, vcc_lo, s18, v34
	v_add_co_ci_u32_e32 v35, vcc_lo, s19, v35, vcc_lo
	s_waitcnt vmcnt(0)
	global_store_b64 v[34:35], v[16:17], off
	s_or_b32 exec_lo, exec_lo, s0
	s_and_saveexec_b32 s0, s7
	s_cbranch_execz .LBB150_120
.LBB150_136:                            ;   in Loop: Header=BB150_80 Depth=1
	v_lshlrev_b64 v[34:35], 3, v[48:49]
	s_delay_alu instid0(VALU_DEP_1) | instskip(NEXT) | instid1(VALU_DEP_2)
	v_add_co_u32 v34, vcc_lo, s18, v34
	v_add_co_ci_u32_e32 v35, vcc_lo, s19, v35, vcc_lo
	s_waitcnt vmcnt(0)
	global_store_b64 v[34:35], v[32:33], off
	s_or_b32 exec_lo, exec_lo, s0
	s_and_saveexec_b32 s0, s8
	s_cbranch_execz .LBB150_121
.LBB150_137:                            ;   in Loop: Header=BB150_80 Depth=1
	v_lshlrev_b64 v[34:35], 3, v[50:51]
	s_delay_alu instid0(VALU_DEP_1) | instskip(NEXT) | instid1(VALU_DEP_2)
	v_add_co_u32 v34, vcc_lo, s18, v34
	v_add_co_ci_u32_e32 v35, vcc_lo, s19, v35, vcc_lo
	s_waitcnt vmcnt(0)
	global_store_b64 v[34:35], v[30:31], off
	s_or_b32 exec_lo, exec_lo, s0
	s_and_saveexec_b32 s0, s9
	s_cbranch_execz .LBB150_122
.LBB150_138:                            ;   in Loop: Header=BB150_80 Depth=1
	v_lshlrev_b64 v[34:35], 3, v[52:53]
	s_delay_alu instid0(VALU_DEP_1) | instskip(NEXT) | instid1(VALU_DEP_2)
	v_add_co_u32 v34, vcc_lo, s18, v34
	v_add_co_ci_u32_e32 v35, vcc_lo, s19, v35, vcc_lo
	s_waitcnt vmcnt(0)
	global_store_b64 v[34:35], v[28:29], off
	s_or_b32 exec_lo, exec_lo, s0
	s_and_saveexec_b32 s0, s10
	s_cbranch_execz .LBB150_123
.LBB150_139:                            ;   in Loop: Header=BB150_80 Depth=1
	v_lshlrev_b64 v[34:35], 3, v[54:55]
	s_delay_alu instid0(VALU_DEP_1) | instskip(NEXT) | instid1(VALU_DEP_2)
	v_add_co_u32 v34, vcc_lo, s18, v34
	v_add_co_ci_u32_e32 v35, vcc_lo, s19, v35, vcc_lo
	s_waitcnt vmcnt(0)
	global_store_b64 v[34:35], v[26:27], off
	s_or_b32 exec_lo, exec_lo, s0
	s_and_saveexec_b32 s0, s11
	s_cbranch_execz .LBB150_124
.LBB150_140:                            ;   in Loop: Header=BB150_80 Depth=1
	v_lshlrev_b64 v[34:35], 3, v[56:57]
	s_delay_alu instid0(VALU_DEP_1) | instskip(NEXT) | instid1(VALU_DEP_2)
	v_add_co_u32 v34, vcc_lo, s18, v34
	v_add_co_ci_u32_e32 v35, vcc_lo, s19, v35, vcc_lo
	s_waitcnt vmcnt(0)
	global_store_b64 v[34:35], v[24:25], off
	s_or_b32 exec_lo, exec_lo, s0
	s_and_saveexec_b32 s0, s12
	s_cbranch_execz .LBB150_125
.LBB150_141:                            ;   in Loop: Header=BB150_80 Depth=1
	v_lshlrev_b64 v[34:35], 3, v[58:59]
	s_delay_alu instid0(VALU_DEP_1) | instskip(NEXT) | instid1(VALU_DEP_2)
	v_add_co_u32 v34, vcc_lo, s18, v34
	v_add_co_ci_u32_e32 v35, vcc_lo, s19, v35, vcc_lo
	s_waitcnt vmcnt(0)
	global_store_b64 v[34:35], v[22:23], off
	s_or_b32 exec_lo, exec_lo, s0
	s_and_saveexec_b32 s0, s13
	s_cbranch_execz .LBB150_126
.LBB150_142:                            ;   in Loop: Header=BB150_80 Depth=1
	v_lshlrev_b64 v[34:35], 3, v[60:61]
	s_delay_alu instid0(VALU_DEP_1) | instskip(NEXT) | instid1(VALU_DEP_2)
	v_add_co_u32 v34, vcc_lo, s18, v34
	v_add_co_ci_u32_e32 v35, vcc_lo, s19, v35, vcc_lo
	s_waitcnt vmcnt(0)
	global_store_b64 v[34:35], v[20:21], off
	s_or_b32 exec_lo, exec_lo, s0
	s_and_saveexec_b32 s0, s14
	s_cbranch_execz .LBB150_79
.LBB150_143:                            ;   in Loop: Header=BB150_80 Depth=1
	v_lshlrev_b64 v[34:35], 3, v[62:63]
	s_delay_alu instid0(VALU_DEP_1) | instskip(NEXT) | instid1(VALU_DEP_2)
	v_add_co_u32 v34, vcc_lo, s18, v34
	v_add_co_ci_u32_e32 v35, vcc_lo, s19, v35, vcc_lo
	s_waitcnt vmcnt(0)
	global_store_b64 v[34:35], v[18:19], off
	s_branch .LBB150_79
.LBB150_144:
	s_nop 0
	s_sendmsg sendmsg(MSG_DEALLOC_VGPRS)
	s_endpgm
	.section	.rodata,"a",@progbits
	.p2align	6, 0x0
	.amdhsa_kernel _ZN9rocsolver6v33100L10stedc_sortI19rocblas_complex_numIfEfPS3_S4_EEviPT0_lS6_lT1_iilT2_iil
		.amdhsa_group_segment_fixed_size 2048
		.amdhsa_private_segment_fixed_size 0
		.amdhsa_kernarg_size 344
		.amdhsa_user_sgpr_count 14
		.amdhsa_user_sgpr_dispatch_ptr 0
		.amdhsa_user_sgpr_queue_ptr 0
		.amdhsa_user_sgpr_kernarg_segment_ptr 1
		.amdhsa_user_sgpr_dispatch_id 0
		.amdhsa_user_sgpr_private_segment_size 0
		.amdhsa_wavefront_size32 1
		.amdhsa_uses_dynamic_stack 0
		.amdhsa_enable_private_segment 0
		.amdhsa_system_sgpr_workgroup_id_x 1
		.amdhsa_system_sgpr_workgroup_id_y 1
		.amdhsa_system_sgpr_workgroup_id_z 0
		.amdhsa_system_sgpr_workgroup_info 0
		.amdhsa_system_vgpr_workitem_id 0
		.amdhsa_next_free_vgpr 66
		.amdhsa_next_free_sgpr 55
		.amdhsa_reserve_vcc 1
		.amdhsa_float_round_mode_32 0
		.amdhsa_float_round_mode_16_64 0
		.amdhsa_float_denorm_mode_32 3
		.amdhsa_float_denorm_mode_16_64 3
		.amdhsa_dx10_clamp 1
		.amdhsa_ieee_mode 1
		.amdhsa_fp16_overflow 0
		.amdhsa_workgroup_processor_mode 1
		.amdhsa_memory_ordered 1
		.amdhsa_forward_progress 0
		.amdhsa_shared_vgpr_count 0
		.amdhsa_exception_fp_ieee_invalid_op 0
		.amdhsa_exception_fp_denorm_src 0
		.amdhsa_exception_fp_ieee_div_zero 0
		.amdhsa_exception_fp_ieee_overflow 0
		.amdhsa_exception_fp_ieee_underflow 0
		.amdhsa_exception_fp_ieee_inexact 0
		.amdhsa_exception_int_div_zero 0
	.end_amdhsa_kernel
	.section	.text._ZN9rocsolver6v33100L10stedc_sortI19rocblas_complex_numIfEfPS3_S4_EEviPT0_lS6_lT1_iilT2_iil,"axG",@progbits,_ZN9rocsolver6v33100L10stedc_sortI19rocblas_complex_numIfEfPS3_S4_EEviPT0_lS6_lT1_iilT2_iil,comdat
.Lfunc_end150:
	.size	_ZN9rocsolver6v33100L10stedc_sortI19rocblas_complex_numIfEfPS3_S4_EEviPT0_lS6_lT1_iilT2_iil, .Lfunc_end150-_ZN9rocsolver6v33100L10stedc_sortI19rocblas_complex_numIfEfPS3_S4_EEviPT0_lS6_lT1_iilT2_iil
                                        ; -- End function
	.section	.AMDGPU.csdata,"",@progbits
; Kernel info:
; codeLenInByte = 5960
; NumSgprs: 57
; NumVgprs: 66
; ScratchSize: 0
; MemoryBound: 0
; FloatMode: 240
; IeeeMode: 1
; LDSByteSize: 2048 bytes/workgroup (compile time only)
; SGPRBlocks: 7
; VGPRBlocks: 8
; NumSGPRsForWavesPerEU: 57
; NumVGPRsForWavesPerEU: 66
; Occupancy: 16
; WaveLimiterHint : 0
; COMPUTE_PGM_RSRC2:SCRATCH_EN: 0
; COMPUTE_PGM_RSRC2:USER_SGPR: 14
; COMPUTE_PGM_RSRC2:TRAP_HANDLER: 0
; COMPUTE_PGM_RSRC2:TGID_X_EN: 1
; COMPUTE_PGM_RSRC2:TGID_Y_EN: 1
; COMPUTE_PGM_RSRC2:TGID_Z_EN: 0
; COMPUTE_PGM_RSRC2:TIDIG_COMP_CNT: 0
	.section	.text._ZN9rocsolver6v33100L13conj_in_placeI19rocblas_complex_numIfEiPS3_TnNSt9enable_ifIX18rocblas_is_complexIT_EEiE4typeELi0EEEvT0_S9_T1_lS9_l,"axG",@progbits,_ZN9rocsolver6v33100L13conj_in_placeI19rocblas_complex_numIfEiPS3_TnNSt9enable_ifIX18rocblas_is_complexIT_EEiE4typeELi0EEEvT0_S9_T1_lS9_l,comdat
	.globl	_ZN9rocsolver6v33100L13conj_in_placeI19rocblas_complex_numIfEiPS3_TnNSt9enable_ifIX18rocblas_is_complexIT_EEiE4typeELi0EEEvT0_S9_T1_lS9_l ; -- Begin function _ZN9rocsolver6v33100L13conj_in_placeI19rocblas_complex_numIfEiPS3_TnNSt9enable_ifIX18rocblas_is_complexIT_EEiE4typeELi0EEEvT0_S9_T1_lS9_l
	.p2align	8
	.type	_ZN9rocsolver6v33100L13conj_in_placeI19rocblas_complex_numIfEiPS3_TnNSt9enable_ifIX18rocblas_is_complexIT_EEiE4typeELi0EEEvT0_S9_T1_lS9_l,@function
_ZN9rocsolver6v33100L13conj_in_placeI19rocblas_complex_numIfEiPS3_TnNSt9enable_ifIX18rocblas_is_complexIT_EEiE4typeELi0EEEvT0_S9_T1_lS9_l: ; @_ZN9rocsolver6v33100L13conj_in_placeI19rocblas_complex_numIfEiPS3_TnNSt9enable_ifIX18rocblas_is_complexIT_EEiE4typeELi0EEEvT0_S9_T1_lS9_l
; %bb.0:
	s_clause 0x1
	s_load_b32 s4, s[0:1], 0x34
	s_load_b64 s[2:3], s[0:1], 0x0
	v_and_b32_e32 v2, 0x3ff, v0
	v_bfe_u32 v3, v0, 10, 10
	s_waitcnt lgkmcnt(0)
	s_lshr_b32 s5, s4, 16
	s_and_b32 s4, s4, 0xffff
	s_delay_alu instid0(VALU_DEP_1) | instid1(SALU_CYCLE_1)
	v_mad_u64_u32 v[0:1], null, s13, s4, v[2:3]
	v_mad_u64_u32 v[1:2], null, s14, s5, v[3:4]
	s_delay_alu instid0(VALU_DEP_2) | instskip(NEXT) | instid1(VALU_DEP_2)
	v_cmp_gt_i32_e32 vcc_lo, s2, v0
	v_cmp_gt_i32_e64 s2, s3, v1
	s_delay_alu instid0(VALU_DEP_1) | instskip(NEXT) | instid1(SALU_CYCLE_1)
	s_and_b32 s2, vcc_lo, s2
	s_and_saveexec_b32 s3, s2
	s_cbranch_execz .LBB151_2
; %bb.1:
	s_clause 0x2
	s_load_b64 s[4:5], s[0:1], 0x20
	s_load_b32 s6, s[0:1], 0x18
	s_load_b128 s[0:3], s[0:1], 0x8
	s_ashr_i32 s7, s15, 31
	s_waitcnt lgkmcnt(0)
	s_mul_i32 s5, s15, s5
	v_mad_i64_i32 v[2:3], null, v1, s6, 0
	s_mul_hi_u32 s8, s15, s4
	s_mul_i32 s7, s7, s4
	s_add_i32 s5, s8, s5
	s_mul_i32 s4, s15, s4
	s_add_i32 s5, s5, s7
	v_ashrrev_i32_e32 v1, 31, v0
	s_lshl_b64 s[4:5], s[4:5], 3
	v_lshlrev_b64 v[3:4], 3, v[2:3]
	s_add_u32 s4, s0, s4
	s_addc_u32 s5, s1, s5
	s_lshl_b64 s[0:1], s[2:3], 3
	v_lshlrev_b64 v[5:6], 3, v[0:1]
	s_add_u32 s0, s4, s0
	s_addc_u32 s1, s5, s1
	v_add_co_u32 v1, vcc_lo, s0, v3
	v_add_co_ci_u32_e32 v4, vcc_lo, s1, v4, vcc_lo
	v_add_nc_u32_e32 v0, v2, v0
	s_delay_alu instid0(VALU_DEP_3) | instskip(NEXT) | instid1(VALU_DEP_3)
	v_add_co_u32 v3, vcc_lo, v1, v5
	v_add_co_ci_u32_e32 v4, vcc_lo, v4, v6, vcc_lo
	s_delay_alu instid0(VALU_DEP_3) | instskip(SKIP_2) | instid1(VALU_DEP_1)
	v_ashrrev_i32_e32 v1, 31, v0
	global_load_b64 v[3:4], v[3:4], off
	v_lshlrev_b64 v[0:1], 3, v[0:1]
	v_add_co_u32 v0, vcc_lo, s0, v0
	s_delay_alu instid0(VALU_DEP_2)
	v_add_co_ci_u32_e32 v1, vcc_lo, s1, v1, vcc_lo
	s_waitcnt vmcnt(0)
	v_xor_b32_e32 v4, 0x80000000, v4
	global_store_b64 v[0:1], v[3:4], off
.LBB151_2:
	s_nop 0
	s_sendmsg sendmsg(MSG_DEALLOC_VGPRS)
	s_endpgm
	.section	.rodata,"a",@progbits
	.p2align	6, 0x0
	.amdhsa_kernel _ZN9rocsolver6v33100L13conj_in_placeI19rocblas_complex_numIfEiPS3_TnNSt9enable_ifIX18rocblas_is_complexIT_EEiE4typeELi0EEEvT0_S9_T1_lS9_l
		.amdhsa_group_segment_fixed_size 0
		.amdhsa_private_segment_fixed_size 0
		.amdhsa_kernarg_size 296
		.amdhsa_user_sgpr_count 13
		.amdhsa_user_sgpr_dispatch_ptr 0
		.amdhsa_user_sgpr_queue_ptr 0
		.amdhsa_user_sgpr_kernarg_segment_ptr 1
		.amdhsa_user_sgpr_dispatch_id 0
		.amdhsa_user_sgpr_private_segment_size 0
		.amdhsa_wavefront_size32 1
		.amdhsa_uses_dynamic_stack 0
		.amdhsa_enable_private_segment 0
		.amdhsa_system_sgpr_workgroup_id_x 1
		.amdhsa_system_sgpr_workgroup_id_y 1
		.amdhsa_system_sgpr_workgroup_id_z 1
		.amdhsa_system_sgpr_workgroup_info 0
		.amdhsa_system_vgpr_workitem_id 1
		.amdhsa_next_free_vgpr 7
		.amdhsa_next_free_sgpr 16
		.amdhsa_reserve_vcc 1
		.amdhsa_float_round_mode_32 0
		.amdhsa_float_round_mode_16_64 0
		.amdhsa_float_denorm_mode_32 3
		.amdhsa_float_denorm_mode_16_64 3
		.amdhsa_dx10_clamp 1
		.amdhsa_ieee_mode 1
		.amdhsa_fp16_overflow 0
		.amdhsa_workgroup_processor_mode 1
		.amdhsa_memory_ordered 1
		.amdhsa_forward_progress 0
		.amdhsa_shared_vgpr_count 0
		.amdhsa_exception_fp_ieee_invalid_op 0
		.amdhsa_exception_fp_denorm_src 0
		.amdhsa_exception_fp_ieee_div_zero 0
		.amdhsa_exception_fp_ieee_overflow 0
		.amdhsa_exception_fp_ieee_underflow 0
		.amdhsa_exception_fp_ieee_inexact 0
		.amdhsa_exception_int_div_zero 0
	.end_amdhsa_kernel
	.section	.text._ZN9rocsolver6v33100L13conj_in_placeI19rocblas_complex_numIfEiPS3_TnNSt9enable_ifIX18rocblas_is_complexIT_EEiE4typeELi0EEEvT0_S9_T1_lS9_l,"axG",@progbits,_ZN9rocsolver6v33100L13conj_in_placeI19rocblas_complex_numIfEiPS3_TnNSt9enable_ifIX18rocblas_is_complexIT_EEiE4typeELi0EEEvT0_S9_T1_lS9_l,comdat
.Lfunc_end151:
	.size	_ZN9rocsolver6v33100L13conj_in_placeI19rocblas_complex_numIfEiPS3_TnNSt9enable_ifIX18rocblas_is_complexIT_EEiE4typeELi0EEEvT0_S9_T1_lS9_l, .Lfunc_end151-_ZN9rocsolver6v33100L13conj_in_placeI19rocblas_complex_numIfEiPS3_TnNSt9enable_ifIX18rocblas_is_complexIT_EEiE4typeELi0EEEvT0_S9_T1_lS9_l
                                        ; -- End function
	.section	.AMDGPU.csdata,"",@progbits
; Kernel info:
; codeLenInByte = 320
; NumSgprs: 18
; NumVgprs: 7
; ScratchSize: 0
; MemoryBound: 0
; FloatMode: 240
; IeeeMode: 1
; LDSByteSize: 0 bytes/workgroup (compile time only)
; SGPRBlocks: 2
; VGPRBlocks: 0
; NumSGPRsForWavesPerEU: 18
; NumVGPRsForWavesPerEU: 7
; Occupancy: 16
; WaveLimiterHint : 0
; COMPUTE_PGM_RSRC2:SCRATCH_EN: 0
; COMPUTE_PGM_RSRC2:USER_SGPR: 13
; COMPUTE_PGM_RSRC2:TRAP_HANDLER: 0
; COMPUTE_PGM_RSRC2:TGID_X_EN: 1
; COMPUTE_PGM_RSRC2:TGID_Y_EN: 1
; COMPUTE_PGM_RSRC2:TGID_Z_EN: 1
; COMPUTE_PGM_RSRC2:TIDIG_COMP_CNT: 1
	.section	.text._ZN9rocsolver6v33100L8set_diagI19rocblas_complex_numIfEiS3_PS3_TnNSt9enable_ifIXoont18rocblas_is_complexIT_E18rocblas_is_complexIT1_EEiE4typeELi0EEEvPS7_llT2_lT0_lSC_b,"axG",@progbits,_ZN9rocsolver6v33100L8set_diagI19rocblas_complex_numIfEiS3_PS3_TnNSt9enable_ifIXoont18rocblas_is_complexIT_E18rocblas_is_complexIT1_EEiE4typeELi0EEEvPS7_llT2_lT0_lSC_b,comdat
	.globl	_ZN9rocsolver6v33100L8set_diagI19rocblas_complex_numIfEiS3_PS3_TnNSt9enable_ifIXoont18rocblas_is_complexIT_E18rocblas_is_complexIT1_EEiE4typeELi0EEEvPS7_llT2_lT0_lSC_b ; -- Begin function _ZN9rocsolver6v33100L8set_diagI19rocblas_complex_numIfEiS3_PS3_TnNSt9enable_ifIXoont18rocblas_is_complexIT_E18rocblas_is_complexIT1_EEiE4typeELi0EEEvPS7_llT2_lT0_lSC_b
	.p2align	8
	.type	_ZN9rocsolver6v33100L8set_diagI19rocblas_complex_numIfEiS3_PS3_TnNSt9enable_ifIXoont18rocblas_is_complexIT_E18rocblas_is_complexIT1_EEiE4typeELi0EEEvPS7_llT2_lT0_lSC_b,@function
_ZN9rocsolver6v33100L8set_diagI19rocblas_complex_numIfEiS3_PS3_TnNSt9enable_ifIXoont18rocblas_is_complexIT_E18rocblas_is_complexIT1_EEiE4typeELi0EEEvPS7_llT2_lT0_lSC_b: ; @_ZN9rocsolver6v33100L8set_diagI19rocblas_complex_numIfEiS3_PS3_TnNSt9enable_ifIXoont18rocblas_is_complexIT_E18rocblas_is_complexIT1_EEiE4typeELi0EEEvPS7_llT2_lT0_lSC_b
; %bb.0:
	s_clause 0x1
	s_load_b32 s4, s[0:1], 0x4c
	s_load_b64 s[2:3], s[0:1], 0x38
	v_bfe_u32 v2, v0, 10, 10
	s_waitcnt lgkmcnt(0)
	s_lshr_b32 s4, s4, 16
	s_delay_alu instid0(VALU_DEP_1) | instid1(SALU_CYCLE_1)
	v_mad_u64_u32 v[0:1], null, s15, s4, v[2:3]
	s_delay_alu instid0(VALU_DEP_1)
	v_cmp_gt_i32_e32 vcc_lo, s2, v0
	s_and_saveexec_b32 s2, vcc_lo
	s_cbranch_execz .LBB152_5
; %bb.1:
	s_clause 0x3
	s_load_b32 s2, s[0:1], 0x28
	s_load_b64 s[12:13], s[0:1], 0x30
	s_load_b256 s[4:11], s[0:1], 0x0
	s_load_b64 s[0:1], s[0:1], 0x20
	s_bitcmp1_b32 s3, 0
	s_cselect_b32 s15, -1, 0
	s_ashr_i32 s16, s14, 31
	s_waitcnt lgkmcnt(0)
	v_mad_u64_u32 v[1:2], null, v0, s2, v[0:1]
	s_mul_i32 s2, s14, s13
	s_mul_hi_u32 s3, s14, s12
	s_mul_i32 s13, s16, s12
	s_add_i32 s3, s3, s2
	s_mul_i32 s2, s14, s12
	s_add_i32 s3, s3, s13
	s_delay_alu instid0(VALU_DEP_1)
	v_ashrrev_i32_e32 v2, 31, v1
	s_lshl_b64 s[2:3], s[2:3], 3
	s_mul_i32 s16, s16, s8
	s_add_u32 s2, s10, s2
	s_addc_u32 s3, s11, s3
	v_lshlrev_b64 v[2:3], 3, v[1:2]
	s_lshl_b64 s[0:1], s[0:1], 3
	v_ashrrev_i32_e32 v1, 31, v0
	s_add_u32 s0, s2, s0
	s_addc_u32 s1, s3, s1
	s_delay_alu instid0(VALU_DEP_2)
	v_add_co_u32 v2, vcc_lo, s0, v2
	v_add_co_ci_u32_e32 v3, vcc_lo, s1, v3, vcc_lo
	s_mul_i32 s0, s14, s9
	s_mul_hi_u32 s1, s14, s8
	v_lshlrev_b64 v[0:1], 3, v[0:1]
	global_load_b64 v[4:5], v[2:3], off
	s_add_i32 s1, s1, s0
	s_mul_i32 s0, s14, s8
	s_add_i32 s1, s1, s16
	s_delay_alu instid0(SALU_CYCLE_1) | instskip(NEXT) | instid1(SALU_CYCLE_1)
	s_lshl_b64 s[0:1], s[0:1], 3
	s_add_u32 s2, s4, s0
	s_addc_u32 s3, s5, s1
	s_lshl_b64 s[0:1], s[6:7], 3
	s_delay_alu instid0(SALU_CYCLE_1)
	s_add_u32 s0, s2, s0
	s_addc_u32 s1, s3, s1
	v_add_co_u32 v0, vcc_lo, s0, v0
	v_add_co_ci_u32_e32 v1, vcc_lo, s1, v1, vcc_lo
	s_and_b32 vcc_lo, exec_lo, s15
	s_waitcnt vmcnt(0)
	global_store_b64 v[0:1], v[4:5], off
	s_cbranch_vccnz .LBB152_3
; %bb.2:
	global_load_b64 v[0:1], v[2:3], off
	s_branch .LBB152_4
.LBB152_3:
	v_dual_mov_b32 v1, 0 :: v_dual_mov_b32 v0, 1.0
.LBB152_4:
	s_waitcnt vmcnt(0)
	global_store_b64 v[2:3], v[0:1], off
.LBB152_5:
	s_nop 0
	s_sendmsg sendmsg(MSG_DEALLOC_VGPRS)
	s_endpgm
	.section	.rodata,"a",@progbits
	.p2align	6, 0x0
	.amdhsa_kernel _ZN9rocsolver6v33100L8set_diagI19rocblas_complex_numIfEiS3_PS3_TnNSt9enable_ifIXoont18rocblas_is_complexIT_E18rocblas_is_complexIT1_EEiE4typeELi0EEEvPS7_llT2_lT0_lSC_b
		.amdhsa_group_segment_fixed_size 0
		.amdhsa_private_segment_fixed_size 0
		.amdhsa_kernarg_size 320
		.amdhsa_user_sgpr_count 14
		.amdhsa_user_sgpr_dispatch_ptr 0
		.amdhsa_user_sgpr_queue_ptr 0
		.amdhsa_user_sgpr_kernarg_segment_ptr 1
		.amdhsa_user_sgpr_dispatch_id 0
		.amdhsa_user_sgpr_private_segment_size 0
		.amdhsa_wavefront_size32 1
		.amdhsa_uses_dynamic_stack 0
		.amdhsa_enable_private_segment 0
		.amdhsa_system_sgpr_workgroup_id_x 1
		.amdhsa_system_sgpr_workgroup_id_y 1
		.amdhsa_system_sgpr_workgroup_id_z 0
		.amdhsa_system_sgpr_workgroup_info 0
		.amdhsa_system_vgpr_workitem_id 1
		.amdhsa_next_free_vgpr 6
		.amdhsa_next_free_sgpr 17
		.amdhsa_reserve_vcc 1
		.amdhsa_float_round_mode_32 0
		.amdhsa_float_round_mode_16_64 0
		.amdhsa_float_denorm_mode_32 3
		.amdhsa_float_denorm_mode_16_64 3
		.amdhsa_dx10_clamp 1
		.amdhsa_ieee_mode 1
		.amdhsa_fp16_overflow 0
		.amdhsa_workgroup_processor_mode 1
		.amdhsa_memory_ordered 1
		.amdhsa_forward_progress 0
		.amdhsa_shared_vgpr_count 0
		.amdhsa_exception_fp_ieee_invalid_op 0
		.amdhsa_exception_fp_denorm_src 0
		.amdhsa_exception_fp_ieee_div_zero 0
		.amdhsa_exception_fp_ieee_overflow 0
		.amdhsa_exception_fp_ieee_underflow 0
		.amdhsa_exception_fp_ieee_inexact 0
		.amdhsa_exception_int_div_zero 0
	.end_amdhsa_kernel
	.section	.text._ZN9rocsolver6v33100L8set_diagI19rocblas_complex_numIfEiS3_PS3_TnNSt9enable_ifIXoont18rocblas_is_complexIT_E18rocblas_is_complexIT1_EEiE4typeELi0EEEvPS7_llT2_lT0_lSC_b,"axG",@progbits,_ZN9rocsolver6v33100L8set_diagI19rocblas_complex_numIfEiS3_PS3_TnNSt9enable_ifIXoont18rocblas_is_complexIT_E18rocblas_is_complexIT1_EEiE4typeELi0EEEvPS7_llT2_lT0_lSC_b,comdat
.Lfunc_end152:
	.size	_ZN9rocsolver6v33100L8set_diagI19rocblas_complex_numIfEiS3_PS3_TnNSt9enable_ifIXoont18rocblas_is_complexIT_E18rocblas_is_complexIT1_EEiE4typeELi0EEEvPS7_llT2_lT0_lSC_b, .Lfunc_end152-_ZN9rocsolver6v33100L8set_diagI19rocblas_complex_numIfEiS3_PS3_TnNSt9enable_ifIXoont18rocblas_is_complexIT_E18rocblas_is_complexIT1_EEiE4typeELi0EEEvPS7_llT2_lT0_lSC_b
                                        ; -- End function
	.section	.AMDGPU.csdata,"",@progbits
; Kernel info:
; codeLenInByte = 356
; NumSgprs: 19
; NumVgprs: 6
; ScratchSize: 0
; MemoryBound: 0
; FloatMode: 240
; IeeeMode: 1
; LDSByteSize: 0 bytes/workgroup (compile time only)
; SGPRBlocks: 2
; VGPRBlocks: 0
; NumSGPRsForWavesPerEU: 19
; NumVGPRsForWavesPerEU: 6
; Occupancy: 16
; WaveLimiterHint : 0
; COMPUTE_PGM_RSRC2:SCRATCH_EN: 0
; COMPUTE_PGM_RSRC2:USER_SGPR: 14
; COMPUTE_PGM_RSRC2:TRAP_HANDLER: 0
; COMPUTE_PGM_RSRC2:TGID_X_EN: 1
; COMPUTE_PGM_RSRC2:TGID_Y_EN: 1
; COMPUTE_PGM_RSRC2:TGID_Z_EN: 0
; COMPUTE_PGM_RSRC2:TIDIG_COMP_CNT: 1
	.section	.text._ZN9rocsolver6v33100L16larf_left_kernelILi1024E19rocblas_complex_numIfEiPS3_EEvT1_S5_T2_lS5_lPKT0_lS6_lS5_l,"axG",@progbits,_ZN9rocsolver6v33100L16larf_left_kernelILi1024E19rocblas_complex_numIfEiPS3_EEvT1_S5_T2_lS5_lPKT0_lS6_lS5_l,comdat
	.globl	_ZN9rocsolver6v33100L16larf_left_kernelILi1024E19rocblas_complex_numIfEiPS3_EEvT1_S5_T2_lS5_lPKT0_lS6_lS5_l ; -- Begin function _ZN9rocsolver6v33100L16larf_left_kernelILi1024E19rocblas_complex_numIfEiPS3_EEvT1_S5_T2_lS5_lPKT0_lS6_lS5_l
	.p2align	8
	.type	_ZN9rocsolver6v33100L16larf_left_kernelILi1024E19rocblas_complex_numIfEiPS3_EEvT1_S5_T2_lS5_lPKT0_lS6_lS5_l,@function
_ZN9rocsolver6v33100L16larf_left_kernelILi1024E19rocblas_complex_numIfEiPS3_EEvT1_S5_T2_lS5_lPKT0_lS6_lS5_l: ; @_ZN9rocsolver6v33100L16larf_left_kernelILi1024E19rocblas_complex_numIfEiPS3_EEvT1_S5_T2_lS5_lPKT0_lS6_lS5_l
; %bb.0:
	s_clause 0x4
	s_load_b32 s20, s[0:1], 0x0
	s_load_b64 s[2:3], s[0:1], 0x50
	s_load_b32 s18, s[0:1], 0x48
	s_load_b64 s[12:13], s[0:1], 0x40
	s_load_b256 s[4:11], s[0:1], 0x20
	v_dual_mov_b32 v5, 0 :: v_dual_mov_b32 v6, 0
	v_lshlrev_b32_e32 v3, 3, v0
	s_ashr_i32 s24, s15, 31
	s_mov_b32 s17, 0
	s_waitcnt lgkmcnt(0)
	v_cmp_gt_i32_e32 vcc_lo, s20, v0
	s_mul_i32 s21, s2, s24
	s_mul_hi_u32 s22, s2, s15
	s_mul_i32 s23, s3, s15
	s_mul_i32 s16, s2, s15
	s_mul_hi_i32 s19, s14, s18
	s_mul_i32 s18, s14, s18
	s_and_saveexec_b32 s14, vcc_lo
	s_cbranch_execz .LBB153_6
; %bb.1:
	s_clause 0x1
	s_load_b32 s26, s[0:1], 0x18
	s_load_b128 s[0:3], s[0:1], 0x8
	s_sub_i32 s25, 1, s20
	s_mul_i32 s29, s4, s24
	s_mul_hi_u32 s30, s4, s15
	s_mul_i32 s5, s5, s15
	s_mul_i32 s4, s4, s15
	v_add3_u32 v4, v3, 0, 0x100
	v_mov_b32_e32 v6, v0
	s_delay_alu instid0(VALU_DEP_2)
	v_mov_b32_e32 v5, v4
	s_waitcnt lgkmcnt(0)
	s_ashr_i32 s27, s26, 31
	v_mad_i64_i32 v[1:2], null, s26, v0, 0
	v_cmp_lt_i64_e64 s28, s[26:27], 1
	s_mul_i32 s25, s25, s26
	s_delay_alu instid0(VALU_DEP_1)
	s_and_b32 s28, s28, exec_lo
	s_cselect_b32 s28, s25, 0
	s_add_i32 s25, s30, s29
	s_ashr_i32 s29, s28, 31
	s_add_i32 s5, s25, s5
	s_lshl_b64 s[28:29], s[28:29], 3
	s_lshl_b64 s[2:3], s[2:3], 3
	;; [unrolled: 1-line block ×3, first 2 shown]
	v_lshlrev_b64 v[1:2], 3, v[1:2]
	s_add_u32 s0, s0, s28
	s_addc_u32 s1, s1, s29
	s_add_u32 s0, s0, s2
	s_addc_u32 s1, s1, s3
	;; [unrolled: 2-line block ×3, first 2 shown]
	v_add_co_u32 v1, s0, s0, v1
	s_delay_alu instid0(VALU_DEP_1)
	v_add_co_ci_u32_e64 v2, s0, s1, v2, s0
	s_lshl_b64 s[2:3], s[26:27], 13
	.p2align	6
.LBB153_2:                              ; =>This Inner Loop Header: Depth=1
	global_load_b64 v[7:8], v[1:2], off
	v_add_nc_u32_e32 v6, 0x400, v6
	v_add_co_u32 v1, s0, v1, s2
	s_delay_alu instid0(VALU_DEP_1) | instskip(NEXT) | instid1(VALU_DEP_3)
	v_add_co_ci_u32_e64 v2, s0, s3, v2, s0
	v_cmp_le_i32_e64 s1, s20, v6
	s_delay_alu instid0(VALU_DEP_1)
	s_or_b32 s17, s1, s17
	s_waitcnt vmcnt(0)
	ds_store_b64 v5, v[7:8]
	v_add_nc_u32_e32 v5, 0x2000, v5
	s_and_not1_b32 exec_lo, exec_lo, s17
	s_cbranch_execnz .LBB153_2
; %bb.3:
	s_or_b32 exec_lo, exec_lo, s17
	s_add_i32 s0, s22, s21
	v_dual_mov_b32 v6, 0 :: v_dual_lshlrev_b32 v1, 3, v0
	s_add_i32 s17, s0, s23
	s_lshl_b64 s[0:1], s[18:19], 3
	s_lshl_b64 s[2:3], s[16:17], 3
	v_mov_b32_e32 v5, 0
	s_add_u32 s2, s2, s0
	s_addc_u32 s3, s3, s1
	s_lshl_b64 s[0:1], s[12:13], 3
	v_mov_b32_e32 v7, v0
	s_add_u32 s0, s2, s0
	s_addc_u32 s1, s3, s1
	s_add_u32 s0, s10, s0
	s_addc_u32 s1, s11, s1
	v_add_co_u32 v1, s0, s0, v1
	s_delay_alu instid0(VALU_DEP_1) | instskip(SKIP_1) | instid1(VALU_DEP_2)
	v_add_co_ci_u32_e64 v2, null, s1, 0, s0
	s_mov_b32 s2, 0
	v_add_co_u32 v1, s0, v1, 4
	s_delay_alu instid0(VALU_DEP_1)
	v_add_co_ci_u32_e64 v2, s0, 0, v2, s0
	.p2align	6
.LBB153_4:                              ; =>This Inner Loop Header: Depth=1
	global_load_b64 v[8:9], v[1:2], off offset:-4
	ds_load_b64 v[10:11], v4
	v_add_co_u32 v1, s0, 0x2000, v1
	s_delay_alu instid0(VALU_DEP_1) | instskip(SKIP_4) | instid1(VALU_DEP_2)
	v_add_co_ci_u32_e64 v2, s0, 0, v2, s0
	v_add_nc_u32_e32 v4, 0x2000, v4
	s_waitcnt vmcnt(0) lgkmcnt(0)
	v_mul_f32_e32 v12, v9, v11
	v_mul_f32_e32 v9, v9, v10
	v_dual_fmac_f32 v12, v8, v10 :: v_dual_add_nc_u32 v7, 0x400, v7
	s_delay_alu instid0(VALU_DEP_2) | instskip(NEXT) | instid1(VALU_DEP_2)
	v_fma_f32 v8, v8, v11, -v9
	v_cmp_le_i32_e64 s1, s20, v7
	s_delay_alu instid0(VALU_DEP_3) | instskip(NEXT) | instid1(VALU_DEP_3)
	v_add_f32_e32 v6, v6, v12
	v_add_f32_e32 v5, v5, v8
	s_delay_alu instid0(VALU_DEP_3) | instskip(NEXT) | instid1(SALU_CYCLE_1)
	s_or_b32 s2, s1, s2
	s_and_not1_b32 exec_lo, exec_lo, s2
	s_cbranch_execnz .LBB153_4
; %bb.5:
	s_or_b32 exec_lo, exec_lo, s2
.LBB153_6:
	s_delay_alu instid0(SALU_CYCLE_1) | instskip(SKIP_2) | instid1(VALU_DEP_1)
	s_or_b32 exec_lo, exec_lo, s14
	v_mbcnt_lo_u32_b32 v1, -1, 0
	s_mov_b32 s1, exec_lo
	v_cmp_ne_u32_e64 s0, 31, v1
	s_delay_alu instid0(VALU_DEP_1) | instskip(SKIP_1) | instid1(VALU_DEP_2)
	v_add_co_ci_u32_e64 v2, s0, 0, v1, s0
	v_cmp_gt_u32_e64 s0, 30, v1
	v_lshlrev_b32_e32 v2, 2, v2
	s_delay_alu instid0(VALU_DEP_2)
	v_cndmask_b32_e64 v7, 0, 1, s0
	v_cmp_gt_u32_e64 s0, 28, v1
	ds_bpermute_b32 v4, v2, v6
	ds_bpermute_b32 v2, v2, v5
	s_waitcnt lgkmcnt(1)
	v_dual_add_f32 v4, v6, v4 :: v_dual_lshlrev_b32 v7, 1, v7
	s_delay_alu instid0(VALU_DEP_1)
	v_add_lshl_u32 v7, v7, v1, 2
	s_waitcnt lgkmcnt(0)
	v_add_f32_e32 v2, v5, v2
	ds_bpermute_b32 v5, v7, v4
	ds_bpermute_b32 v6, v7, v2
	v_cndmask_b32_e64 v7, 0, 1, s0
	v_cmp_gt_u32_e64 s0, 24, v1
	s_delay_alu instid0(VALU_DEP_2) | instskip(NEXT) | instid1(VALU_DEP_1)
	v_lshlrev_b32_e32 v7, 2, v7
	v_add_lshl_u32 v7, v7, v1, 2
	s_waitcnt lgkmcnt(1)
	v_add_f32_e32 v4, v4, v5
	s_waitcnt lgkmcnt(0)
	v_add_f32_e32 v2, v2, v6
	ds_bpermute_b32 v5, v7, v4
	ds_bpermute_b32 v6, v7, v2
	v_cndmask_b32_e64 v7, 0, 1, s0
	v_cmp_gt_u32_e64 s0, 16, v1
	s_delay_alu instid0(VALU_DEP_2) | instskip(NEXT) | instid1(VALU_DEP_1)
	v_lshlrev_b32_e32 v7, 3, v7
	v_add_lshl_u32 v7, v7, v1, 2
	s_waitcnt lgkmcnt(0)
	v_add_f32_e32 v2, v2, v6
	ds_bpermute_b32 v6, v7, v2
	v_add_f32_e32 v4, v4, v5
	ds_bpermute_b32 v5, v7, v4
	v_cndmask_b32_e64 v7, 0, 1, s0
	s_delay_alu instid0(VALU_DEP_1) | instskip(NEXT) | instid1(VALU_DEP_1)
	v_lshlrev_b32_e32 v7, 4, v7
	v_add_lshl_u32 v1, v7, v1, 2
	s_waitcnt lgkmcnt(0)
	v_dual_add_f32 v4, v4, v5 :: v_dual_add_f32 v5, v2, v6
	v_and_b32_e32 v6, 31, v0
	ds_bpermute_b32 v2, v1, v4
	ds_bpermute_b32 v1, v1, v5
	s_waitcnt lgkmcnt(0)
	v_dual_add_f32 v2, v4, v2 :: v_dual_add_f32 v1, v5, v1
	v_cmpx_eq_u32_e32 0, v6
	s_cbranch_execz .LBB153_8
; %bb.7:
	v_lshrrev_b32_e32 v4, 2, v0
	s_delay_alu instid0(VALU_DEP_1)
	v_add_nc_u32_e32 v4, 0, v4
	ds_store_2addr_b32 v4, v2, v1 offset1:1
.LBB153_8:
	s_or_b32 exec_lo, exec_lo, s1
	s_delay_alu instid0(SALU_CYCLE_1)
	s_mov_b32 s1, exec_lo
	s_waitcnt lgkmcnt(0)
	s_barrier
	buffer_gl0_inv
	v_cmpx_eq_u32_e32 0, v0
	s_cbranch_execz .LBB153_10
; %bb.9:
	v_mov_b32_e32 v16, 0
	ds_load_2addr_b64 v[4:7], v16 offset0:1 offset1:2
	ds_load_2addr_b64 v[8:11], v16 offset0:3 offset1:4
	s_waitcnt lgkmcnt(1)
	v_dual_add_f32 v1, v1, v5 :: v_dual_add_f32 v2, v2, v4
	ds_load_2addr_b64 v[12:15], v16 offset0:5 offset1:6
	v_dual_add_f32 v1, v1, v7 :: v_dual_add_f32 v2, v2, v6
	ds_load_2addr_b64 v[4:7], v16 offset0:7 offset1:8
	s_waitcnt lgkmcnt(2)
	v_dual_add_f32 v1, v1, v9 :: v_dual_add_f32 v2, v2, v8
	s_delay_alu instid0(VALU_DEP_1) | instskip(SKIP_3) | instid1(VALU_DEP_1)
	v_dual_add_f32 v1, v1, v11 :: v_dual_add_f32 v2, v2, v10
	ds_load_2addr_b64 v[8:11], v16 offset0:9 offset1:10
	s_waitcnt lgkmcnt(2)
	v_dual_add_f32 v1, v1, v13 :: v_dual_add_f32 v2, v2, v12
	v_dual_add_f32 v1, v1, v15 :: v_dual_add_f32 v2, v2, v14
	ds_load_2addr_b64 v[12:15], v16 offset0:11 offset1:12
	s_waitcnt lgkmcnt(2)
	v_dual_add_f32 v1, v1, v5 :: v_dual_add_f32 v2, v2, v4
	s_delay_alu instid0(VALU_DEP_1) | instskip(SKIP_3) | instid1(VALU_DEP_1)
	v_dual_add_f32 v1, v1, v7 :: v_dual_add_f32 v2, v2, v6
	ds_load_2addr_b64 v[4:7], v16 offset0:13 offset1:14
	s_waitcnt lgkmcnt(2)
	v_dual_add_f32 v1, v1, v9 :: v_dual_add_f32 v2, v2, v8
	v_dual_add_f32 v1, v1, v11 :: v_dual_add_f32 v2, v2, v10
	ds_load_2addr_b64 v[8:11], v16 offset0:15 offset1:16
	s_waitcnt lgkmcnt(2)
	v_dual_add_f32 v1, v1, v13 :: v_dual_add_f32 v2, v2, v12
	s_delay_alu instid0(VALU_DEP_1) | instskip(SKIP_3) | instid1(VALU_DEP_1)
	v_dual_add_f32 v1, v1, v15 :: v_dual_add_f32 v2, v2, v14
	ds_load_2addr_b64 v[12:15], v16 offset0:17 offset1:18
	s_waitcnt lgkmcnt(2)
	v_dual_add_f32 v1, v1, v5 :: v_dual_add_f32 v2, v2, v4
	v_dual_add_f32 v1, v1, v7 :: v_dual_add_f32 v2, v2, v6
	ds_load_2addr_b64 v[4:7], v16 offset0:19 offset1:20
	s_waitcnt lgkmcnt(2)
	v_dual_add_f32 v1, v1, v9 :: v_dual_add_f32 v2, v2, v8
	s_delay_alu instid0(VALU_DEP_1) | instskip(SKIP_3) | instid1(VALU_DEP_1)
	v_dual_add_f32 v1, v1, v11 :: v_dual_add_f32 v2, v2, v10
	ds_load_2addr_b64 v[8:11], v16 offset0:21 offset1:22
	s_waitcnt lgkmcnt(2)
	v_dual_add_f32 v1, v1, v13 :: v_dual_add_f32 v2, v2, v12
	v_dual_add_f32 v1, v1, v15 :: v_dual_add_f32 v2, v2, v14
	ds_load_2addr_b64 v[12:15], v16 offset0:23 offset1:24
	s_waitcnt lgkmcnt(2)
	v_dual_add_f32 v1, v1, v5 :: v_dual_add_f32 v2, v2, v4
	s_delay_alu instid0(VALU_DEP_1) | instskip(SKIP_3) | instid1(VALU_DEP_1)
	v_dual_add_f32 v1, v1, v7 :: v_dual_add_f32 v2, v2, v6
	ds_load_2addr_b64 v[4:7], v16 offset0:25 offset1:26
	s_waitcnt lgkmcnt(2)
	v_dual_add_f32 v1, v1, v9 :: v_dual_add_f32 v2, v2, v8
	v_dual_add_f32 v1, v1, v11 :: v_dual_add_f32 v2, v2, v10
	ds_load_2addr_b64 v[8:11], v16 offset0:27 offset1:28
	s_waitcnt lgkmcnt(2)
	v_dual_add_f32 v1, v1, v13 :: v_dual_add_f32 v2, v2, v12
	s_delay_alu instid0(VALU_DEP_1) | instskip(SKIP_3) | instid1(VALU_DEP_1)
	v_dual_add_f32 v1, v1, v15 :: v_dual_add_f32 v2, v2, v14
	ds_load_2addr_b64 v[12:15], v16 offset0:29 offset1:30
	s_waitcnt lgkmcnt(2)
	v_dual_add_f32 v1, v1, v5 :: v_dual_add_f32 v2, v2, v4
	v_dual_add_f32 v5, v1, v7 :: v_dual_add_f32 v4, v2, v6
	ds_load_b64 v[1:2], v16 offset:248
	s_waitcnt lgkmcnt(2)
	v_dual_add_f32 v5, v5, v9 :: v_dual_add_f32 v4, v4, v8
	s_delay_alu instid0(VALU_DEP_1) | instskip(SKIP_1) | instid1(VALU_DEP_1)
	v_dual_add_f32 v5, v5, v11 :: v_dual_add_f32 v4, v4, v10
	s_waitcnt lgkmcnt(1)
	v_dual_add_f32 v5, v5, v13 :: v_dual_add_f32 v4, v4, v12
	s_delay_alu instid0(VALU_DEP_1) | instskip(SKIP_1) | instid1(VALU_DEP_1)
	v_dual_add_f32 v5, v5, v15 :: v_dual_add_f32 v4, v4, v14
	s_waitcnt lgkmcnt(0)
	v_dual_add_f32 v2, v5, v2 :: v_dual_add_f32 v1, v4, v1
	ds_store_b64 v16, v[1:2]
.LBB153_10:
	s_or_b32 exec_lo, exec_lo, s1
	s_waitcnt lgkmcnt(0)
	s_barrier
	buffer_gl0_inv
	s_and_saveexec_b32 s0, vcc_lo
	s_cbranch_execz .LBB153_13
; %bb.11:
	s_mul_i32 s0, s15, s9
	s_mul_hi_u32 s1, s15, s8
	s_mul_i32 s2, s24, s8
	s_add_i32 s0, s1, s0
	v_mov_b32_e32 v1, 0
	s_add_i32 s1, s0, s2
	s_mul_i32 s0, s15, s8
	v_add3_u32 v4, v3, 0, 0x100
	s_lshl_b64 s[0:1], s[0:1], 3
	ds_load_b64 v[1:2], v1
	s_add_u32 s0, s6, s0
	s_addc_u32 s1, s7, s1
	s_add_i32 s2, s22, s21
	s_load_b64 s[0:1], s[0:1], 0x0
	s_add_i32 s17, s2, s23
	s_lshl_b64 s[2:3], s[18:19], 3
	s_lshl_b64 s[4:5], s[16:17], 3
	s_delay_alu instid0(SALU_CYCLE_1) | instskip(SKIP_2) | instid1(SALU_CYCLE_1)
	s_add_u32 s4, s4, s2
	s_addc_u32 s5, s5, s3
	s_lshl_b64 s[2:3], s[12:13], 3
	s_add_u32 s2, s4, s2
	s_addc_u32 s3, s5, s3
	s_add_u32 s2, s10, s2
	s_addc_u32 s3, s11, s3
	s_waitcnt lgkmcnt(0)
	v_dual_mul_f32 v5, s1, v2 :: v_dual_mul_f32 v6, s1, v1
	v_add_co_u32 v7, s1, s2, v3
	s_delay_alu instid0(VALU_DEP_1) | instskip(NEXT) | instid1(VALU_DEP_3)
	v_add_co_ci_u32_e64 v8, null, s3, 0, s1
	v_fma_f32 v3, v1, -s0, -v5
	s_delay_alu instid0(VALU_DEP_3) | instskip(SKIP_1) | instid1(VALU_DEP_4)
	v_add_co_u32 v1, vcc_lo, v7, 4
	v_fma_f32 v5, s0, v2, -v6
	v_add_co_ci_u32_e32 v2, vcc_lo, 0, v8, vcc_lo
	s_mov_b32 s1, 0
	.p2align	6
.LBB153_12:                             ; =>This Inner Loop Header: Depth=1
	global_load_b64 v[6:7], v[1:2], off offset:-4
	ds_load_b64 v[8:9], v4
	v_add_nc_u32_e32 v0, 0x400, v0
	v_add_nc_u32_e32 v4, 0x2000, v4
	s_delay_alu instid0(VALU_DEP_2) | instskip(SKIP_4) | instid1(VALU_DEP_2)
	v_cmp_le_i32_e32 vcc_lo, s20, v0
	s_or_b32 s1, vcc_lo, s1
	s_waitcnt lgkmcnt(0)
	v_mul_f32_e32 v10, v5, v9
	v_mul_f32_e32 v9, v3, v9
	v_fma_f32 v10, v3, v8, -v10
	s_waitcnt vmcnt(0)
	s_delay_alu instid0(VALU_DEP_1) | instskip(NEXT) | instid1(VALU_DEP_1)
	v_dual_fmac_f32 v9, v5, v8 :: v_dual_add_f32 v6, v6, v10
	v_add_f32_e32 v7, v7, v9
	global_store_b64 v[1:2], v[6:7], off offset:-4
	v_add_co_u32 v1, s0, 0x2000, v1
	s_delay_alu instid0(VALU_DEP_1)
	v_add_co_ci_u32_e64 v2, s0, 0, v2, s0
	s_and_not1_b32 exec_lo, exec_lo, s1
	s_cbranch_execnz .LBB153_12
.LBB153_13:
	s_nop 0
	s_sendmsg sendmsg(MSG_DEALLOC_VGPRS)
	s_endpgm
	.section	.rodata,"a",@progbits
	.p2align	6, 0x0
	.amdhsa_kernel _ZN9rocsolver6v33100L16larf_left_kernelILi1024E19rocblas_complex_numIfEiPS3_EEvT1_S5_T2_lS5_lPKT0_lS6_lS5_l
		.amdhsa_group_segment_fixed_size 0
		.amdhsa_private_segment_fixed_size 0
		.amdhsa_kernarg_size 88
		.amdhsa_user_sgpr_count 13
		.amdhsa_user_sgpr_dispatch_ptr 0
		.amdhsa_user_sgpr_queue_ptr 0
		.amdhsa_user_sgpr_kernarg_segment_ptr 1
		.amdhsa_user_sgpr_dispatch_id 0
		.amdhsa_user_sgpr_private_segment_size 0
		.amdhsa_wavefront_size32 1
		.amdhsa_uses_dynamic_stack 0
		.amdhsa_enable_private_segment 0
		.amdhsa_system_sgpr_workgroup_id_x 1
		.amdhsa_system_sgpr_workgroup_id_y 1
		.amdhsa_system_sgpr_workgroup_id_z 1
		.amdhsa_system_sgpr_workgroup_info 0
		.amdhsa_system_vgpr_workitem_id 0
		.amdhsa_next_free_vgpr 17
		.amdhsa_next_free_sgpr 31
		.amdhsa_reserve_vcc 1
		.amdhsa_float_round_mode_32 0
		.amdhsa_float_round_mode_16_64 0
		.amdhsa_float_denorm_mode_32 3
		.amdhsa_float_denorm_mode_16_64 3
		.amdhsa_dx10_clamp 1
		.amdhsa_ieee_mode 1
		.amdhsa_fp16_overflow 0
		.amdhsa_workgroup_processor_mode 1
		.amdhsa_memory_ordered 1
		.amdhsa_forward_progress 0
		.amdhsa_shared_vgpr_count 0
		.amdhsa_exception_fp_ieee_invalid_op 0
		.amdhsa_exception_fp_denorm_src 0
		.amdhsa_exception_fp_ieee_div_zero 0
		.amdhsa_exception_fp_ieee_overflow 0
		.amdhsa_exception_fp_ieee_underflow 0
		.amdhsa_exception_fp_ieee_inexact 0
		.amdhsa_exception_int_div_zero 0
	.end_amdhsa_kernel
	.section	.text._ZN9rocsolver6v33100L16larf_left_kernelILi1024E19rocblas_complex_numIfEiPS3_EEvT1_S5_T2_lS5_lPKT0_lS6_lS5_l,"axG",@progbits,_ZN9rocsolver6v33100L16larf_left_kernelILi1024E19rocblas_complex_numIfEiPS3_EEvT1_S5_T2_lS5_lPKT0_lS6_lS5_l,comdat
.Lfunc_end153:
	.size	_ZN9rocsolver6v33100L16larf_left_kernelILi1024E19rocblas_complex_numIfEiPS3_EEvT1_S5_T2_lS5_lPKT0_lS6_lS5_l, .Lfunc_end153-_ZN9rocsolver6v33100L16larf_left_kernelILi1024E19rocblas_complex_numIfEiPS3_EEvT1_S5_T2_lS5_lPKT0_lS6_lS5_l
                                        ; -- End function
	.section	.AMDGPU.csdata,"",@progbits
; Kernel info:
; codeLenInByte = 1824
; NumSgprs: 33
; NumVgprs: 17
; ScratchSize: 0
; MemoryBound: 0
; FloatMode: 240
; IeeeMode: 1
; LDSByteSize: 0 bytes/workgroup (compile time only)
; SGPRBlocks: 4
; VGPRBlocks: 2
; NumSGPRsForWavesPerEU: 33
; NumVGPRsForWavesPerEU: 17
; Occupancy: 16
; WaveLimiterHint : 0
; COMPUTE_PGM_RSRC2:SCRATCH_EN: 0
; COMPUTE_PGM_RSRC2:USER_SGPR: 13
; COMPUTE_PGM_RSRC2:TRAP_HANDLER: 0
; COMPUTE_PGM_RSRC2:TGID_X_EN: 1
; COMPUTE_PGM_RSRC2:TGID_Y_EN: 1
; COMPUTE_PGM_RSRC2:TGID_Z_EN: 1
; COMPUTE_PGM_RSRC2:TIDIG_COMP_CNT: 0
	.section	.text._ZN9rocsolver6v33100L17larf_right_kernelILi1024E19rocblas_complex_numIfEiPS3_EEvT1_S5_T2_lS5_lPKT0_lS6_lS5_l,"axG",@progbits,_ZN9rocsolver6v33100L17larf_right_kernelILi1024E19rocblas_complex_numIfEiPS3_EEvT1_S5_T2_lS5_lPKT0_lS6_lS5_l,comdat
	.globl	_ZN9rocsolver6v33100L17larf_right_kernelILi1024E19rocblas_complex_numIfEiPS3_EEvT1_S5_T2_lS5_lPKT0_lS6_lS5_l ; -- Begin function _ZN9rocsolver6v33100L17larf_right_kernelILi1024E19rocblas_complex_numIfEiPS3_EEvT1_S5_T2_lS5_lPKT0_lS6_lS5_l
	.p2align	8
	.type	_ZN9rocsolver6v33100L17larf_right_kernelILi1024E19rocblas_complex_numIfEiPS3_EEvT1_S5_T2_lS5_lPKT0_lS6_lS5_l,@function
_ZN9rocsolver6v33100L17larf_right_kernelILi1024E19rocblas_complex_numIfEiPS3_EEvT1_S5_T2_lS5_lPKT0_lS6_lS5_l: ; @_ZN9rocsolver6v33100L17larf_right_kernelILi1024E19rocblas_complex_numIfEiPS3_EEvT1_S5_T2_lS5_lPKT0_lS6_lS5_l
; %bb.0:
	s_clause 0x4
	s_load_b32 s24, s[0:1], 0x4
	s_load_b64 s[16:17], s[0:1], 0x50
	s_load_b64 s[20:21], s[0:1], 0x40
	s_load_b32 s12, s[0:1], 0x48
	s_load_b256 s[4:11], s[0:1], 0x20
	v_dual_mov_b32 v5, 0 :: v_dual_mov_b32 v6, 0
	v_lshlrev_b32_e32 v3, 3, v0
	s_mov_b32 s2, s15
	s_ashr_i32 s27, s15, 31
	s_mov_b32 s13, 0
	s_ashr_i32 s15, s14, 31
	s_waitcnt lgkmcnt(0)
	v_cmp_gt_i32_e32 vcc_lo, s24, v0
	s_mul_i32 s3, s16, s27
	s_mul_hi_u32 s26, s16, s2
	s_mul_i32 s25, s17, s2
	s_mul_i32 s22, s16, s2
	s_and_saveexec_b32 s28, vcc_lo
	s_cbranch_execz .LBB154_6
; %bb.1:
	s_clause 0x1
	s_load_b32 s30, s[0:1], 0x18
	s_load_b128 s[16:19], s[0:1], 0x8
	s_sub_i32 s1, 1, s24
	s_mul_i32 s23, s4, s27
	s_mul_hi_u32 s33, s4, s2
	s_mul_i32 s0, s4, s2
	s_mul_i32 s34, s5, s2
	v_add3_u32 v4, v3, 0, 0x100
	v_mov_b32_e32 v6, v0
	s_delay_alu instid0(VALU_DEP_2)
	v_mov_b32_e32 v5, v4
	s_waitcnt lgkmcnt(0)
	s_ashr_i32 s31, s30, 31
	v_mad_i64_i32 v[1:2], null, s30, v0, 0
	v_cmp_lt_i64_e64 s29, s[30:31], 1
	s_mul_i32 s1, s1, s30
	s_delay_alu instid0(VALU_DEP_1)
	s_and_b32 s4, s29, exec_lo
	s_cselect_b32 s4, s1, 0
	s_add_i32 s1, s33, s23
	s_ashr_i32 s5, s4, 31
	s_add_i32 s1, s1, s34
	s_lshl_b64 s[4:5], s[4:5], 3
	s_lshl_b64 s[18:19], s[18:19], 3
	;; [unrolled: 1-line block ×3, first 2 shown]
	v_lshlrev_b64 v[1:2], 3, v[1:2]
	s_add_u32 s4, s16, s4
	s_addc_u32 s5, s17, s5
	s_add_u32 s4, s4, s18
	s_addc_u32 s5, s5, s19
	;; [unrolled: 2-line block ×3, first 2 shown]
	v_add_co_u32 v1, s0, s0, v1
	s_delay_alu instid0(VALU_DEP_1)
	v_add_co_ci_u32_e64 v2, s0, s1, v2, s0
	s_lshl_b64 s[4:5], s[30:31], 13
	.p2align	6
.LBB154_2:                              ; =>This Inner Loop Header: Depth=1
	global_load_b64 v[7:8], v[1:2], off
	v_add_nc_u32_e32 v6, 0x400, v6
	v_add_co_u32 v1, s0, v1, s4
	s_delay_alu instid0(VALU_DEP_1) | instskip(NEXT) | instid1(VALU_DEP_3)
	v_add_co_ci_u32_e64 v2, s0, s5, v2, s0
	v_cmp_le_i32_e64 s1, s24, v6
	s_delay_alu instid0(VALU_DEP_1)
	s_or_b32 s13, s1, s13
	s_waitcnt vmcnt(0)
	ds_store_b64 v5, v[7:8]
	v_add_nc_u32_e32 v5, 0x2000, v5
	s_and_not1_b32 exec_lo, exec_lo, s13
	s_cbranch_execnz .LBB154_2
; %bb.3:
	s_or_b32 exec_lo, exec_lo, s13
	v_mad_i64_i32 v[1:2], null, s12, v0, 0
	s_add_i32 s4, s26, s3
	s_ashr_i32 s13, s12, 31
	s_add_i32 s23, s4, s25
	s_lshl_b64 s[4:5], s[14:15], 3
	s_lshl_b64 s[0:1], s[20:21], 3
	;; [unrolled: 1-line block ×3, first 2 shown]
	s_delay_alu instid0(VALU_DEP_1)
	v_lshlrev_b64 v[1:2], 3, v[1:2]
	s_add_u32 s4, s10, s4
	s_addc_u32 s5, s11, s5
	s_add_u32 s0, s4, s0
	s_addc_u32 s1, s5, s1
	;; [unrolled: 2-line block ×3, first 2 shown]
	v_add_co_u32 v1, s0, s0, v1
	s_delay_alu instid0(VALU_DEP_1)
	v_add_co_ci_u32_e64 v2, s0, s1, v2, s0
	v_dual_mov_b32 v5, 0 :: v_dual_mov_b32 v6, 0
	v_mov_b32_e32 v7, v0
	s_lshl_b64 s[4:5], s[12:13], 13
	s_mov_b32 s13, 0
	.p2align	6
.LBB154_4:                              ; =>This Inner Loop Header: Depth=1
	global_load_b64 v[8:9], v[1:2], off
	ds_load_b64 v[10:11], v4
	v_add_nc_u32_e32 v7, 0x400, v7
	v_add_co_u32 v1, s0, v1, s4
	s_delay_alu instid0(VALU_DEP_1)
	v_add_co_ci_u32_e64 v2, s0, s5, v2, s0
	v_add_nc_u32_e32 v4, 0x2000, v4
	s_waitcnt vmcnt(0) lgkmcnt(0)
	v_mul_f32_e32 v12, v11, v9
	v_mul_f32_e32 v9, v10, v9
	v_cmp_le_i32_e64 s1, s24, v7
	s_delay_alu instid0(VALU_DEP_3) | instskip(NEXT) | instid1(VALU_DEP_3)
	v_fma_f32 v10, v10, v8, -v12
	v_fmac_f32_e32 v9, v11, v8
	s_delay_alu instid0(VALU_DEP_3) | instskip(NEXT) | instid1(VALU_DEP_1)
	s_or_b32 s13, s1, s13
	v_dual_add_f32 v6, v6, v10 :: v_dual_add_f32 v5, v5, v9
	s_and_not1_b32 exec_lo, exec_lo, s13
	s_cbranch_execnz .LBB154_4
; %bb.5:
	s_or_b32 exec_lo, exec_lo, s13
.LBB154_6:
	s_delay_alu instid0(SALU_CYCLE_1) | instskip(SKIP_2) | instid1(VALU_DEP_1)
	s_or_b32 exec_lo, exec_lo, s28
	v_mbcnt_lo_u32_b32 v1, -1, 0
	s_mov_b32 s1, exec_lo
	v_cmp_ne_u32_e64 s0, 31, v1
	s_delay_alu instid0(VALU_DEP_1) | instskip(SKIP_1) | instid1(VALU_DEP_2)
	v_add_co_ci_u32_e64 v2, s0, 0, v1, s0
	v_cmp_gt_u32_e64 s0, 30, v1
	v_lshlrev_b32_e32 v2, 2, v2
	s_delay_alu instid0(VALU_DEP_2)
	v_cndmask_b32_e64 v7, 0, 1, s0
	v_cmp_gt_u32_e64 s0, 28, v1
	ds_bpermute_b32 v4, v2, v6
	ds_bpermute_b32 v2, v2, v5
	s_waitcnt lgkmcnt(1)
	v_dual_add_f32 v4, v6, v4 :: v_dual_lshlrev_b32 v7, 1, v7
	s_delay_alu instid0(VALU_DEP_1)
	v_add_lshl_u32 v7, v7, v1, 2
	s_waitcnt lgkmcnt(0)
	v_add_f32_e32 v2, v5, v2
	ds_bpermute_b32 v5, v7, v4
	ds_bpermute_b32 v6, v7, v2
	v_cndmask_b32_e64 v7, 0, 1, s0
	v_cmp_gt_u32_e64 s0, 24, v1
	s_delay_alu instid0(VALU_DEP_2) | instskip(NEXT) | instid1(VALU_DEP_1)
	v_lshlrev_b32_e32 v7, 2, v7
	v_add_lshl_u32 v7, v7, v1, 2
	s_waitcnt lgkmcnt(1)
	v_add_f32_e32 v4, v4, v5
	s_waitcnt lgkmcnt(0)
	v_add_f32_e32 v2, v2, v6
	ds_bpermute_b32 v5, v7, v4
	ds_bpermute_b32 v6, v7, v2
	v_cndmask_b32_e64 v7, 0, 1, s0
	v_cmp_gt_u32_e64 s0, 16, v1
	s_delay_alu instid0(VALU_DEP_2) | instskip(NEXT) | instid1(VALU_DEP_1)
	v_lshlrev_b32_e32 v7, 3, v7
	v_add_lshl_u32 v7, v7, v1, 2
	s_waitcnt lgkmcnt(0)
	v_add_f32_e32 v2, v2, v6
	ds_bpermute_b32 v6, v7, v2
	v_add_f32_e32 v4, v4, v5
	ds_bpermute_b32 v5, v7, v4
	v_cndmask_b32_e64 v7, 0, 1, s0
	s_delay_alu instid0(VALU_DEP_1) | instskip(NEXT) | instid1(VALU_DEP_1)
	v_lshlrev_b32_e32 v7, 4, v7
	v_add_lshl_u32 v1, v7, v1, 2
	s_waitcnt lgkmcnt(0)
	v_dual_add_f32 v4, v4, v5 :: v_dual_add_f32 v5, v2, v6
	v_and_b32_e32 v6, 31, v0
	ds_bpermute_b32 v2, v1, v4
	ds_bpermute_b32 v1, v1, v5
	s_waitcnt lgkmcnt(0)
	v_dual_add_f32 v2, v4, v2 :: v_dual_add_f32 v1, v5, v1
	v_cmpx_eq_u32_e32 0, v6
	s_cbranch_execz .LBB154_8
; %bb.7:
	v_lshrrev_b32_e32 v4, 2, v0
	s_delay_alu instid0(VALU_DEP_1)
	v_add_nc_u32_e32 v4, 0, v4
	ds_store_2addr_b32 v4, v2, v1 offset1:1
.LBB154_8:
	s_or_b32 exec_lo, exec_lo, s1
	s_delay_alu instid0(SALU_CYCLE_1)
	s_mov_b32 s1, exec_lo
	s_waitcnt lgkmcnt(0)
	s_barrier
	buffer_gl0_inv
	v_cmpx_eq_u32_e32 0, v0
	s_cbranch_execz .LBB154_10
; %bb.9:
	v_mov_b32_e32 v16, 0
	ds_load_2addr_b64 v[4:7], v16 offset0:1 offset1:2
	ds_load_2addr_b64 v[8:11], v16 offset0:3 offset1:4
	s_waitcnt lgkmcnt(1)
	v_dual_add_f32 v1, v1, v5 :: v_dual_add_f32 v2, v2, v4
	ds_load_2addr_b64 v[12:15], v16 offset0:5 offset1:6
	v_dual_add_f32 v1, v1, v7 :: v_dual_add_f32 v2, v2, v6
	ds_load_2addr_b64 v[4:7], v16 offset0:7 offset1:8
	s_waitcnt lgkmcnt(2)
	v_dual_add_f32 v1, v1, v9 :: v_dual_add_f32 v2, v2, v8
	s_delay_alu instid0(VALU_DEP_1) | instskip(SKIP_3) | instid1(VALU_DEP_1)
	v_dual_add_f32 v1, v1, v11 :: v_dual_add_f32 v2, v2, v10
	ds_load_2addr_b64 v[8:11], v16 offset0:9 offset1:10
	s_waitcnt lgkmcnt(2)
	v_dual_add_f32 v1, v1, v13 :: v_dual_add_f32 v2, v2, v12
	v_dual_add_f32 v1, v1, v15 :: v_dual_add_f32 v2, v2, v14
	ds_load_2addr_b64 v[12:15], v16 offset0:11 offset1:12
	s_waitcnt lgkmcnt(2)
	v_dual_add_f32 v1, v1, v5 :: v_dual_add_f32 v2, v2, v4
	s_delay_alu instid0(VALU_DEP_1) | instskip(SKIP_3) | instid1(VALU_DEP_1)
	v_dual_add_f32 v1, v1, v7 :: v_dual_add_f32 v2, v2, v6
	ds_load_2addr_b64 v[4:7], v16 offset0:13 offset1:14
	s_waitcnt lgkmcnt(2)
	v_dual_add_f32 v1, v1, v9 :: v_dual_add_f32 v2, v2, v8
	;; [unrolled: 9-line block ×6, first 2 shown]
	v_dual_add_f32 v5, v1, v7 :: v_dual_add_f32 v4, v2, v6
	ds_load_b64 v[1:2], v16 offset:248
	s_waitcnt lgkmcnt(2)
	v_dual_add_f32 v5, v5, v9 :: v_dual_add_f32 v4, v4, v8
	s_delay_alu instid0(VALU_DEP_1) | instskip(SKIP_1) | instid1(VALU_DEP_1)
	v_dual_add_f32 v5, v5, v11 :: v_dual_add_f32 v4, v4, v10
	s_waitcnt lgkmcnt(1)
	v_dual_add_f32 v5, v5, v13 :: v_dual_add_f32 v4, v4, v12
	s_delay_alu instid0(VALU_DEP_1) | instskip(SKIP_1) | instid1(VALU_DEP_1)
	v_dual_add_f32 v5, v5, v15 :: v_dual_add_f32 v4, v4, v14
	s_waitcnt lgkmcnt(0)
	v_dual_add_f32 v2, v5, v2 :: v_dual_add_f32 v1, v4, v1
	ds_store_b64 v16, v[1:2]
.LBB154_10:
	s_or_b32 exec_lo, exec_lo, s1
	s_waitcnt lgkmcnt(0)
	s_barrier
	buffer_gl0_inv
	s_and_saveexec_b32 s0, vcc_lo
	s_cbranch_execz .LBB154_13
; %bb.11:
	s_mul_i32 s0, s2, s9
	s_mul_hi_u32 s1, s2, s8
	s_mul_i32 s4, s27, s8
	s_add_i32 s0, s1, s0
	v_mov_b32_e32 v1, 0
	s_add_i32 s1, s0, s4
	s_mul_i32 s0, s2, s8
	v_mad_i64_i32 v[4:5], null, s12, v0, 0
	s_lshl_b64 s[0:1], s[0:1], 3
	ds_load_b64 v[1:2], v1
	s_add_u32 s0, s6, s0
	s_addc_u32 s1, s7, s1
	s_add_i32 s4, s26, s3
	s_load_b64 s[0:1], s[0:1], 0x0
	s_add_i32 s23, s4, s25
	s_lshl_b64 s[4:5], s[14:15], 3
	s_ashr_i32 s13, s12, 31
	s_lshl_b64 s[2:3], s[20:21], 3
	s_lshl_b64 s[6:7], s[22:23], 3
	v_lshlrev_b64 v[4:5], 3, v[4:5]
	s_add_u32 s4, s10, s4
	s_addc_u32 s5, s11, s5
	s_add_u32 s2, s4, s2
	s_addc_u32 s3, s5, s3
	;; [unrolled: 2-line block ×3, first 2 shown]
	v_add_co_u32 v8, vcc_lo, s2, v4
	v_add_co_ci_u32_e32 v9, vcc_lo, s3, v5, vcc_lo
	v_add3_u32 v3, v3, 0, 0x100
	s_lshl_b64 s[2:3], s[12:13], 13
	s_waitcnt lgkmcnt(0)
	v_dual_mul_f32 v6, s0, v1 :: v_dual_mul_f32 v7, s0, v2
	s_delay_alu instid0(VALU_DEP_1) | instskip(NEXT) | instid1(VALU_DEP_2)
	v_fma_f32 v4, s1, v2, -v6
	v_fma_f32 v5, v1, -s1, -v7
	v_add_co_u32 v1, vcc_lo, v8, 4
	v_add_co_ci_u32_e32 v2, vcc_lo, 0, v9, vcc_lo
	s_mov_b32 s1, 0
	.p2align	6
.LBB154_12:                             ; =>This Inner Loop Header: Depth=1
	global_load_b64 v[6:7], v[1:2], off offset:-4
	ds_load_b64 v[8:9], v3
	v_add_nc_u32_e32 v0, 0x400, v0
	v_add_nc_u32_e32 v3, 0x2000, v3
	s_delay_alu instid0(VALU_DEP_2) | instskip(SKIP_4) | instid1(VALU_DEP_2)
	v_cmp_le_i32_e32 vcc_lo, s24, v0
	s_or_b32 s1, vcc_lo, s1
	s_waitcnt lgkmcnt(0)
	v_mul_f32_e32 v10, v5, v9
	v_mul_f32_e32 v9, v4, v9
	v_fmac_f32_e32 v10, v4, v8
	s_delay_alu instid0(VALU_DEP_2) | instskip(SKIP_1) | instid1(VALU_DEP_1)
	v_fma_f32 v8, v5, v8, -v9
	s_waitcnt vmcnt(0)
	v_dual_add_f32 v6, v6, v10 :: v_dual_add_f32 v7, v7, v8
	global_store_b64 v[1:2], v[6:7], off offset:-4
	v_add_co_u32 v1, s0, v1, s2
	s_delay_alu instid0(VALU_DEP_1)
	v_add_co_ci_u32_e64 v2, s0, s3, v2, s0
	s_and_not1_b32 exec_lo, exec_lo, s1
	s_cbranch_execnz .LBB154_12
.LBB154_13:
	s_nop 0
	s_sendmsg sendmsg(MSG_DEALLOC_VGPRS)
	s_endpgm
	.section	.rodata,"a",@progbits
	.p2align	6, 0x0
	.amdhsa_kernel _ZN9rocsolver6v33100L17larf_right_kernelILi1024E19rocblas_complex_numIfEiPS3_EEvT1_S5_T2_lS5_lPKT0_lS6_lS5_l
		.amdhsa_group_segment_fixed_size 0
		.amdhsa_private_segment_fixed_size 0
		.amdhsa_kernarg_size 88
		.amdhsa_user_sgpr_count 13
		.amdhsa_user_sgpr_dispatch_ptr 0
		.amdhsa_user_sgpr_queue_ptr 0
		.amdhsa_user_sgpr_kernarg_segment_ptr 1
		.amdhsa_user_sgpr_dispatch_id 0
		.amdhsa_user_sgpr_private_segment_size 0
		.amdhsa_wavefront_size32 1
		.amdhsa_uses_dynamic_stack 0
		.amdhsa_enable_private_segment 0
		.amdhsa_system_sgpr_workgroup_id_x 1
		.amdhsa_system_sgpr_workgroup_id_y 1
		.amdhsa_system_sgpr_workgroup_id_z 1
		.amdhsa_system_sgpr_workgroup_info 0
		.amdhsa_system_vgpr_workitem_id 0
		.amdhsa_next_free_vgpr 17
		.amdhsa_next_free_sgpr 35
		.amdhsa_reserve_vcc 1
		.amdhsa_float_round_mode_32 0
		.amdhsa_float_round_mode_16_64 0
		.amdhsa_float_denorm_mode_32 3
		.amdhsa_float_denorm_mode_16_64 3
		.amdhsa_dx10_clamp 1
		.amdhsa_ieee_mode 1
		.amdhsa_fp16_overflow 0
		.amdhsa_workgroup_processor_mode 1
		.amdhsa_memory_ordered 1
		.amdhsa_forward_progress 0
		.amdhsa_shared_vgpr_count 0
		.amdhsa_exception_fp_ieee_invalid_op 0
		.amdhsa_exception_fp_denorm_src 0
		.amdhsa_exception_fp_ieee_div_zero 0
		.amdhsa_exception_fp_ieee_overflow 0
		.amdhsa_exception_fp_ieee_underflow 0
		.amdhsa_exception_fp_ieee_inexact 0
		.amdhsa_exception_int_div_zero 0
	.end_amdhsa_kernel
	.section	.text._ZN9rocsolver6v33100L17larf_right_kernelILi1024E19rocblas_complex_numIfEiPS3_EEvT1_S5_T2_lS5_lPKT0_lS6_lS5_l,"axG",@progbits,_ZN9rocsolver6v33100L17larf_right_kernelILi1024E19rocblas_complex_numIfEiPS3_EEvT1_S5_T2_lS5_lPKT0_lS6_lS5_l,comdat
.Lfunc_end154:
	.size	_ZN9rocsolver6v33100L17larf_right_kernelILi1024E19rocblas_complex_numIfEiPS3_EEvT1_S5_T2_lS5_lPKT0_lS6_lS5_l, .Lfunc_end154-_ZN9rocsolver6v33100L17larf_right_kernelILi1024E19rocblas_complex_numIfEiPS3_EEvT1_S5_T2_lS5_lPKT0_lS6_lS5_l
                                        ; -- End function
	.section	.AMDGPU.csdata,"",@progbits
; Kernel info:
; codeLenInByte = 1828
; NumSgprs: 37
; NumVgprs: 17
; ScratchSize: 0
; MemoryBound: 0
; FloatMode: 240
; IeeeMode: 1
; LDSByteSize: 0 bytes/workgroup (compile time only)
; SGPRBlocks: 4
; VGPRBlocks: 2
; NumSGPRsForWavesPerEU: 37
; NumVGPRsForWavesPerEU: 17
; Occupancy: 16
; WaveLimiterHint : 0
; COMPUTE_PGM_RSRC2:SCRATCH_EN: 0
; COMPUTE_PGM_RSRC2:USER_SGPR: 13
; COMPUTE_PGM_RSRC2:TRAP_HANDLER: 0
; COMPUTE_PGM_RSRC2:TGID_X_EN: 1
; COMPUTE_PGM_RSRC2:TGID_Y_EN: 1
; COMPUTE_PGM_RSRC2:TGID_Z_EN: 1
; COMPUTE_PGM_RSRC2:TIDIG_COMP_CNT: 0
	.section	.text._ZN9rocsolver6v33100L12restore_diagI19rocblas_complex_numIfEiS3_PS3_EEvPT1_llT2_lT0_lS8_,"axG",@progbits,_ZN9rocsolver6v33100L12restore_diagI19rocblas_complex_numIfEiS3_PS3_EEvPT1_llT2_lT0_lS8_,comdat
	.globl	_ZN9rocsolver6v33100L12restore_diagI19rocblas_complex_numIfEiS3_PS3_EEvPT1_llT2_lT0_lS8_ ; -- Begin function _ZN9rocsolver6v33100L12restore_diagI19rocblas_complex_numIfEiS3_PS3_EEvPT1_llT2_lT0_lS8_
	.p2align	8
	.type	_ZN9rocsolver6v33100L12restore_diagI19rocblas_complex_numIfEiS3_PS3_EEvPT1_llT2_lT0_lS8_,@function
_ZN9rocsolver6v33100L12restore_diagI19rocblas_complex_numIfEiS3_PS3_EEvPT1_llT2_lT0_lS8_: ; @_ZN9rocsolver6v33100L12restore_diagI19rocblas_complex_numIfEiS3_PS3_EEvPT1_llT2_lT0_lS8_
; %bb.0:
	s_clause 0x1
	s_load_b32 s2, s[0:1], 0x4c
	s_load_b32 s3, s[0:1], 0x38
	v_bfe_u32 v2, v0, 10, 10
	s_waitcnt lgkmcnt(0)
	s_lshr_b32 s2, s2, 16
	s_delay_alu instid0(VALU_DEP_1) | instid1(SALU_CYCLE_1)
	v_mad_u64_u32 v[0:1], null, s15, s2, v[2:3]
	s_mov_b32 s2, exec_lo
	s_delay_alu instid0(VALU_DEP_1)
	v_cmpx_gt_i32_e64 s3, v0
	s_cbranch_execz .LBB155_2
; %bb.1:
	s_clause 0x3
	s_load_b64 s[2:3], s[0:1], 0x30
	s_load_b256 s[4:11], s[0:1], 0x0
	s_load_b32 s12, s[0:1], 0x28
	s_load_b64 s[0:1], s[0:1], 0x20
	s_ashr_i32 s13, s14, 31
	s_waitcnt lgkmcnt(0)
	s_mul_i32 s3, s14, s3
	s_mul_hi_u32 s15, s14, s2
	s_mul_i32 s16, s13, s2
	s_add_i32 s3, s15, s3
	s_mul_i32 s2, s14, s2
	s_add_i32 s3, s3, s16
	s_mul_i32 s9, s14, s9
	s_lshl_b64 s[2:3], s[2:3], 3
	s_mul_hi_u32 s15, s14, s8
	s_add_u32 s2, s10, s2
	s_addc_u32 s3, s11, s3
	s_lshl_b64 s[0:1], s[0:1], 3
	s_mul_i32 s13, s13, s8
	s_add_u32 s2, s2, s0
	v_mad_u64_u32 v[2:3], null, v0, s12, v[0:1]
	v_ashrrev_i32_e32 v1, 31, v0
	s_addc_u32 s3, s3, s1
	s_add_i32 s1, s15, s9
	s_mul_i32 s0, s14, s8
	s_add_i32 s1, s1, s13
	v_lshlrev_b64 v[0:1], 3, v[0:1]
	s_lshl_b64 s[0:1], s[0:1], 3
	v_ashrrev_i32_e32 v3, 31, v2
	s_add_u32 s4, s4, s0
	s_addc_u32 s5, s5, s1
	s_lshl_b64 s[0:1], s[6:7], 3
	s_delay_alu instid0(SALU_CYCLE_1)
	s_add_u32 s0, s4, s0
	s_addc_u32 s1, s5, s1
	v_add_co_u32 v0, vcc_lo, s0, v0
	v_add_co_ci_u32_e32 v1, vcc_lo, s1, v1, vcc_lo
	v_lshlrev_b64 v[2:3], 3, v[2:3]
	global_load_b64 v[0:1], v[0:1], off
	v_add_co_u32 v2, vcc_lo, s2, v2
	v_add_co_ci_u32_e32 v3, vcc_lo, s3, v3, vcc_lo
	s_waitcnt vmcnt(0)
	global_store_b64 v[2:3], v[0:1], off
.LBB155_2:
	s_nop 0
	s_sendmsg sendmsg(MSG_DEALLOC_VGPRS)
	s_endpgm
	.section	.rodata,"a",@progbits
	.p2align	6, 0x0
	.amdhsa_kernel _ZN9rocsolver6v33100L12restore_diagI19rocblas_complex_numIfEiS3_PS3_EEvPT1_llT2_lT0_lS8_
		.amdhsa_group_segment_fixed_size 0
		.amdhsa_private_segment_fixed_size 0
		.amdhsa_kernarg_size 320
		.amdhsa_user_sgpr_count 14
		.amdhsa_user_sgpr_dispatch_ptr 0
		.amdhsa_user_sgpr_queue_ptr 0
		.amdhsa_user_sgpr_kernarg_segment_ptr 1
		.amdhsa_user_sgpr_dispatch_id 0
		.amdhsa_user_sgpr_private_segment_size 0
		.amdhsa_wavefront_size32 1
		.amdhsa_uses_dynamic_stack 0
		.amdhsa_enable_private_segment 0
		.amdhsa_system_sgpr_workgroup_id_x 1
		.amdhsa_system_sgpr_workgroup_id_y 1
		.amdhsa_system_sgpr_workgroup_id_z 0
		.amdhsa_system_sgpr_workgroup_info 0
		.amdhsa_system_vgpr_workitem_id 1
		.amdhsa_next_free_vgpr 4
		.amdhsa_next_free_sgpr 17
		.amdhsa_reserve_vcc 1
		.amdhsa_float_round_mode_32 0
		.amdhsa_float_round_mode_16_64 0
		.amdhsa_float_denorm_mode_32 3
		.amdhsa_float_denorm_mode_16_64 3
		.amdhsa_dx10_clamp 1
		.amdhsa_ieee_mode 1
		.amdhsa_fp16_overflow 0
		.amdhsa_workgroup_processor_mode 1
		.amdhsa_memory_ordered 1
		.amdhsa_forward_progress 0
		.amdhsa_shared_vgpr_count 0
		.amdhsa_exception_fp_ieee_invalid_op 0
		.amdhsa_exception_fp_denorm_src 0
		.amdhsa_exception_fp_ieee_div_zero 0
		.amdhsa_exception_fp_ieee_overflow 0
		.amdhsa_exception_fp_ieee_underflow 0
		.amdhsa_exception_fp_ieee_inexact 0
		.amdhsa_exception_int_div_zero 0
	.end_amdhsa_kernel
	.section	.text._ZN9rocsolver6v33100L12restore_diagI19rocblas_complex_numIfEiS3_PS3_EEvPT1_llT2_lT0_lS8_,"axG",@progbits,_ZN9rocsolver6v33100L12restore_diagI19rocblas_complex_numIfEiS3_PS3_EEvPT1_llT2_lT0_lS8_,comdat
.Lfunc_end155:
	.size	_ZN9rocsolver6v33100L12restore_diagI19rocblas_complex_numIfEiS3_PS3_EEvPT1_llT2_lT0_lS8_, .Lfunc_end155-_ZN9rocsolver6v33100L12restore_diagI19rocblas_complex_numIfEiS3_PS3_EEvPT1_llT2_lT0_lS8_
                                        ; -- End function
	.section	.AMDGPU.csdata,"",@progbits
; Kernel info:
; codeLenInByte = 300
; NumSgprs: 19
; NumVgprs: 4
; ScratchSize: 0
; MemoryBound: 0
; FloatMode: 240
; IeeeMode: 1
; LDSByteSize: 0 bytes/workgroup (compile time only)
; SGPRBlocks: 2
; VGPRBlocks: 0
; NumSGPRsForWavesPerEU: 19
; NumVGPRsForWavesPerEU: 4
; Occupancy: 16
; WaveLimiterHint : 0
; COMPUTE_PGM_RSRC2:SCRATCH_EN: 0
; COMPUTE_PGM_RSRC2:USER_SGPR: 14
; COMPUTE_PGM_RSRC2:TRAP_HANDLER: 0
; COMPUTE_PGM_RSRC2:TGID_X_EN: 1
; COMPUTE_PGM_RSRC2:TGID_Y_EN: 1
; COMPUTE_PGM_RSRC2:TGID_Z_EN: 0
; COMPUTE_PGM_RSRC2:TIDIG_COMP_CNT: 1
	.section	.text._ZN9rocsolver6v33100L14set_triangularI19rocblas_complex_numIfEPS3_TnNSt9enable_ifIX18rocblas_is_complexIT_EEiE4typeELi0EEEviiT0_iilPS6_lSA_il15rocblas_direct_15rocblas_storev_b,"axG",@progbits,_ZN9rocsolver6v33100L14set_triangularI19rocblas_complex_numIfEPS3_TnNSt9enable_ifIX18rocblas_is_complexIT_EEiE4typeELi0EEEviiT0_iilPS6_lSA_il15rocblas_direct_15rocblas_storev_b,comdat
	.globl	_ZN9rocsolver6v33100L14set_triangularI19rocblas_complex_numIfEPS3_TnNSt9enable_ifIX18rocblas_is_complexIT_EEiE4typeELi0EEEviiT0_iilPS6_lSA_il15rocblas_direct_15rocblas_storev_b ; -- Begin function _ZN9rocsolver6v33100L14set_triangularI19rocblas_complex_numIfEPS3_TnNSt9enable_ifIX18rocblas_is_complexIT_EEiE4typeELi0EEEviiT0_iilPS6_lSA_il15rocblas_direct_15rocblas_storev_b
	.p2align	8
	.type	_ZN9rocsolver6v33100L14set_triangularI19rocblas_complex_numIfEPS3_TnNSt9enable_ifIX18rocblas_is_complexIT_EEiE4typeELi0EEEviiT0_iilPS6_lSA_il15rocblas_direct_15rocblas_storev_b,@function
_ZN9rocsolver6v33100L14set_triangularI19rocblas_complex_numIfEPS3_TnNSt9enable_ifIX18rocblas_is_complexIT_EEiE4typeELi0EEEviiT0_iilPS6_lSA_il15rocblas_direct_15rocblas_storev_b: ; @_ZN9rocsolver6v33100L14set_triangularI19rocblas_complex_numIfEPS3_TnNSt9enable_ifIX18rocblas_is_complexIT_EEiE4typeELi0EEEviiT0_iilPS6_lSA_il15rocblas_direct_15rocblas_storev_b
; %bb.0:
	s_clause 0x1
	s_load_b32 s2, s[0:1], 0x64
	s_load_b64 s[16:17], s[0:1], 0x0
	v_and_b32_e32 v2, 0x3ff, v0
	v_bfe_u32 v4, v0, 10, 10
	s_waitcnt lgkmcnt(0)
	s_lshr_b32 s3, s2, 16
	s_and_b32 s2, s2, 0xffff
	s_delay_alu instid0(SALU_CYCLE_1) | instskip(SKIP_2) | instid1(VALU_DEP_1)
	v_mad_u64_u32 v[0:1], null, s13, s2, v[2:3]
	v_mad_u64_u32 v[2:3], null, s14, s3, v[4:5]
	s_mov_b32 s2, exec_lo
	v_max_u32_e32 v1, v0, v2
	s_delay_alu instid0(VALU_DEP_1)
	v_cmpx_gt_u32_e64 s17, v1
	s_cbranch_execz .LBB156_36
; %bb.1:
	s_clause 0x2
	s_load_b256 s[4:11], s[0:1], 0x18
	s_load_b64 s[2:3], s[0:1], 0x40
	s_load_b32 s12, s[0:1], 0x38
	s_waitcnt lgkmcnt(0)
	s_mul_i32 s9, s15, s9
	s_mul_hi_u32 s13, s15, s8
	s_mul_i32 s8, s15, s8
	s_add_i32 s9, s13, s9
	s_mul_i32 s3, s15, s3
	s_lshl_b64 s[8:9], s[8:9], 3
	s_mul_hi_u32 s18, s15, s2
	s_add_u32 s13, s6, s8
	s_mul_i32 s2, s15, s2
	s_addc_u32 s14, s7, s9
	s_add_i32 s3, s18, s3
	s_delay_alu instid0(SALU_CYCLE_1) | instskip(NEXT) | instid1(SALU_CYCLE_1)
	s_lshl_b64 s[2:3], s[2:3], 3
	s_add_u32 s6, s10, s2
	s_addc_u32 s7, s11, s3
	s_mov_b32 s2, exec_lo
	v_cmpx_ne_u32_e64 v2, v0
	s_xor_b32 s18, exec_lo, s2
	s_cbranch_execz .LBB156_34
; %bb.2:
	s_clause 0x1
	s_load_b128 s[8:11], s[0:1], 0x8
	s_load_b128 s[0:3], s[0:1], 0x48
	s_waitcnt lgkmcnt(0)
	s_mul_i32 s3, s15, s5
	s_mul_hi_u32 s5, s15, s4
	s_mul_i32 s4, s15, s4
	s_add_i32 s5, s5, s3
	v_mov_b32_e32 v1, 0
	s_lshl_b64 s[4:5], s[4:5], 3
	s_ashr_i32 s21, s10, 31
	s_mov_b32 s20, s10
	s_add_u32 s3, s8, s4
	s_addc_u32 s8, s9, s5
	s_lshl_b64 s[4:5], s[20:21], 3
	s_delay_alu instid0(SALU_CYCLE_1) | instskip(SKIP_3) | instid1(SALU_CYCLE_1)
	s_add_u32 s3, s3, s4
	s_addc_u32 s4, s8, s5
	s_bitcmp1_b32 s2, 0
	s_cselect_b32 s2, -1, 0
	s_xor_b32 s2, s2, -1
	s_cmpk_lg_i32 s0, 0xab
	s_mov_b32 s0, -1
	s_cbranch_scc0 .LBB156_18
; %bb.3:
	s_mov_b32 s0, exec_lo
	v_cmpx_le_u32_e64 v2, v0
	s_xor_b32 s0, exec_lo, s0
	s_cbranch_execz .LBB156_5
; %bb.4:
	v_mad_u64_u32 v[4:5], null, v0, s12, 0
	s_ashr_i32 s5, s12, 31
	s_delay_alu instid0(VALU_DEP_1) | instskip(NEXT) | instid1(VALU_DEP_1)
	v_mov_b32_e32 v3, v5
	v_mad_u64_u32 v[5:6], null, v0, s5, v[3:4]
	v_mov_b32_e32 v3, 0
	s_delay_alu instid0(VALU_DEP_1) | instskip(NEXT) | instid1(VALU_DEP_3)
	v_lshlrev_b64 v[6:7], 3, v[2:3]
	v_lshlrev_b64 v[4:5], 3, v[4:5]
	s_delay_alu instid0(VALU_DEP_1) | instskip(NEXT) | instid1(VALU_DEP_2)
	v_add_co_u32 v8, vcc_lo, s6, v4
	v_add_co_ci_u32_e32 v5, vcc_lo, s7, v5, vcc_lo
	v_mov_b32_e32 v4, v3
	s_delay_alu instid0(VALU_DEP_3) | instskip(NEXT) | instid1(VALU_DEP_3)
	v_add_co_u32 v6, vcc_lo, v8, v6
	v_add_co_ci_u32_e32 v7, vcc_lo, v5, v7, vcc_lo
	v_mov_b32_e32 v5, v3
	global_store_b64 v[6:7], v[4:5], off
.LBB156_5:
	s_and_not1_saveexec_b32 s0, s0
	s_cbranch_execz .LBB156_17
; %bb.6:
	v_lshlrev_b64 v[3:4], 3, v[0:1]
	s_cmpk_lg_i32 s1, 0xb5
	s_mov_b32 s5, -1
	s_delay_alu instid0(VALU_DEP_1) | instskip(NEXT) | instid1(VALU_DEP_2)
	v_add_co_u32 v3, vcc_lo, s13, v3
	v_add_co_ci_u32_e32 v4, vcc_lo, s14, v4, vcc_lo
	global_load_b64 v[4:5], v[3:4], off
	s_cbranch_scc0 .LBB156_12
; %bb.7:
	v_mov_b32_e32 v3, 0
	s_and_not1_b32 vcc_lo, exec_lo, s2
	s_delay_alu instid0(VALU_DEP_1)
	v_lshlrev_b64 v[6:7], 3, v[2:3]
	s_cbranch_vccnz .LBB156_9
; %bb.8:
	s_sub_i32 s5, s16, s17
	s_delay_alu instid0(SALU_CYCLE_1) | instskip(SKIP_1) | instid1(VALU_DEP_1)
	v_add_nc_u32_e32 v11, s5, v0
	s_ashr_i32 s5, s11, 31
	v_mad_u64_u32 v[8:9], null, v11, s11, 0
	s_delay_alu instid0(VALU_DEP_1) | instskip(SKIP_1) | instid1(VALU_DEP_1)
	v_mov_b32_e32 v3, v9
	s_waitcnt vmcnt(0)
	v_mad_u64_u32 v[9:10], null, v11, s5, v[3:4]
	v_mad_u64_u32 v[10:11], null, v0, s12, 0
	s_ashr_i32 s5, s12, 31
	s_delay_alu instid0(VALU_DEP_2) | instskip(NEXT) | instid1(VALU_DEP_1)
	v_lshlrev_b64 v[8:9], 3, v[8:9]
	v_add_co_u32 v3, vcc_lo, s3, v8
	s_delay_alu instid0(VALU_DEP_2) | instskip(NEXT) | instid1(VALU_DEP_2)
	v_add_co_ci_u32_e32 v9, vcc_lo, s4, v9, vcc_lo
	v_add_co_u32 v8, vcc_lo, v3, v6
	s_delay_alu instid0(VALU_DEP_2) | instskip(SKIP_4) | instid1(VALU_DEP_1)
	v_add_co_ci_u32_e32 v9, vcc_lo, v9, v7, vcc_lo
	v_mov_b32_e32 v3, v11
	global_load_b64 v[8:9], v[8:9], off
	v_mad_u64_u32 v[11:12], null, v0, s5, v[3:4]
	s_mov_b32 s5, 0
	v_lshlrev_b64 v[10:11], 3, v[10:11]
	s_delay_alu instid0(VALU_DEP_1) | instskip(NEXT) | instid1(VALU_DEP_2)
	v_add_co_u32 v13, vcc_lo, s6, v10
	v_add_co_ci_u32_e32 v14, vcc_lo, s7, v11, vcc_lo
	s_delay_alu instid0(VALU_DEP_2) | instskip(SKIP_3) | instid1(VALU_DEP_2)
	v_add_co_u32 v11, vcc_lo, v13, v6
	s_waitcnt vmcnt(0)
	v_mul_f32_e32 v12, v4, v9
	v_mul_f32_e32 v3, v4, v8
	v_fma_f32 v10, v8, -v5, -v12
	s_delay_alu instid0(VALU_DEP_2)
	v_fma_f32 v9, v5, v9, -v3
	v_add_co_ci_u32_e32 v12, vcc_lo, v14, v7, vcc_lo
	global_store_b64 v[11:12], v[9:10], off
.LBB156_9:
	s_and_not1_b32 vcc_lo, exec_lo, s5
	s_cbranch_vccnz .LBB156_11
; %bb.10:
	v_mad_u64_u32 v[8:9], null, v0, s12, 0
	s_sub_i32 s5, s16, s17
	s_delay_alu instid0(SALU_CYCLE_1) | instskip(SKIP_1) | instid1(VALU_DEP_2)
	v_add_nc_u32_e32 v14, s5, v0
	s_ashr_i32 s5, s12, 31
	v_mov_b32_e32 v3, v9
	s_delay_alu instid0(VALU_DEP_2) | instskip(NEXT) | instid1(VALU_DEP_1)
	v_mad_u64_u32 v[10:11], null, v14, s11, 0
	v_mov_b32_e32 v9, v11
	s_waitcnt vmcnt(0)
	s_delay_alu instid0(VALU_DEP_3)
	v_mad_u64_u32 v[11:12], null, v0, s5, v[3:4]
	s_ashr_i32 s5, s11, 31
	s_delay_alu instid0(VALU_DEP_2) | instid1(SALU_CYCLE_1)
	v_mad_u64_u32 v[12:13], null, v14, s5, v[9:10]
	s_delay_alu instid0(VALU_DEP_2) | instskip(NEXT) | instid1(VALU_DEP_2)
	v_mov_b32_e32 v9, v11
	v_mov_b32_e32 v11, v12
	s_delay_alu instid0(VALU_DEP_2) | instskip(NEXT) | instid1(VALU_DEP_2)
	v_lshlrev_b64 v[8:9], 3, v[8:9]
	v_lshlrev_b64 v[10:11], 3, v[10:11]
	s_delay_alu instid0(VALU_DEP_2) | instskip(NEXT) | instid1(VALU_DEP_3)
	v_add_co_u32 v3, vcc_lo, s6, v8
	v_add_co_ci_u32_e32 v9, vcc_lo, s7, v9, vcc_lo
	s_delay_alu instid0(VALU_DEP_3) | instskip(NEXT) | instid1(VALU_DEP_4)
	v_add_co_u32 v10, vcc_lo, s3, v10
	v_add_co_ci_u32_e32 v11, vcc_lo, s4, v11, vcc_lo
	s_delay_alu instid0(VALU_DEP_4) | instskip(NEXT) | instid1(VALU_DEP_4)
	v_add_co_u32 v8, vcc_lo, v3, v6
	v_add_co_ci_u32_e32 v9, vcc_lo, v9, v7, vcc_lo
	s_delay_alu instid0(VALU_DEP_4) | instskip(NEXT) | instid1(VALU_DEP_4)
	v_add_co_u32 v6, vcc_lo, v10, v6
	v_add_co_ci_u32_e32 v7, vcc_lo, v11, v7, vcc_lo
	global_load_b64 v[10:11], v[8:9], off
	global_load_b64 v[6:7], v[6:7], off
	s_waitcnt vmcnt(0)
	v_dual_add_f32 v3, v6, v10 :: v_dual_add_f32 v6, v7, v11
	s_delay_alu instid0(VALU_DEP_1) | instskip(NEXT) | instid1(VALU_DEP_2)
	v_mul_f32_e32 v7, v4, v3
	v_mul_f32_e32 v10, v4, v6
	s_delay_alu instid0(VALU_DEP_2) | instskip(NEXT) | instid1(VALU_DEP_2)
	v_fma_f32 v6, v5, v6, -v7
	v_fma_f32 v7, v3, -v5, -v10
	global_store_b64 v[8:9], v[6:7], off
.LBB156_11:
	s_mov_b32 s5, 0
.LBB156_12:
	s_delay_alu instid0(SALU_CYCLE_1)
	s_and_not1_b32 vcc_lo, exec_lo, s5
	s_cbranch_vccnz .LBB156_17
; %bb.13:
	s_and_not1_b32 vcc_lo, exec_lo, s2
	s_mov_b32 s5, -1
	s_cbranch_vccnz .LBB156_15
; %bb.14:
	v_mad_u64_u32 v[6:7], null, v2, s11, 0
	s_ashr_i32 s5, s11, 31
	v_mov_b32_e32 v9, 0
	s_delay_alu instid0(VALU_DEP_2) | instskip(SKIP_1) | instid1(VALU_DEP_1)
	v_mov_b32_e32 v3, v7
	s_waitcnt vmcnt(0)
	v_mad_u64_u32 v[7:8], null, v2, s5, v[3:4]
	s_sub_i32 s5, s16, s17
	s_delay_alu instid0(SALU_CYCLE_1) | instskip(SKIP_1) | instid1(VALU_DEP_2)
	v_add_nc_u32_e32 v8, s5, v0
	s_ashr_i32 s5, s12, 31
	v_lshlrev_b64 v[6:7], 3, v[6:7]
	s_delay_alu instid0(VALU_DEP_2) | instskip(NEXT) | instid1(VALU_DEP_2)
	v_lshlrev_b64 v[10:11], 3, v[8:9]
	v_add_co_u32 v3, vcc_lo, s3, v6
	s_delay_alu instid0(VALU_DEP_3) | instskip(NEXT) | instid1(VALU_DEP_2)
	v_add_co_ci_u32_e32 v7, vcc_lo, s4, v7, vcc_lo
	v_add_co_u32 v6, vcc_lo, v3, v10
	s_delay_alu instid0(VALU_DEP_2) | instskip(SKIP_3) | instid1(VALU_DEP_1)
	v_add_co_ci_u32_e32 v7, vcc_lo, v7, v11, vcc_lo
	v_mad_u64_u32 v[10:11], null, v0, s12, 0
	global_load_b64 v[6:7], v[6:7], off
	v_mov_b32_e32 v3, v11
	v_mad_u64_u32 v[11:12], null, v0, s5, v[3:4]
	s_mov_b32 s5, 0
	s_waitcnt vmcnt(0)
	v_mul_f32_e32 v12, v5, v6
	v_mov_b32_e32 v3, v9
	s_delay_alu instid0(VALU_DEP_3) | instskip(NEXT) | instid1(VALU_DEP_2)
	v_lshlrev_b64 v[8:9], 3, v[10:11]
	v_lshlrev_b64 v[10:11], 3, v[2:3]
	v_mul_f32_e32 v3, v5, v7
	s_delay_alu instid0(VALU_DEP_3) | instskip(NEXT) | instid1(VALU_DEP_4)
	v_add_co_u32 v8, vcc_lo, s6, v8
	v_add_co_ci_u32_e32 v9, vcc_lo, s7, v9, vcc_lo
	s_delay_alu instid0(VALU_DEP_3) | instskip(NEXT) | instid1(VALU_DEP_3)
	v_fma_f32 v6, v6, -v4, -v3
	v_add_co_u32 v8, vcc_lo, v8, v10
	v_fma_f32 v7, v4, v7, -v12
	s_delay_alu instid0(VALU_DEP_4)
	v_add_co_ci_u32_e32 v9, vcc_lo, v9, v11, vcc_lo
	global_store_b64 v[8:9], v[6:7], off
.LBB156_15:
	s_and_not1_b32 vcc_lo, exec_lo, s5
	s_cbranch_vccnz .LBB156_17
; %bb.16:
	v_mad_u64_u32 v[6:7], null, v2, s11, 0
	v_mad_u64_u32 v[8:9], null, v0, s12, 0
	s_ashr_i32 s5, s11, 31
	s_delay_alu instid0(VALU_DEP_2) | instskip(NEXT) | instid1(VALU_DEP_2)
	v_mov_b32_e32 v3, v7
	v_mov_b32_e32 v7, v9
	s_waitcnt vmcnt(0)
	s_delay_alu instid0(VALU_DEP_2) | instskip(SKIP_2) | instid1(VALU_DEP_1)
	v_mad_u64_u32 v[9:10], null, v2, s5, v[3:4]
	v_mov_b32_e32 v3, 0
	s_ashr_i32 s5, s12, 31
	v_mov_b32_e32 v12, v3
	v_mad_u64_u32 v[10:11], null, v0, s5, v[7:8]
	s_delay_alu instid0(VALU_DEP_4) | instskip(SKIP_3) | instid1(VALU_DEP_3)
	v_mov_b32_e32 v7, v9
	s_sub_i32 s5, s16, s17
	v_lshlrev_b64 v[13:14], 3, v[2:3]
	v_add_nc_u32_e32 v11, s5, v0
	v_lshlrev_b64 v[6:7], 3, v[6:7]
	v_mov_b32_e32 v9, v10
	s_delay_alu instid0(VALU_DEP_3) | instskip(NEXT) | instid1(VALU_DEP_2)
	v_lshlrev_b64 v[10:11], 3, v[11:12]
	v_lshlrev_b64 v[8:9], 3, v[8:9]
	s_delay_alu instid0(VALU_DEP_4) | instskip(SKIP_1) | instid1(VALU_DEP_3)
	v_add_co_u32 v3, vcc_lo, s3, v6
	v_add_co_ci_u32_e32 v7, vcc_lo, s4, v7, vcc_lo
	v_add_co_u32 v8, vcc_lo, s6, v8
	s_delay_alu instid0(VALU_DEP_4) | instskip(NEXT) | instid1(VALU_DEP_4)
	v_add_co_ci_u32_e32 v9, vcc_lo, s7, v9, vcc_lo
	v_add_co_u32 v6, vcc_lo, v3, v10
	s_delay_alu instid0(VALU_DEP_4) | instskip(NEXT) | instid1(VALU_DEP_4)
	v_add_co_ci_u32_e32 v7, vcc_lo, v7, v11, vcc_lo
	v_add_co_u32 v8, vcc_lo, v8, v13
	s_delay_alu instid0(VALU_DEP_4) | instskip(SKIP_4) | instid1(VALU_DEP_1)
	v_add_co_ci_u32_e32 v9, vcc_lo, v9, v14, vcc_lo
	global_load_b64 v[6:7], v[6:7], off
	global_load_b64 v[10:11], v[8:9], off
	s_waitcnt vmcnt(0)
	v_dual_add_f32 v6, v6, v10 :: v_dual_sub_f32 v3, v11, v7
	v_mul_f32_e32 v7, v4, v6
	s_delay_alu instid0(VALU_DEP_2) | instskip(NEXT) | instid1(VALU_DEP_2)
	v_mul_f32_e32 v4, v4, v3
	v_fma_f32 v3, v5, v3, -v7
	s_delay_alu instid0(VALU_DEP_2)
	v_fma_f32 v4, v6, -v5, -v4
	global_store_b64 v[8:9], v[3:4], off
.LBB156_17:
	s_or_b32 exec_lo, exec_lo, s0
	s_mov_b32 s0, 0
.LBB156_18:
	s_delay_alu instid0(SALU_CYCLE_1)
	s_and_not1_b32 vcc_lo, exec_lo, s0
	s_cbranch_vccnz .LBB156_34
; %bb.19:
	s_mov_b32 s0, exec_lo
	v_cmpx_ge_u32_e64 v2, v0
	s_xor_b32 s0, exec_lo, s0
	s_cbranch_execz .LBB156_21
; %bb.20:
	s_waitcnt vmcnt(0)
	v_mad_u64_u32 v[4:5], null, v0, s12, 0
	v_mov_b32_e32 v3, 0
	s_ashr_i32 s5, s12, 31
	s_delay_alu instid0(VALU_DEP_2) | instskip(NEXT) | instid1(VALU_DEP_1)
	v_mov_b32_e32 v1, v5
	v_mad_u64_u32 v[5:6], null, v0, s5, v[1:2]
	s_delay_alu instid0(VALU_DEP_1) | instskip(SKIP_2) | instid1(VALU_DEP_3)
	v_lshlrev_b64 v[0:1], 3, v[4:5]
	v_lshlrev_b64 v[4:5], 3, v[2:3]
	v_mov_b32_e32 v2, v3
	v_add_co_u32 v0, vcc_lo, s6, v0
	s_delay_alu instid0(VALU_DEP_4) | instskip(NEXT) | instid1(VALU_DEP_2)
	v_add_co_ci_u32_e32 v1, vcc_lo, s7, v1, vcc_lo
	v_add_co_u32 v0, vcc_lo, v0, v4
	s_delay_alu instid0(VALU_DEP_2)
	v_add_co_ci_u32_e32 v1, vcc_lo, v1, v5, vcc_lo
	global_store_b64 v[0:1], v[2:3], off
                                        ; implicit-def: $vgpr0_vgpr1
                                        ; implicit-def: $vgpr2_vgpr3
.LBB156_21:
	s_and_not1_saveexec_b32 s0, s0
	s_cbranch_execz .LBB156_33
; %bb.22:
	v_lshlrev_b64 v[6:7], 3, v[0:1]
	v_cndmask_b32_e64 v1, 0, 1, s2
	s_cmpk_lg_i32 s1, 0xb5
	s_mov_b32 s1, -1
	s_delay_alu instid0(VALU_DEP_2)
	v_add_co_u32 v3, vcc_lo, s13, v6
	s_waitcnt vmcnt(0)
	v_add_co_ci_u32_e32 v4, vcc_lo, s14, v7, vcc_lo
	v_cmp_ne_u32_e32 vcc_lo, 1, v1
	global_load_b64 v[4:5], v[3:4], off
	s_cbranch_scc0 .LBB156_28
; %bb.23:
	v_mov_b32_e32 v3, 0
	s_and_b32 vcc_lo, exec_lo, vcc_lo
	s_delay_alu instid0(VALU_DEP_1)
	v_lshlrev_b64 v[8:9], 3, v[2:3]
	s_cbranch_vccnz .LBB156_25
; %bb.24:
	v_mad_u64_u32 v[10:11], null, v0, s11, 0
	s_ashr_i32 s1, s11, 31
	s_delay_alu instid0(VALU_DEP_1) | instskip(NEXT) | instid1(VALU_DEP_1)
	v_mov_b32_e32 v1, v11
	v_mad_u64_u32 v[11:12], null, v0, s1, v[1:2]
	v_mad_u64_u32 v[12:13], null, v0, s12, 0
	s_ashr_i32 s1, s12, 31
	s_delay_alu instid0(VALU_DEP_2) | instskip(NEXT) | instid1(VALU_DEP_1)
	v_lshlrev_b64 v[10:11], 3, v[10:11]
	v_add_co_u32 v1, vcc_lo, s3, v10
	s_delay_alu instid0(VALU_DEP_2) | instskip(NEXT) | instid1(VALU_DEP_2)
	v_add_co_ci_u32_e32 v3, vcc_lo, s4, v11, vcc_lo
	v_add_co_u32 v10, vcc_lo, v1, v8
	s_delay_alu instid0(VALU_DEP_2) | instskip(SKIP_4) | instid1(VALU_DEP_1)
	v_add_co_ci_u32_e32 v11, vcc_lo, v3, v9, vcc_lo
	v_mov_b32_e32 v1, v13
	global_load_b64 v[10:11], v[10:11], off
	v_mad_u64_u32 v[13:14], null, v0, s1, v[1:2]
	s_mov_b32 s1, 0
	v_lshlrev_b64 v[12:13], 3, v[12:13]
	s_delay_alu instid0(VALU_DEP_1) | instskip(NEXT) | instid1(VALU_DEP_2)
	v_add_co_u32 v14, vcc_lo, s6, v12
	v_add_co_ci_u32_e32 v15, vcc_lo, s7, v13, vcc_lo
	s_delay_alu instid0(VALU_DEP_2) | instskip(NEXT) | instid1(VALU_DEP_2)
	v_add_co_u32 v13, vcc_lo, v14, v8
	v_add_co_ci_u32_e32 v14, vcc_lo, v15, v9, vcc_lo
	s_waitcnt vmcnt(0)
	v_mul_f32_e32 v1, v4, v10
	v_mul_f32_e32 v3, v4, v11
	s_delay_alu instid0(VALU_DEP_2) | instskip(NEXT) | instid1(VALU_DEP_2)
	v_fma_f32 v11, v5, v11, -v1
	v_fma_f32 v12, v10, -v5, -v3
	global_store_b64 v[13:14], v[11:12], off
.LBB156_25:
	s_and_not1_b32 vcc_lo, exec_lo, s1
	s_cbranch_vccnz .LBB156_27
; %bb.26:
	v_mad_u64_u32 v[10:11], null, v0, s12, 0
	v_mad_u64_u32 v[12:13], null, v0, s11, 0
	s_ashr_i32 s1, s12, 31
	s_delay_alu instid0(VALU_DEP_2) | instskip(NEXT) | instid1(VALU_DEP_2)
	v_mov_b32_e32 v1, v11
	v_mov_b32_e32 v3, v13
	s_delay_alu instid0(VALU_DEP_2) | instskip(SKIP_2) | instid1(VALU_DEP_2)
	v_mad_u64_u32 v[13:14], null, v0, s1, v[1:2]
	s_ashr_i32 s1, s11, 31
	s_waitcnt vmcnt(0)
	v_mad_u64_u32 v[14:15], null, v0, s1, v[3:4]
	s_delay_alu instid0(VALU_DEP_2) | instskip(NEXT) | instid1(VALU_DEP_2)
	v_mov_b32_e32 v11, v13
	v_mov_b32_e32 v13, v14
	s_delay_alu instid0(VALU_DEP_2) | instskip(NEXT) | instid1(VALU_DEP_2)
	v_lshlrev_b64 v[10:11], 3, v[10:11]
	v_lshlrev_b64 v[12:13], 3, v[12:13]
	s_delay_alu instid0(VALU_DEP_2) | instskip(NEXT) | instid1(VALU_DEP_3)
	v_add_co_u32 v1, vcc_lo, s6, v10
	v_add_co_ci_u32_e32 v3, vcc_lo, s7, v11, vcc_lo
	s_delay_alu instid0(VALU_DEP_3) | instskip(NEXT) | instid1(VALU_DEP_4)
	v_add_co_u32 v12, vcc_lo, s3, v12
	v_add_co_ci_u32_e32 v13, vcc_lo, s4, v13, vcc_lo
	s_delay_alu instid0(VALU_DEP_4) | instskip(NEXT) | instid1(VALU_DEP_4)
	v_add_co_u32 v10, vcc_lo, v1, v8
	v_add_co_ci_u32_e32 v11, vcc_lo, v3, v9, vcc_lo
	s_delay_alu instid0(VALU_DEP_4) | instskip(NEXT) | instid1(VALU_DEP_4)
	v_add_co_u32 v8, vcc_lo, v12, v8
	v_add_co_ci_u32_e32 v9, vcc_lo, v13, v9, vcc_lo
	global_load_b64 v[12:13], v[10:11], off
	global_load_b64 v[8:9], v[8:9], off
	s_waitcnt vmcnt(0)
	v_add_f32_e32 v1, v8, v12
	v_add_f32_e32 v3, v9, v13
	s_delay_alu instid0(VALU_DEP_2) | instskip(NEXT) | instid1(VALU_DEP_2)
	v_mul_f32_e32 v8, v4, v1
	v_mul_f32_e32 v9, v4, v3
	s_delay_alu instid0(VALU_DEP_2) | instskip(NEXT) | instid1(VALU_DEP_2)
	v_fma_f32 v8, v5, v3, -v8
	v_fma_f32 v9, v1, -v5, -v9
	global_store_b64 v[10:11], v[8:9], off
.LBB156_27:
	s_mov_b32 s1, 0
.LBB156_28:
	s_delay_alu instid0(SALU_CYCLE_1)
	s_and_not1_b32 vcc_lo, exec_lo, s1
	s_cbranch_vccnz .LBB156_33
; %bb.29:
	v_mov_b32_e32 v3, 0
	s_and_not1_b32 vcc_lo, exec_lo, s2
	s_mov_b32 s1, -1
	s_delay_alu instid0(VALU_DEP_1)
	v_lshlrev_b64 v[8:9], 3, v[2:3]
	s_cbranch_vccnz .LBB156_31
; %bb.30:
	v_mad_u64_u32 v[10:11], null, v2, s11, 0
	s_ashr_i32 s1, s11, 31
	s_delay_alu instid0(VALU_DEP_1) | instskip(NEXT) | instid1(VALU_DEP_1)
	v_mov_b32_e32 v1, v11
	v_mad_u64_u32 v[11:12], null, v2, s1, v[1:2]
	v_mad_u64_u32 v[12:13], null, v0, s12, 0
	s_ashr_i32 s1, s12, 31
	s_delay_alu instid0(VALU_DEP_2) | instskip(NEXT) | instid1(VALU_DEP_1)
	v_lshlrev_b64 v[10:11], 3, v[10:11]
	v_add_co_u32 v1, vcc_lo, s3, v10
	s_delay_alu instid0(VALU_DEP_2) | instskip(NEXT) | instid1(VALU_DEP_2)
	v_add_co_ci_u32_e32 v3, vcc_lo, s4, v11, vcc_lo
	v_add_co_u32 v10, vcc_lo, v1, v6
	s_delay_alu instid0(VALU_DEP_2) | instskip(SKIP_4) | instid1(VALU_DEP_1)
	v_add_co_ci_u32_e32 v11, vcc_lo, v3, v7, vcc_lo
	v_mov_b32_e32 v1, v13
	global_load_b64 v[10:11], v[10:11], off
	v_mad_u64_u32 v[13:14], null, v0, s1, v[1:2]
	s_mov_b32 s1, 0
	v_lshlrev_b64 v[12:13], 3, v[12:13]
	s_delay_alu instid0(VALU_DEP_1) | instskip(NEXT) | instid1(VALU_DEP_2)
	v_add_co_u32 v12, vcc_lo, s6, v12
	v_add_co_ci_u32_e32 v13, vcc_lo, s7, v13, vcc_lo
	s_delay_alu instid0(VALU_DEP_2) | instskip(NEXT) | instid1(VALU_DEP_2)
	v_add_co_u32 v12, vcc_lo, v12, v8
	v_add_co_ci_u32_e32 v13, vcc_lo, v13, v9, vcc_lo
	s_waitcnt vmcnt(0)
	v_mul_f32_e32 v1, v5, v11
	v_mul_f32_e32 v3, v5, v10
	s_delay_alu instid0(VALU_DEP_2) | instskip(NEXT) | instid1(VALU_DEP_2)
	v_fma_f32 v10, v10, -v4, -v1
	v_fma_f32 v11, v4, v11, -v3
	global_store_b64 v[12:13], v[10:11], off
.LBB156_31:
	s_and_not1_b32 vcc_lo, exec_lo, s1
	s_cbranch_vccnz .LBB156_33
; %bb.32:
	v_mad_u64_u32 v[10:11], null, v2, s11, 0
	v_mad_u64_u32 v[12:13], null, v0, s12, 0
	s_ashr_i32 s1, s11, 31
	s_delay_alu instid0(VALU_DEP_2) | instskip(NEXT) | instid1(VALU_DEP_2)
	v_mov_b32_e32 v1, v11
	v_mov_b32_e32 v3, v13
	s_delay_alu instid0(VALU_DEP_2) | instskip(SKIP_2) | instid1(VALU_DEP_2)
	v_mad_u64_u32 v[13:14], null, v2, s1, v[1:2]
	s_ashr_i32 s1, s12, 31
	s_waitcnt vmcnt(0)
	v_mad_u64_u32 v[1:2], null, v0, s1, v[3:4]
	s_delay_alu instid0(VALU_DEP_2) | instskip(NEXT) | instid1(VALU_DEP_2)
	v_mov_b32_e32 v11, v13
	v_mov_b32_e32 v13, v1
	s_delay_alu instid0(VALU_DEP_2) | instskip(NEXT) | instid1(VALU_DEP_2)
	v_lshlrev_b64 v[0:1], 3, v[10:11]
	v_lshlrev_b64 v[2:3], 3, v[12:13]
	s_delay_alu instid0(VALU_DEP_2) | instskip(NEXT) | instid1(VALU_DEP_3)
	v_add_co_u32 v0, vcc_lo, s3, v0
	v_add_co_ci_u32_e32 v1, vcc_lo, s4, v1, vcc_lo
	s_delay_alu instid0(VALU_DEP_3) | instskip(NEXT) | instid1(VALU_DEP_4)
	v_add_co_u32 v2, vcc_lo, s6, v2
	v_add_co_ci_u32_e32 v3, vcc_lo, s7, v3, vcc_lo
	s_delay_alu instid0(VALU_DEP_4) | instskip(NEXT) | instid1(VALU_DEP_4)
	v_add_co_u32 v0, vcc_lo, v0, v6
	v_add_co_ci_u32_e32 v1, vcc_lo, v1, v7, vcc_lo
	s_delay_alu instid0(VALU_DEP_4) | instskip(NEXT) | instid1(VALU_DEP_4)
	v_add_co_u32 v2, vcc_lo, v2, v8
	v_add_co_ci_u32_e32 v3, vcc_lo, v3, v9, vcc_lo
	global_load_b64 v[0:1], v[0:1], off
	global_load_b64 v[6:7], v[2:3], off
	s_waitcnt vmcnt(0)
	v_add_f32_e32 v6, v0, v6
	s_delay_alu instid0(VALU_DEP_1) | instskip(NEXT) | instid1(VALU_DEP_1)
	v_dual_sub_f32 v0, v7, v1 :: v_dual_mul_f32 v1, v4, v6
	v_mul_f32_e32 v4, v4, v0
	s_delay_alu instid0(VALU_DEP_2) | instskip(NEXT) | instid1(VALU_DEP_2)
	v_fma_f32 v0, v5, v0, -v1
	v_fma_f32 v1, v6, -v5, -v4
	global_store_b64 v[2:3], v[0:1], off
.LBB156_33:
	s_or_b32 exec_lo, exec_lo, s0
                                        ; implicit-def: $vgpr0_vgpr1
.LBB156_34:
	s_and_not1_saveexec_b32 s0, s18
	s_cbranch_execz .LBB156_36
; %bb.35:
	s_waitcnt vmcnt(0)
	v_mad_u64_u32 v[5:6], null, v0, s12, 0
	s_ashr_i32 s0, s12, 31
	s_delay_alu instid0(VALU_DEP_1) | instid1(SALU_CYCLE_1)
	v_mad_u64_u32 v[7:8], null, v0, s0, v[6:7]
	s_delay_alu instid0(VALU_DEP_1) | instskip(NEXT) | instid1(VALU_DEP_1)
	v_dual_mov_b32 v1, 0 :: v_dual_mov_b32 v6, v7
	v_lshlrev_b64 v[1:2], 3, v[0:1]
	s_delay_alu instid0(VALU_DEP_2) | instskip(NEXT) | instid1(VALU_DEP_2)
	v_lshlrev_b64 v[5:6], 3, v[5:6]
	v_add_co_u32 v3, vcc_lo, s13, v1
	s_delay_alu instid0(VALU_DEP_3) | instskip(NEXT) | instid1(VALU_DEP_3)
	v_add_co_ci_u32_e32 v4, vcc_lo, s14, v2, vcc_lo
	v_add_co_u32 v0, vcc_lo, s6, v5
	s_delay_alu instid0(VALU_DEP_4)
	v_add_co_ci_u32_e32 v5, vcc_lo, s7, v6, vcc_lo
	global_load_b64 v[3:4], v[3:4], off
	v_add_co_u32 v0, vcc_lo, v0, v1
	v_add_co_ci_u32_e32 v1, vcc_lo, v5, v2, vcc_lo
	s_waitcnt vmcnt(0)
	global_store_b64 v[0:1], v[3:4], off
.LBB156_36:
	s_nop 0
	s_sendmsg sendmsg(MSG_DEALLOC_VGPRS)
	s_endpgm
	.section	.rodata,"a",@progbits
	.p2align	6, 0x0
	.amdhsa_kernel _ZN9rocsolver6v33100L14set_triangularI19rocblas_complex_numIfEPS3_TnNSt9enable_ifIX18rocblas_is_complexIT_EEiE4typeELi0EEEviiT0_iilPS6_lSA_il15rocblas_direct_15rocblas_storev_b
		.amdhsa_group_segment_fixed_size 0
		.amdhsa_private_segment_fixed_size 0
		.amdhsa_kernarg_size 344
		.amdhsa_user_sgpr_count 13
		.amdhsa_user_sgpr_dispatch_ptr 0
		.amdhsa_user_sgpr_queue_ptr 0
		.amdhsa_user_sgpr_kernarg_segment_ptr 1
		.amdhsa_user_sgpr_dispatch_id 0
		.amdhsa_user_sgpr_private_segment_size 0
		.amdhsa_wavefront_size32 1
		.amdhsa_uses_dynamic_stack 0
		.amdhsa_enable_private_segment 0
		.amdhsa_system_sgpr_workgroup_id_x 1
		.amdhsa_system_sgpr_workgroup_id_y 1
		.amdhsa_system_sgpr_workgroup_id_z 1
		.amdhsa_system_sgpr_workgroup_info 0
		.amdhsa_system_vgpr_workitem_id 1
		.amdhsa_next_free_vgpr 16
		.amdhsa_next_free_sgpr 22
		.amdhsa_reserve_vcc 1
		.amdhsa_float_round_mode_32 0
		.amdhsa_float_round_mode_16_64 0
		.amdhsa_float_denorm_mode_32 3
		.amdhsa_float_denorm_mode_16_64 3
		.amdhsa_dx10_clamp 1
		.amdhsa_ieee_mode 1
		.amdhsa_fp16_overflow 0
		.amdhsa_workgroup_processor_mode 1
		.amdhsa_memory_ordered 1
		.amdhsa_forward_progress 0
		.amdhsa_shared_vgpr_count 0
		.amdhsa_exception_fp_ieee_invalid_op 0
		.amdhsa_exception_fp_denorm_src 0
		.amdhsa_exception_fp_ieee_div_zero 0
		.amdhsa_exception_fp_ieee_overflow 0
		.amdhsa_exception_fp_ieee_underflow 0
		.amdhsa_exception_fp_ieee_inexact 0
		.amdhsa_exception_int_div_zero 0
	.end_amdhsa_kernel
	.section	.text._ZN9rocsolver6v33100L14set_triangularI19rocblas_complex_numIfEPS3_TnNSt9enable_ifIX18rocblas_is_complexIT_EEiE4typeELi0EEEviiT0_iilPS6_lSA_il15rocblas_direct_15rocblas_storev_b,"axG",@progbits,_ZN9rocsolver6v33100L14set_triangularI19rocblas_complex_numIfEPS3_TnNSt9enable_ifIX18rocblas_is_complexIT_EEiE4typeELi0EEEviiT0_iilPS6_lSA_il15rocblas_direct_15rocblas_storev_b,comdat
.Lfunc_end156:
	.size	_ZN9rocsolver6v33100L14set_triangularI19rocblas_complex_numIfEPS3_TnNSt9enable_ifIX18rocblas_is_complexIT_EEiE4typeELi0EEEviiT0_iilPS6_lSA_il15rocblas_direct_15rocblas_storev_b, .Lfunc_end156-_ZN9rocsolver6v33100L14set_triangularI19rocblas_complex_numIfEPS3_TnNSt9enable_ifIX18rocblas_is_complexIT_EEiE4typeELi0EEEviiT0_iilPS6_lSA_il15rocblas_direct_15rocblas_storev_b
                                        ; -- End function
	.section	.AMDGPU.csdata,"",@progbits
; Kernel info:
; codeLenInByte = 2748
; NumSgprs: 24
; NumVgprs: 16
; ScratchSize: 0
; MemoryBound: 0
; FloatMode: 240
; IeeeMode: 1
; LDSByteSize: 0 bytes/workgroup (compile time only)
; SGPRBlocks: 2
; VGPRBlocks: 1
; NumSGPRsForWavesPerEU: 24
; NumVGPRsForWavesPerEU: 16
; Occupancy: 16
; WaveLimiterHint : 0
; COMPUTE_PGM_RSRC2:SCRATCH_EN: 0
; COMPUTE_PGM_RSRC2:USER_SGPR: 13
; COMPUTE_PGM_RSRC2:TRAP_HANDLER: 0
; COMPUTE_PGM_RSRC2:TGID_X_EN: 1
; COMPUTE_PGM_RSRC2:TGID_Y_EN: 1
; COMPUTE_PGM_RSRC2:TGID_Z_EN: 1
; COMPUTE_PGM_RSRC2:TIDIG_COMP_CNT: 1
	.section	.text._ZN9rocsolver6v33100L7set_tauI19rocblas_complex_numIfEEEviPT_l,"axG",@progbits,_ZN9rocsolver6v33100L7set_tauI19rocblas_complex_numIfEEEviPT_l,comdat
	.globl	_ZN9rocsolver6v33100L7set_tauI19rocblas_complex_numIfEEEviPT_l ; -- Begin function _ZN9rocsolver6v33100L7set_tauI19rocblas_complex_numIfEEEviPT_l
	.p2align	8
	.type	_ZN9rocsolver6v33100L7set_tauI19rocblas_complex_numIfEEEviPT_l,@function
_ZN9rocsolver6v33100L7set_tauI19rocblas_complex_numIfEEEviPT_l: ; @_ZN9rocsolver6v33100L7set_tauI19rocblas_complex_numIfEEEviPT_l
; %bb.0:
	s_clause 0x1
	s_load_b32 s2, s[0:1], 0x24
	s_load_b32 s3, s[0:1], 0x0
	s_waitcnt lgkmcnt(0)
	s_and_b32 s2, s2, 0xffff
	s_delay_alu instid0(SALU_CYCLE_1) | instskip(SKIP_1) | instid1(VALU_DEP_1)
	v_mad_u64_u32 v[1:2], null, s14, s2, v[0:1]
	s_mov_b32 s2, exec_lo
	v_cmpx_gt_u32_e64 s3, v1
	s_cbranch_execz .LBB157_2
; %bb.1:
	s_load_b128 s[0:3], s[0:1], 0x8
	v_mov_b32_e32 v2, 0
	s_delay_alu instid0(VALU_DEP_1)
	v_lshlrev_b64 v[0:1], 3, v[1:2]
	s_waitcnt lgkmcnt(0)
	s_mul_i32 s3, s15, s3
	s_mul_hi_u32 s4, s15, s2
	s_mul_i32 s2, s15, s2
	s_add_i32 s3, s4, s3
	s_delay_alu instid0(SALU_CYCLE_1) | instskip(NEXT) | instid1(SALU_CYCLE_1)
	s_lshl_b64 s[2:3], s[2:3], 3
	s_add_u32 s0, s0, s2
	s_addc_u32 s1, s1, s3
	v_add_co_u32 v0, vcc_lo, s0, v0
	v_add_co_ci_u32_e32 v1, vcc_lo, s1, v1, vcc_lo
	global_load_b64 v[2:3], v[0:1], off
	s_waitcnt vmcnt(0)
	v_xor_b32_e32 v2, 0x80000000, v2
	v_xor_b32_e32 v3, 0x80000000, v3
	global_store_b64 v[0:1], v[2:3], off
.LBB157_2:
	s_nop 0
	s_sendmsg sendmsg(MSG_DEALLOC_VGPRS)
	s_endpgm
	.section	.rodata,"a",@progbits
	.p2align	6, 0x0
	.amdhsa_kernel _ZN9rocsolver6v33100L7set_tauI19rocblas_complex_numIfEEEviPT_l
		.amdhsa_group_segment_fixed_size 0
		.amdhsa_private_segment_fixed_size 0
		.amdhsa_kernarg_size 280
		.amdhsa_user_sgpr_count 14
		.amdhsa_user_sgpr_dispatch_ptr 0
		.amdhsa_user_sgpr_queue_ptr 0
		.amdhsa_user_sgpr_kernarg_segment_ptr 1
		.amdhsa_user_sgpr_dispatch_id 0
		.amdhsa_user_sgpr_private_segment_size 0
		.amdhsa_wavefront_size32 1
		.amdhsa_uses_dynamic_stack 0
		.amdhsa_enable_private_segment 0
		.amdhsa_system_sgpr_workgroup_id_x 1
		.amdhsa_system_sgpr_workgroup_id_y 1
		.amdhsa_system_sgpr_workgroup_id_z 0
		.amdhsa_system_sgpr_workgroup_info 0
		.amdhsa_system_vgpr_workitem_id 0
		.amdhsa_next_free_vgpr 4
		.amdhsa_next_free_sgpr 16
		.amdhsa_reserve_vcc 1
		.amdhsa_float_round_mode_32 0
		.amdhsa_float_round_mode_16_64 0
		.amdhsa_float_denorm_mode_32 3
		.amdhsa_float_denorm_mode_16_64 3
		.amdhsa_dx10_clamp 1
		.amdhsa_ieee_mode 1
		.amdhsa_fp16_overflow 0
		.amdhsa_workgroup_processor_mode 1
		.amdhsa_memory_ordered 1
		.amdhsa_forward_progress 0
		.amdhsa_shared_vgpr_count 0
		.amdhsa_exception_fp_ieee_invalid_op 0
		.amdhsa_exception_fp_denorm_src 0
		.amdhsa_exception_fp_ieee_div_zero 0
		.amdhsa_exception_fp_ieee_overflow 0
		.amdhsa_exception_fp_ieee_underflow 0
		.amdhsa_exception_fp_ieee_inexact 0
		.amdhsa_exception_int_div_zero 0
	.end_amdhsa_kernel
	.section	.text._ZN9rocsolver6v33100L7set_tauI19rocblas_complex_numIfEEEviPT_l,"axG",@progbits,_ZN9rocsolver6v33100L7set_tauI19rocblas_complex_numIfEEEviPT_l,comdat
.Lfunc_end157:
	.size	_ZN9rocsolver6v33100L7set_tauI19rocblas_complex_numIfEEEviPT_l, .Lfunc_end157-_ZN9rocsolver6v33100L7set_tauI19rocblas_complex_numIfEEEviPT_l
                                        ; -- End function
	.section	.AMDGPU.csdata,"",@progbits
; Kernel info:
; codeLenInByte = 180
; NumSgprs: 18
; NumVgprs: 4
; ScratchSize: 0
; MemoryBound: 0
; FloatMode: 240
; IeeeMode: 1
; LDSByteSize: 0 bytes/workgroup (compile time only)
; SGPRBlocks: 2
; VGPRBlocks: 0
; NumSGPRsForWavesPerEU: 18
; NumVGPRsForWavesPerEU: 4
; Occupancy: 16
; WaveLimiterHint : 0
; COMPUTE_PGM_RSRC2:SCRATCH_EN: 0
; COMPUTE_PGM_RSRC2:USER_SGPR: 14
; COMPUTE_PGM_RSRC2:TRAP_HANDLER: 0
; COMPUTE_PGM_RSRC2:TGID_X_EN: 1
; COMPUTE_PGM_RSRC2:TGID_Y_EN: 1
; COMPUTE_PGM_RSRC2:TGID_Z_EN: 0
; COMPUTE_PGM_RSRC2:TIDIG_COMP_CNT: 0
	.section	.text._ZN9rocsolver6v33100L20larft_kernel_forwardI19rocblas_complex_numIfEPS3_EEv15rocblas_storev_iiT0_iilPT_lS8_il,"axG",@progbits,_ZN9rocsolver6v33100L20larft_kernel_forwardI19rocblas_complex_numIfEPS3_EEv15rocblas_storev_iiT0_iilPT_lS8_il,comdat
	.globl	_ZN9rocsolver6v33100L20larft_kernel_forwardI19rocblas_complex_numIfEPS3_EEv15rocblas_storev_iiT0_iilPT_lS8_il ; -- Begin function _ZN9rocsolver6v33100L20larft_kernel_forwardI19rocblas_complex_numIfEPS3_EEv15rocblas_storev_iiT0_iilPT_lS8_il
	.p2align	8
	.type	_ZN9rocsolver6v33100L20larft_kernel_forwardI19rocblas_complex_numIfEPS3_EEv15rocblas_storev_iiT0_iilPT_lS8_il,@function
_ZN9rocsolver6v33100L20larft_kernel_forwardI19rocblas_complex_numIfEPS3_EEv15rocblas_storev_iiT0_iilPT_lS8_il: ; @_ZN9rocsolver6v33100L20larft_kernel_forwardI19rocblas_complex_numIfEPS3_EEv15rocblas_storev_iiT0_iilPT_lS8_il
; %bb.0:
	s_clause 0x4
	s_load_b64 s[20:21], s[0:1], 0x48
	s_load_b128 s[16:19], s[0:1], 0x0
	s_load_b32 s13, s[0:1], 0x5c
	s_load_b256 s[4:11], s[0:1], 0x20
	s_load_b32 s3, s[0:1], 0x40
	s_ashr_i32 s12, s15, 31
	v_lshlrev_b32_e32 v6, 3, v0
	s_waitcnt lgkmcnt(0)
	s_mul_i32 s2, s15, s21
	s_mul_hi_u32 s14, s15, s20
	s_mul_i32 s19, s12, s20
	s_add_i32 s2, s14, s2
	s_mul_i32 s20, s15, s20
	s_add_i32 s21, s2, s19
	v_cmp_gt_i32_e64 s2, s18, v0
	s_lshl_b64 s[20:21], s[20:21], 3
	s_and_b32 s19, s13, 0xffff
	s_add_u32 s26, s10, s20
	s_addc_u32 s27, s11, s21
	s_and_saveexec_b32 s10, s2
	s_cbranch_execz .LBB158_5
; %bb.1:
	v_add_nc_u32_e32 v1, 8, v6
	s_lshl_b32 s13, s18, 3
	v_mov_b32_e32 v5, v0
	s_add_i32 s14, s13, 8
	s_add_i32 s20, s3, 1
	v_mul_lo_u32 v3, s18, v1
	v_mad_u64_u32 v[1:2], null, v0, s3, v[0:1]
	s_mov_b32 s11, 0
	s_mul_i32 s14, s14, s19
	s_mul_i32 s20, s20, s19
	s_delay_alu instid0(VALU_DEP_2)
	v_add3_u32 v4, v3, v6, 0
	.p2align	6
.LBB158_2:                              ; =>This Loop Header: Depth=1
                                        ;     Child Loop BB158_3 Depth 2
	s_delay_alu instid0(VALU_DEP_1)
	v_dual_mov_b32 v2, v1 :: v_dual_mov_b32 v7, v4
	v_mov_b32_e32 v8, v5
	s_mov_b32 s21, 0
	.p2align	6
.LBB158_3:                              ;   Parent Loop BB158_2 Depth=1
                                        ; =>  This Inner Loop Header: Depth=2
	s_delay_alu instid0(VALU_DEP_2) | instskip(NEXT) | instid1(VALU_DEP_2)
	v_ashrrev_i32_e32 v3, 31, v2
	v_add_nc_u32_e32 v8, 1, v8
	s_delay_alu instid0(VALU_DEP_2) | instskip(SKIP_1) | instid1(VALU_DEP_2)
	v_lshlrev_b64 v[9:10], 3, v[2:3]
	v_add_nc_u32_e32 v2, s3, v2
	v_add_co_u32 v9, vcc_lo, s26, v9
	s_delay_alu instid0(VALU_DEP_3)
	v_add_co_ci_u32_e32 v10, vcc_lo, s27, v10, vcc_lo
	v_cmp_le_i32_e32 vcc_lo, s18, v8
	global_load_b64 v[9:10], v[9:10], off
	s_or_b32 s21, vcc_lo, s21
	s_waitcnt vmcnt(0)
	ds_store_b64 v7, v[9:10]
	v_add_nc_u32_e32 v7, s13, v7
	s_and_not1_b32 exec_lo, exec_lo, s21
	s_cbranch_execnz .LBB158_3
; %bb.4:                                ;   in Loop: Header=BB158_2 Depth=1
	s_or_b32 exec_lo, exec_lo, s21
	v_add_nc_u32_e32 v5, s19, v5
	v_add_nc_u32_e32 v4, s14, v4
	;; [unrolled: 1-line block ×3, first 2 shown]
	s_delay_alu instid0(VALU_DEP_3) | instskip(SKIP_1) | instid1(SALU_CYCLE_1)
	v_cmp_le_i32_e32 vcc_lo, s18, v5
	s_or_b32 s11, vcc_lo, s11
	s_and_not1_b32 exec_lo, exec_lo, s11
	s_cbranch_execnz .LBB158_2
.LBB158_5:
	s_or_b32 exec_lo, exec_lo, s10
	s_cmp_lt_i32 s18, 2
	s_waitcnt lgkmcnt(0)
	s_barrier
	buffer_gl0_inv
	s_cbranch_scc1 .LBB158_29
; %bb.6:
	s_load_b128 s[20:23], s[0:1], 0x10
	s_mul_i32 s1, s15, s9
	s_mul_hi_u32 s10, s15, s8
	s_mul_i32 s11, s12, s8
	s_add_i32 s1, s10, s1
	s_mul_i32 s0, s15, s8
	s_add_i32 s1, s1, s11
	s_mul_i32 s12, s4, s12
	s_lshl_b64 s[0:1], s[0:1], 3
	s_mul_hi_u32 s13, s4, s15
	s_mul_i32 s5, s5, s15
	v_add_nc_u32_e32 v3, 8, v6
	s_mul_i32 s4, s4, s15
	v_add_nc_u32_e32 v9, 0, v6
	s_mov_b32 s9, 0
	s_mov_b32 s8, 1
	v_mul_lo_u32 v3, s18, v3
	s_waitcnt lgkmcnt(0)
	s_ashr_i32 s11, s22, 31
	s_add_u32 s28, s6, s0
	s_addc_u32 s29, s7, s1
	s_lshl_b32 s30, s18, 3
	s_mov_b32 s10, s22
	s_add_i32 s31, s30, 0
	s_cmpk_lg_i32 s16, 0xb5
	s_mov_b32 s0, s23
	s_cselect_b32 s16, -1, 0
	s_add_i32 s1, s13, s12
	s_lshl_b64 s[12:13], s[10:11], 3
	s_add_i32 s5, s1, s5
	v_mul_lo_u32 v7, v0, s23
	s_lshl_b64 s[4:5], s[4:5], 3
	s_add_u32 s22, s20, s12
	s_addc_u32 s33, s21, s13
	s_ashr_i32 s1, s23, 31
	s_lshl_b32 s6, s23, 1
	s_lshl_b64 s[10:11], s[0:1], 3
	v_add_co_u32 v1, s0, s4, v6
	s_lshl_b32 s34, s19, 3
	v_add_co_ci_u32_e64 v2, null, s5, 0, s0
	s_add_u32 s0, s4, s12
	s_addc_u32 s1, s5, s13
	s_add_u32 s0, s0, s20
	s_addc_u32 s1, s1, s21
	s_add_u32 s12, s0, 16
	v_add3_u32 v8, v3, v6, 0
	s_addc_u32 s13, s1, 0
	s_add_i32 s36, s30, 8
	s_mul_i32 s35, s23, s19
	s_mul_i32 s36, s36, s19
	s_mov_b32 s14, s23
	s_branch .LBB158_8
.LBB158_7:                              ;   in Loop: Header=BB158_8 Depth=1
	s_set_inst_prefetch_distance 0x2
	s_or_b32 exec_lo, exec_lo, s0
	s_add_i32 s8, s8, 1
	s_add_u32 s4, s4, 8
	s_addc_u32 s5, s5, 0
	s_add_i32 s6, s6, s23
	s_add_u32 s12, s12, 8
	s_addc_u32 s13, s13, 0
	s_add_i32 s14, s14, s23
	s_cmp_eq_u32 s8, s18
	s_waitcnt lgkmcnt(0)
	s_barrier
	buffer_gl0_inv
	s_cbranch_scc1 .LBB158_29
.LBB158_8:                              ; =>This Loop Header: Depth=1
                                        ;     Child Loop BB158_12 Depth 2
                                        ;       Child Loop BB158_14 Depth 3
                                        ;     Child Loop BB158_20 Depth 2
                                        ;       Child Loop BB158_22 Depth 3
	;; [unrolled: 2-line block ×3, first 2 shown]
	s_mul_i32 s0, s8, s18
	s_not_b32 s38, s8
	s_lshl_b32 s0, s0, 3
	s_add_i32 s38, s38, s17
	s_add_i32 s37, s31, s0
	v_cmp_gt_u32_e64 s0, s8, v0
	s_and_b32 vcc_lo, exec_lo, s16
	s_mov_b32 s1, -1
	s_cbranch_vccz .LBB158_16
; %bb.9:                                ;   in Loop: Header=BB158_8 Depth=1
	s_delay_alu instid0(VALU_DEP_1)
	s_and_saveexec_b32 s15, s0
	s_cbranch_execz .LBB158_15
; %bb.10:                               ;   in Loop: Header=BB158_8 Depth=1
	s_ashr_i32 s7, s6, 31
	v_dual_mov_b32 v4, v2 :: v_dual_mov_b32 v3, v1
	s_lshl_b64 s[0:1], s[6:7], 3
	v_mov_b32_e32 v5, v0
	s_add_u32 s20, s22, s0
	s_addc_u32 s21, s33, s1
	s_cmp_gt_i32 s38, 0
	s_mov_b32 s39, 0
	s_cselect_b32 s7, -1, 0
	s_lshl_b64 s[0:1], s[8:9], 3
	s_delay_alu instid0(SALU_CYCLE_1)
	s_add_u32 s0, s28, s0
	s_addc_u32 s1, s29, s1
	s_load_b64 s[24:25], s[0:1], 0x0
	s_branch .LBB158_12
.LBB158_11:                             ;   in Loop: Header=BB158_12 Depth=2
	s_waitcnt lgkmcnt(0)
	s_delay_alu instid0(VALU_DEP_1) | instskip(SKIP_2) | instid1(VALU_DEP_3)
	v_dual_mul_f32 v15, s25, v10 :: v_dual_lshlrev_b32 v14, 3, v5
	v_dual_mul_f32 v16, s25, v11 :: v_dual_add_nc_u32 v5, s19, v5
	v_add_co_u32 v3, s0, v3, s34
	v_fma_f32 v11, v11, s24, -v15
	s_delay_alu instid0(VALU_DEP_3)
	v_fmac_f32_e32 v16, s24, v10
	v_add_nc_u32_e32 v12, s37, v14
	v_cmp_le_u32_e32 vcc_lo, s8, v5
	v_add_nc_u32_e32 v14, 0, v14
	v_add_co_ci_u32_e64 v4, s0, 0, v4, s0
	ds_load_b64 v[12:13], v12
	s_or_b32 s39, vcc_lo, s39
	s_waitcnt lgkmcnt(0)
	v_dual_add_f32 v10, v12, v11 :: v_dual_add_f32 v11, v13, v16
	ds_store_b64 v14, v[10:11]
	s_and_not1_b32 exec_lo, exec_lo, s39
	s_cbranch_execz .LBB158_15
.LBB158_12:                             ;   Parent Loop BB158_8 Depth=1
                                        ; =>  This Loop Header: Depth=2
                                        ;       Child Loop BB158_14 Depth 3
	v_dual_mov_b32 v10, 0 :: v_dual_mov_b32 v11, 0
	s_and_not1_b32 vcc_lo, exec_lo, s7
	s_cbranch_vccnz .LBB158_11
; %bb.13:                               ;   in Loop: Header=BB158_12 Depth=2
	v_dual_mov_b32 v10, 0 :: v_dual_mov_b32 v11, 0
	s_mov_b32 s40, 0
	s_mov_b64 s[0:1], s[20:21]
	.p2align	6
.LBB158_14:                             ;   Parent Loop BB158_8 Depth=1
                                        ;     Parent Loop BB158_12 Depth=2
                                        ; =>    This Inner Loop Header: Depth=3
	s_delay_alu instid0(SALU_CYCLE_1)
	v_add_co_u32 v12, vcc_lo, s0, v3
	v_add_co_ci_u32_e32 v13, vcc_lo, s1, v4, vcc_lo
	s_add_u32 s42, s0, s4
	s_addc_u32 s43, s1, s5
	s_add_i32 s40, s40, 1
	s_load_b64 s[42:43], s[42:43], 0x8
	global_load_b64 v[12:13], v[12:13], off
	s_add_u32 s0, s0, s10
	s_addc_u32 s1, s1, s11
	s_cmp_ge_i32 s40, s38
	s_waitcnt vmcnt(0) lgkmcnt(0)
	v_dual_mul_f32 v14, s43, v13 :: v_dual_mul_f32 v15, s43, v12
	s_delay_alu instid0(VALU_DEP_1) | instskip(NEXT) | instid1(VALU_DEP_2)
	v_fmac_f32_e32 v14, s42, v12
	v_fma_f32 v12, s42, v13, -v15
	s_delay_alu instid0(VALU_DEP_1)
	v_dual_add_f32 v11, v11, v14 :: v_dual_add_f32 v10, v10, v12
	s_cbranch_scc0 .LBB158_14
	s_branch .LBB158_11
.LBB158_15:                             ;   in Loop: Header=BB158_8 Depth=1
	s_or_b32 exec_lo, exec_lo, s15
	s_mov_b32 s1, 0
.LBB158_16:                             ;   in Loop: Header=BB158_8 Depth=1
	s_delay_alu instid0(SALU_CYCLE_1)
	s_and_not1_b32 vcc_lo, exec_lo, s1
	s_cbranch_vccnz .LBB158_24
; %bb.17:                               ;   in Loop: Header=BB158_8 Depth=1
	s_mov_b32 s7, exec_lo
	v_cmpx_gt_u32_e64 s8, v0
	s_cbranch_execz .LBB158_23
; %bb.18:                               ;   in Loop: Header=BB158_8 Depth=1
	s_ashr_i32 s15, s14, 31
	v_dual_mov_b32 v3, v7 :: v_dual_mov_b32 v10, v0
	s_lshl_b64 s[0:1], s[14:15], 3
	s_cmp_gt_i32 s38, 0
	s_mov_b32 s39, 0
	s_cselect_b32 s15, -1, 0
	s_lshl_b64 s[20:21], s[8:9], 3
	s_delay_alu instid0(SALU_CYCLE_1)
	s_add_u32 s20, s28, s20
	s_addc_u32 s21, s29, s21
	s_load_b64 s[20:21], s[20:21], 0x0
	s_branch .LBB158_20
.LBB158_19:                             ;   in Loop: Header=BB158_20 Depth=2
	s_waitcnt lgkmcnt(0)
	s_delay_alu instid0(VALU_DEP_1) | instskip(SKIP_2) | instid1(VALU_DEP_3)
	v_dual_mul_f32 v14, s21, v11 :: v_dual_lshlrev_b32 v13, 3, v10
	v_add_nc_u32_e32 v3, s35, v3
	v_dual_mul_f32 v15, s21, v12 :: v_dual_add_nc_u32 v10, s19, v10
	v_add_nc_u32_e32 v4, s37, v13
	s_delay_alu instid0(VALU_DEP_4) | instskip(NEXT) | instid1(VALU_DEP_3)
	v_fma_f32 v12, v12, s20, -v14
	v_fmac_f32_e32 v15, s20, v11
	s_delay_alu instid0(VALU_DEP_4)
	v_cmp_le_u32_e32 vcc_lo, s8, v10
	ds_load_b64 v[4:5], v4
	v_add_nc_u32_e32 v11, 0, v13
	s_or_b32 s39, vcc_lo, s39
	s_waitcnt lgkmcnt(0)
	v_dual_add_f32 v4, v4, v12 :: v_dual_add_f32 v5, v5, v15
	ds_store_b64 v11, v[4:5]
	s_and_not1_b32 exec_lo, exec_lo, s39
	s_cbranch_execz .LBB158_23
.LBB158_20:                             ;   Parent Loop BB158_8 Depth=1
                                        ; =>  This Loop Header: Depth=2
                                        ;       Child Loop BB158_22 Depth 3
	v_dual_mov_b32 v11, 0 :: v_dual_mov_b32 v12, 0
	s_and_not1_b32 vcc_lo, exec_lo, s15
	s_cbranch_vccnz .LBB158_19
; %bb.21:                               ;   in Loop: Header=BB158_20 Depth=2
	v_ashrrev_i32_e32 v4, 31, v3
	v_dual_mov_b32 v11, 0 :: v_dual_mov_b32 v12, 0
	s_mov_b32 s40, 0
	s_mov_b64 s[24:25], s[12:13]
	s_delay_alu instid0(VALU_DEP_2)
	v_lshlrev_b64 v[4:5], 3, v[3:4]
	.p2align	6
.LBB158_22:                             ;   Parent Loop BB158_8 Depth=1
                                        ;     Parent Loop BB158_20 Depth=2
                                        ; =>    This Inner Loop Header: Depth=3
	s_delay_alu instid0(VALU_DEP_1) | instskip(NEXT) | instid1(VALU_DEP_2)
	v_add_co_u32 v13, vcc_lo, s24, v4
	v_add_co_ci_u32_e32 v14, vcc_lo, s25, v5, vcc_lo
	s_add_u32 s42, s24, s0
	s_addc_u32 s43, s25, s1
	s_add_i32 s40, s40, 1
	global_load_b64 v[13:14], v[13:14], off
	s_load_b64 s[42:43], s[42:43], 0x0
	s_add_u32 s24, s24, 8
	s_addc_u32 s25, s25, 0
	s_cmp_ge_i32 s40, s38
	s_waitcnt vmcnt(0) lgkmcnt(0)
	v_mul_f32_e32 v15, s43, v14
	s_delay_alu instid0(VALU_DEP_1) | instskip(NEXT) | instid1(VALU_DEP_1)
	v_dual_mul_f32 v14, s42, v14 :: v_dual_fmac_f32 v15, s42, v13
	v_fma_f32 v13, v13, s43, -v14
	s_delay_alu instid0(VALU_DEP_1)
	v_dual_add_f32 v12, v12, v15 :: v_dual_add_f32 v11, v11, v13
	s_cbranch_scc0 .LBB158_22
	s_branch .LBB158_19
.LBB158_23:                             ;   in Loop: Header=BB158_8 Depth=1
	s_or_b32 exec_lo, exec_lo, s7
.LBB158_24:                             ;   in Loop: Header=BB158_8 Depth=1
	s_delay_alu instid0(SALU_CYCLE_1)
	s_mov_b32 s0, exec_lo
	s_waitcnt lgkmcnt(0)
	s_barrier
	buffer_gl0_inv
	v_cmpx_gt_u32_e64 s8, v0
	s_cbranch_execz .LBB158_7
; %bb.25:                               ;   in Loop: Header=BB158_8 Depth=1
	v_dual_mov_b32 v5, v9 :: v_dual_mov_b32 v10, v8
	v_mov_b32_e32 v11, v0
	s_mov_b32 s1, 0
	s_set_inst_prefetch_distance 0x1
	.p2align	6
.LBB158_26:                             ;   Parent Loop BB158_8 Depth=1
                                        ; =>  This Loop Header: Depth=2
                                        ;       Child Loop BB158_27 Depth 3
	s_delay_alu instid0(VALU_DEP_2) | instskip(NEXT) | instid1(VALU_DEP_2)
	v_dual_mov_b32 v3, 0 :: v_dual_mov_b32 v12, v5
	v_dual_mov_b32 v13, v10 :: v_dual_mov_b32 v14, v11
	v_mov_b32_e32 v4, 0
	s_mov_b32 s7, 0
	.p2align	6
.LBB158_27:                             ;   Parent Loop BB158_8 Depth=1
                                        ;     Parent Loop BB158_26 Depth=2
                                        ; =>    This Inner Loop Header: Depth=3
	ds_load_b64 v[15:16], v13
	ds_load_b64 v[17:18], v12
	v_add_nc_u32_e32 v12, 8, v12
	v_add_nc_u32_e32 v14, 1, v14
	;; [unrolled: 1-line block ×3, first 2 shown]
	s_delay_alu instid0(VALU_DEP_2) | instskip(SKIP_4) | instid1(VALU_DEP_2)
	v_cmp_le_u32_e32 vcc_lo, s8, v14
	s_or_b32 s7, vcc_lo, s7
	s_waitcnt lgkmcnt(0)
	v_mul_f32_e32 v19, v18, v16
	v_mul_f32_e32 v16, v17, v16
	v_fma_f32 v17, v17, v15, -v19
	s_delay_alu instid0(VALU_DEP_1) | instskip(NEXT) | instid1(VALU_DEP_1)
	v_dual_fmac_f32 v16, v18, v15 :: v_dual_add_f32 v3, v3, v17
	v_add_f32_e32 v4, v4, v16
	s_and_not1_b32 exec_lo, exec_lo, s7
	s_cbranch_execnz .LBB158_27
; %bb.28:                               ;   in Loop: Header=BB158_26 Depth=2
	s_or_b32 exec_lo, exec_lo, s7
	v_lshl_add_u32 v12, v11, 3, s37
	v_add_nc_u32_e32 v11, s19, v11
	v_add_nc_u32_e32 v10, s36, v10
	;; [unrolled: 1-line block ×3, first 2 shown]
	ds_store_b64 v12, v[3:4]
	v_cmp_le_u32_e32 vcc_lo, s8, v11
	s_or_b32 s1, vcc_lo, s1
	s_delay_alu instid0(SALU_CYCLE_1)
	s_and_not1_b32 exec_lo, exec_lo, s1
	s_cbranch_execnz .LBB158_26
	s_branch .LBB158_7
.LBB158_29:
	s_and_saveexec_b32 s0, s2
	s_cbranch_execz .LBB158_34
; %bb.30:
	v_add_nc_u32_e32 v1, 8, v6
	s_lshl_b32 s2, s18, 3
	s_add_i32 s1, s3, 1
	s_add_i32 s5, s2, 8
	s_mul_i32 s1, s1, s19
	v_mul_lo_u32 v3, s18, v1
	v_mad_u64_u32 v[1:2], null, v0, s3, v[0:1]
	s_mov_b32 s4, 0
	s_mul_i32 s5, s5, s19
	s_delay_alu instid0(VALU_DEP_2)
	v_add3_u32 v4, v3, v6, 0
	.p2align	6
.LBB158_31:                             ; =>This Loop Header: Depth=1
                                        ;     Child Loop BB158_32 Depth 2
	s_delay_alu instid0(VALU_DEP_1)
	v_dual_mov_b32 v5, v4 :: v_dual_mov_b32 v2, v1
	v_mov_b32_e32 v6, v0
	s_mov_b32 s6, 0
	.p2align	6
.LBB158_32:                             ;   Parent Loop BB158_31 Depth=1
                                        ; =>  This Inner Loop Header: Depth=2
	ds_load_b64 v[7:8], v5
	v_ashrrev_i32_e32 v3, 31, v2
	v_add_nc_u32_e32 v6, 1, v6
	v_add_nc_u32_e32 v5, s2, v5
	s_delay_alu instid0(VALU_DEP_3) | instskip(NEXT) | instid1(VALU_DEP_3)
	v_lshlrev_b64 v[9:10], 3, v[2:3]
	v_cmp_le_i32_e32 vcc_lo, s18, v6
	v_add_nc_u32_e32 v2, s3, v2
	s_or_b32 s6, vcc_lo, s6
	s_delay_alu instid0(VALU_DEP_3) | instskip(NEXT) | instid1(VALU_DEP_1)
	v_add_co_u32 v9, s0, s26, v9
	v_add_co_ci_u32_e64 v10, s0, s27, v10, s0
	s_waitcnt lgkmcnt(0)
	global_store_b64 v[9:10], v[7:8], off
	s_and_not1_b32 exec_lo, exec_lo, s6
	s_cbranch_execnz .LBB158_32
; %bb.33:                               ;   in Loop: Header=BB158_31 Depth=1
	s_or_b32 exec_lo, exec_lo, s6
	v_add_nc_u32_e32 v0, s19, v0
	v_add_nc_u32_e32 v1, s1, v1
	;; [unrolled: 1-line block ×3, first 2 shown]
	s_delay_alu instid0(VALU_DEP_3) | instskip(SKIP_1) | instid1(SALU_CYCLE_1)
	v_cmp_le_i32_e32 vcc_lo, s18, v0
	s_or_b32 s4, vcc_lo, s4
	s_and_not1_b32 exec_lo, exec_lo, s4
	s_cbranch_execnz .LBB158_31
.LBB158_34:
	s_nop 0
	s_sendmsg sendmsg(MSG_DEALLOC_VGPRS)
	s_endpgm
	.section	.rodata,"a",@progbits
	.p2align	6, 0x0
	.amdhsa_kernel _ZN9rocsolver6v33100L20larft_kernel_forwardI19rocblas_complex_numIfEPS3_EEv15rocblas_storev_iiT0_iilPT_lS8_il
		.amdhsa_group_segment_fixed_size 0
		.amdhsa_private_segment_fixed_size 0
		.amdhsa_kernarg_size 336
		.amdhsa_user_sgpr_count 14
		.amdhsa_user_sgpr_dispatch_ptr 0
		.amdhsa_user_sgpr_queue_ptr 0
		.amdhsa_user_sgpr_kernarg_segment_ptr 1
		.amdhsa_user_sgpr_dispatch_id 0
		.amdhsa_user_sgpr_private_segment_size 0
		.amdhsa_wavefront_size32 1
		.amdhsa_uses_dynamic_stack 0
		.amdhsa_enable_private_segment 0
		.amdhsa_system_sgpr_workgroup_id_x 1
		.amdhsa_system_sgpr_workgroup_id_y 1
		.amdhsa_system_sgpr_workgroup_id_z 0
		.amdhsa_system_sgpr_workgroup_info 0
		.amdhsa_system_vgpr_workitem_id 0
		.amdhsa_next_free_vgpr 20
		.amdhsa_next_free_sgpr 44
		.amdhsa_reserve_vcc 1
		.amdhsa_float_round_mode_32 0
		.amdhsa_float_round_mode_16_64 0
		.amdhsa_float_denorm_mode_32 3
		.amdhsa_float_denorm_mode_16_64 3
		.amdhsa_dx10_clamp 1
		.amdhsa_ieee_mode 1
		.amdhsa_fp16_overflow 0
		.amdhsa_workgroup_processor_mode 1
		.amdhsa_memory_ordered 1
		.amdhsa_forward_progress 0
		.amdhsa_shared_vgpr_count 0
		.amdhsa_exception_fp_ieee_invalid_op 0
		.amdhsa_exception_fp_denorm_src 0
		.amdhsa_exception_fp_ieee_div_zero 0
		.amdhsa_exception_fp_ieee_overflow 0
		.amdhsa_exception_fp_ieee_underflow 0
		.amdhsa_exception_fp_ieee_inexact 0
		.amdhsa_exception_int_div_zero 0
	.end_amdhsa_kernel
	.section	.text._ZN9rocsolver6v33100L20larft_kernel_forwardI19rocblas_complex_numIfEPS3_EEv15rocblas_storev_iiT0_iilPT_lS8_il,"axG",@progbits,_ZN9rocsolver6v33100L20larft_kernel_forwardI19rocblas_complex_numIfEPS3_EEv15rocblas_storev_iiT0_iilPT_lS8_il,comdat
.Lfunc_end158:
	.size	_ZN9rocsolver6v33100L20larft_kernel_forwardI19rocblas_complex_numIfEPS3_EEv15rocblas_storev_iiT0_iilPT_lS8_il, .Lfunc_end158-_ZN9rocsolver6v33100L20larft_kernel_forwardI19rocblas_complex_numIfEPS3_EEv15rocblas_storev_iiT0_iilPT_lS8_il
                                        ; -- End function
	.section	.AMDGPU.csdata,"",@progbits
; Kernel info:
; codeLenInByte = 1788
; NumSgprs: 46
; NumVgprs: 20
; ScratchSize: 0
; MemoryBound: 0
; FloatMode: 240
; IeeeMode: 1
; LDSByteSize: 0 bytes/workgroup (compile time only)
; SGPRBlocks: 5
; VGPRBlocks: 2
; NumSGPRsForWavesPerEU: 46
; NumVGPRsForWavesPerEU: 20
; Occupancy: 16
; WaveLimiterHint : 0
; COMPUTE_PGM_RSRC2:SCRATCH_EN: 0
; COMPUTE_PGM_RSRC2:USER_SGPR: 14
; COMPUTE_PGM_RSRC2:TRAP_HANDLER: 0
; COMPUTE_PGM_RSRC2:TGID_X_EN: 1
; COMPUTE_PGM_RSRC2:TGID_Y_EN: 1
; COMPUTE_PGM_RSRC2:TGID_Z_EN: 0
; COMPUTE_PGM_RSRC2:TIDIG_COMP_CNT: 0
	.section	.text._ZN9rocsolver6v33100L21larft_kernel_backwardI19rocblas_complex_numIfEPS3_EEv15rocblas_storev_iiT0_iilPT_lS8_il,"axG",@progbits,_ZN9rocsolver6v33100L21larft_kernel_backwardI19rocblas_complex_numIfEPS3_EEv15rocblas_storev_iiT0_iilPT_lS8_il,comdat
	.globl	_ZN9rocsolver6v33100L21larft_kernel_backwardI19rocblas_complex_numIfEPS3_EEv15rocblas_storev_iiT0_iilPT_lS8_il ; -- Begin function _ZN9rocsolver6v33100L21larft_kernel_backwardI19rocblas_complex_numIfEPS3_EEv15rocblas_storev_iiT0_iilPT_lS8_il
	.p2align	8
	.type	_ZN9rocsolver6v33100L21larft_kernel_backwardI19rocblas_complex_numIfEPS3_EEv15rocblas_storev_iiT0_iilPT_lS8_il,@function
_ZN9rocsolver6v33100L21larft_kernel_backwardI19rocblas_complex_numIfEPS3_EEv15rocblas_storev_iiT0_iilPT_lS8_il: ; @_ZN9rocsolver6v33100L21larft_kernel_backwardI19rocblas_complex_numIfEPS3_EEv15rocblas_storev_iiT0_iilPT_lS8_il
; %bb.0:
	s_clause 0x4
	s_load_b64 s[20:21], s[0:1], 0x48
	s_load_b128 s[16:19], s[0:1], 0x0
	s_load_b32 s13, s[0:1], 0x5c
	s_load_b256 s[4:11], s[0:1], 0x20
	s_load_b32 s3, s[0:1], 0x40
	s_ashr_i32 s12, s15, 31
	v_add_nc_u32_e32 v6, 1, v0
	v_lshlrev_b32_e32 v7, 3, v0
	s_waitcnt lgkmcnt(0)
	s_mul_i32 s2, s15, s21
	s_mul_hi_u32 s14, s15, s20
	s_mul_i32 s19, s12, s20
	s_add_i32 s2, s14, s2
	s_mul_i32 s20, s15, s20
	s_add_i32 s21, s2, s19
	v_cmp_gt_i32_e64 s2, s18, v0
	s_lshl_b64 s[20:21], s[20:21], 3
	s_and_b32 s19, s13, 0xffff
	s_add_u32 s24, s10, s20
	s_addc_u32 s25, s11, s21
	s_and_saveexec_b32 s10, s2
	s_cbranch_execz .LBB159_5
; %bb.1:
	s_lshl_b32 s11, s18, 3
	v_add_nc_u32_e32 v3, 1, v0
	v_add3_u32 v4, 0, s11, v7
	v_mov_b32_e32 v5, v0
	s_mov_b32 s13, 0
	s_lshl_b32 s14, s19, 3
	.p2align	6
.LBB159_2:                              ; =>This Loop Header: Depth=1
                                        ;     Child Loop BB159_3 Depth 2
	s_delay_alu instid0(VALU_DEP_1)
	v_dual_mov_b32 v1, v5 :: v_dual_mov_b32 v8, v4
	s_mov_b32 s20, 0
	s_mov_b32 s21, 0
	.p2align	6
.LBB159_3:                              ;   Parent Loop BB159_2 Depth=1
                                        ; =>  This Inner Loop Header: Depth=2
	s_delay_alu instid0(VALU_DEP_1) | instskip(SKIP_1) | instid1(VALU_DEP_1)
	v_ashrrev_i32_e32 v2, 31, v1
	s_add_i32 s21, s21, 1
	v_lshlrev_b64 v[9:10], 3, v[1:2]
	v_add_nc_u32_e32 v1, s3, v1
	s_delay_alu instid0(VALU_DEP_2) | instskip(NEXT) | instid1(VALU_DEP_3)
	v_add_co_u32 v9, vcc_lo, s24, v9
	v_add_co_ci_u32_e32 v10, vcc_lo, s25, v10, vcc_lo
	v_cmp_eq_u32_e32 vcc_lo, s21, v3
	global_load_b64 v[9:10], v[9:10], off
	s_or_b32 s20, vcc_lo, s20
	s_waitcnt vmcnt(0)
	ds_store_b64 v8, v[9:10]
	v_add_nc_u32_e32 v8, s11, v8
	s_and_not1_b32 exec_lo, exec_lo, s20
	s_cbranch_execnz .LBB159_3
; %bb.4:                                ;   in Loop: Header=BB159_2 Depth=1
	s_or_b32 exec_lo, exec_lo, s20
	v_add_nc_u32_e32 v5, s19, v5
	v_add_nc_u32_e32 v3, s19, v3
	;; [unrolled: 1-line block ×3, first 2 shown]
	s_delay_alu instid0(VALU_DEP_3) | instskip(SKIP_1) | instid1(SALU_CYCLE_1)
	v_cmp_le_i32_e32 vcc_lo, s18, v5
	s_or_b32 s13, vcc_lo, s13
	s_and_not1_b32 exec_lo, exec_lo, s13
	s_cbranch_execnz .LBB159_2
.LBB159_5:
	s_or_b32 exec_lo, exec_lo, s10
	s_cmp_lt_i32 s18, 2
	s_waitcnt lgkmcnt(0)
	s_barrier
	buffer_gl0_inv
	s_cbranch_scc1 .LBB159_29
; %bb.6:
	s_load_b128 s[20:23], s[0:1], 0x10
	s_mul_i32 s1, s15, s9
	s_mul_hi_u32 s9, s15, s8
	s_mul_i32 s10, s12, s8
	s_add_i32 s1, s9, s1
	s_mul_i32 s0, s15, s8
	s_add_i32 s1, s1, s10
	s_mul_i32 s10, s5, s15
	s_lshl_b64 s[0:1], s[0:1], 3
	s_mul_i32 s8, s4, s12
	s_mul_hi_u32 s9, s4, s15
	s_waitcnt lgkmcnt(0)
	s_ashr_i32 s5, s22, 31
	s_add_u32 s26, s6, s0
	s_addc_u32 s27, s7, s1
	s_lshl_b32 s28, s18, 3
	s_add_i32 s6, s18, -2
	s_sub_i32 s17, s17, s18
	s_add_i32 s29, s28, 0
	s_cmpk_lg_i32 s16, 0xb5
	s_mul_i32 s0, s4, s15
	s_cselect_b32 s16, -1, 0
	s_add_i32 s1, s9, s8
	s_mov_b32 s4, s22
	s_add_i32 s1, s1, s10
	s_lshl_b64 s[4:5], s[4:5], 3
	s_lshl_b64 s[0:1], s[0:1], 3
	s_mov_b32 s7, 0
	s_add_u32 s8, s0, s4
	s_addc_u32 s9, s1, s5
	s_lshl_b64 s[0:1], s[6:7], 3
	s_mov_b32 s4, s23
	s_add_u32 s5, s20, s0
	s_addc_u32 s10, s21, s1
	s_add_u32 s11, s5, s8
	s_addc_u32 s10, s10, s9
	s_ashr_i32 s5, s23, 31
	s_lshl_b32 s22, s19, 3
	s_lshl_b64 s[4:5], s[4:5], 3
	s_add_u32 s8, s8, s20
	s_addc_u32 s9, s9, s21
	s_add_u32 s20, s8, 4
	s_addc_u32 s21, s9, 0
	v_add_co_u32 v1, s11, s11, v7
	s_add_u32 s30, s20, s0
	s_addc_u32 s31, s21, s1
	s_add_i32 s0, s28, 8
	v_add_co_ci_u32_e64 v2, null, s10, 0, s11
	s_mul_i32 s0, s18, s0
	v_mul_lo_u32 v8, v0, s23
	v_add_co_u32 v1, vcc_lo, v1, 8
	s_add_i32 s0, s0, 0
	v_add_co_ci_u32_e32 v2, vcc_lo, 0, v2, vcc_lo
	v_add3_u32 v9, s0, v7, -8
	s_add_i32 s1, s18, -1
	s_mul_i32 s8, s23, s6
	s_mul_i32 s10, s23, s1
	;; [unrolled: 1-line block ×3, first 2 shown]
	s_xor_b32 s34, s28, -8
	s_branch .LBB159_8
.LBB159_7:                              ;   in Loop: Header=BB159_8 Depth=1
	s_set_inst_prefetch_distance 0x2
	s_or_b32 exec_lo, exec_lo, s0
	v_add_co_u32 v1, vcc_lo, v1, -8
	s_add_i32 s0, s6, -1
	v_add_co_ci_u32_e32 v2, vcc_lo, -1, v2, vcc_lo
	v_add_nc_u32_e32 v9, s34, v9
	s_add_u32 s30, s30, -8
	s_addc_u32 s31, s31, -1
	s_sub_i32 s8, s8, s23
	s_sub_i32 s10, s10, s23
	s_cmp_lt_i32 s6, 1
	s_mov_b32 s6, s0
	s_waitcnt lgkmcnt(0)
	s_barrier
	buffer_gl0_inv
	s_cbranch_scc1 .LBB159_29
.LBB159_8:                              ; =>This Loop Header: Depth=1
                                        ;     Child Loop BB159_12 Depth 2
                                        ;       Child Loop BB159_14 Depth 3
                                        ;     Child Loop BB159_20 Depth 2
                                        ;       Child Loop BB159_22 Depth 3
	;; [unrolled: 2-line block ×3, first 2 shown]
	s_not_b32 s35, s6
	s_lshl_b32 s0, s6, 3
	s_mul_i32 s1, s6, s18
	s_add_i32 s35, s35, s18
	s_add_i32 s36, s29, s0
	s_lshl_b32 s0, s1, 3
	s_add_i32 s37, s6, s17
	s_add_i32 s36, s36, s0
	v_cmp_gt_i32_e64 s0, s35, v0
	s_and_b32 vcc_lo, exec_lo, s16
	s_mov_b32 s1, -1
	s_cbranch_vccz .LBB159_16
; %bb.9:                                ;   in Loop: Header=BB159_8 Depth=1
	s_delay_alu instid0(VALU_DEP_1)
	s_and_saveexec_b32 s9, s0
	s_cbranch_execz .LBB159_15
; %bb.10:                               ;   in Loop: Header=BB159_8 Depth=1
	s_cmp_gt_i32 s37, 0
	v_dual_mov_b32 v4, v2 :: v_dual_mov_b32 v3, v1
	s_cselect_b32 s11, -1, 0
	s_lshl_b64 s[0:1], s[6:7], 3
	v_mov_b32_e32 v5, v0
	s_add_u32 s0, s26, s0
	s_addc_u32 s1, s27, s1
	s_mov_b32 s14, 0
	s_load_b64 s[12:13], s[0:1], 0x0
	s_add_i32 s15, s36, 8
	s_branch .LBB159_12
.LBB159_11:                             ;   in Loop: Header=BB159_12 Depth=2
	s_waitcnt lgkmcnt(0)
	s_delay_alu instid0(VALU_DEP_1) | instskip(SKIP_2) | instid1(VALU_DEP_3)
	v_dual_mul_f32 v15, s13, v10 :: v_dual_lshlrev_b32 v14, 3, v5
	v_dual_mul_f32 v16, s13, v11 :: v_dual_add_nc_u32 v5, s19, v5
	v_add_co_u32 v3, s0, v3, s22
	v_fma_f32 v11, v11, s12, -v15
	s_delay_alu instid0(VALU_DEP_3)
	v_fmac_f32_e32 v16, s12, v10
	v_add_nc_u32_e32 v12, s15, v14
	v_cmp_le_i32_e32 vcc_lo, s35, v5
	v_add_nc_u32_e32 v14, 0, v14
	v_add_co_ci_u32_e64 v4, s0, 0, v4, s0
	ds_load_b64 v[12:13], v12
	s_or_b32 s14, vcc_lo, s14
	s_waitcnt lgkmcnt(0)
	v_dual_add_f32 v10, v12, v11 :: v_dual_add_f32 v11, v13, v16
	ds_store_b64 v14, v[10:11]
	s_and_not1_b32 exec_lo, exec_lo, s14
	s_cbranch_execz .LBB159_15
.LBB159_12:                             ;   Parent Loop BB159_8 Depth=1
                                        ; =>  This Loop Header: Depth=2
                                        ;       Child Loop BB159_14 Depth 3
	v_dual_mov_b32 v10, 0 :: v_dual_mov_b32 v11, 0
	s_and_not1_b32 vcc_lo, exec_lo, s11
	s_cbranch_vccnz .LBB159_11
; %bb.13:                               ;   in Loop: Header=BB159_12 Depth=2
	v_dual_mov_b32 v10, 0 :: v_dual_mov_b32 v11, 0
	s_mov_b32 s38, 0
	s_mov_b64 s[0:1], 0
	.p2align	6
.LBB159_14:                             ;   Parent Loop BB159_8 Depth=1
                                        ;     Parent Loop BB159_12 Depth=2
                                        ; =>    This Inner Loop Header: Depth=3
	s_delay_alu instid0(SALU_CYCLE_1)
	v_add_co_u32 v12, vcc_lo, v3, s0
	v_add_co_ci_u32_e32 v13, vcc_lo, s1, v4, vcc_lo
	s_add_u32 s39, s30, s0
	s_addc_u32 s41, s31, s1
	s_add_u32 s40, s39, -4
	global_load_b64 v[12:13], v[12:13], off
	s_addc_u32 s41, s41, -1
	s_add_i32 s38, s38, 1
	s_load_b64 s[40:41], s[40:41], 0x0
	s_add_u32 s0, s0, s4
	s_addc_u32 s1, s1, s5
	s_cmp_ge_i32 s38, s37
	s_waitcnt vmcnt(0) lgkmcnt(0)
	v_dual_mul_f32 v14, s41, v13 :: v_dual_mul_f32 v15, s41, v12
	s_delay_alu instid0(VALU_DEP_1) | instskip(NEXT) | instid1(VALU_DEP_2)
	v_fmac_f32_e32 v14, s40, v12
	v_fma_f32 v12, s40, v13, -v15
	s_delay_alu instid0(VALU_DEP_1)
	v_dual_add_f32 v11, v11, v14 :: v_dual_add_f32 v10, v10, v12
	s_cbranch_scc0 .LBB159_14
	s_branch .LBB159_11
.LBB159_15:                             ;   in Loop: Header=BB159_8 Depth=1
	s_or_b32 exec_lo, exec_lo, s9
	s_mov_b32 s1, 0
.LBB159_16:                             ;   in Loop: Header=BB159_8 Depth=1
	s_delay_alu instid0(SALU_CYCLE_1)
	s_and_not1_b32 vcc_lo, exec_lo, s1
	s_cbranch_vccnz .LBB159_24
; %bb.17:                               ;   in Loop: Header=BB159_8 Depth=1
	s_mov_b32 s38, exec_lo
	v_cmpx_gt_i32_e64 s35, v0
	s_cbranch_execz .LBB159_23
; %bb.18:                               ;   in Loop: Header=BB159_8 Depth=1
	s_ashr_i32 s9, s8, 31
	v_mov_b32_e32 v3, v8
	s_lshl_b64 s[0:1], s[8:9], 3
	v_mov_b32_e32 v10, v0
	s_add_u32 s0, s20, s0
	s_addc_u32 s1, s21, s1
	s_ashr_i32 s11, s10, 31
	s_delay_alu instid0(SALU_CYCLE_1) | instskip(SKIP_4) | instid1(SALU_CYCLE_1)
	s_lshl_b64 s[14:15], s[10:11], 3
	s_cmp_gt_i32 s37, 0
	s_mov_b32 s11, 0
	s_cselect_b32 s9, -1, 0
	s_lshl_b64 s[12:13], s[6:7], 3
	s_add_u32 s12, s26, s12
	s_addc_u32 s13, s27, s13
	s_add_i32 s39, s36, 8
	s_load_b64 s[12:13], s[12:13], 0x0
	s_add_u32 s40, s20, s14
	s_addc_u32 s41, s21, s15
	s_branch .LBB159_20
.LBB159_19:                             ;   in Loop: Header=BB159_20 Depth=2
	s_waitcnt lgkmcnt(0)
	s_delay_alu instid0(VALU_DEP_1) | instskip(SKIP_2) | instid1(VALU_DEP_3)
	v_dual_mul_f32 v14, s13, v11 :: v_dual_lshlrev_b32 v13, 3, v10
	v_add_nc_u32_e32 v3, s33, v3
	v_dual_mul_f32 v15, s13, v12 :: v_dual_add_nc_u32 v10, s19, v10
	v_add_nc_u32_e32 v4, s39, v13
	s_delay_alu instid0(VALU_DEP_4) | instskip(NEXT) | instid1(VALU_DEP_3)
	v_fma_f32 v12, v12, s12, -v14
	v_fmac_f32_e32 v15, s12, v11
	s_delay_alu instid0(VALU_DEP_4)
	v_cmp_le_i32_e32 vcc_lo, s35, v10
	ds_load_b64 v[4:5], v4
	v_add_nc_u32_e32 v11, 0, v13
	s_or_b32 s11, vcc_lo, s11
	s_waitcnt lgkmcnt(0)
	v_dual_add_f32 v4, v4, v12 :: v_dual_add_f32 v5, v5, v15
	ds_store_b64 v11, v[4:5]
	s_and_not1_b32 exec_lo, exec_lo, s11
	s_cbranch_execz .LBB159_23
.LBB159_20:                             ;   Parent Loop BB159_8 Depth=1
                                        ; =>  This Loop Header: Depth=2
                                        ;       Child Loop BB159_22 Depth 3
	v_dual_mov_b32 v11, 0 :: v_dual_mov_b32 v12, 0
	s_and_not1_b32 vcc_lo, exec_lo, s9
	s_cbranch_vccnz .LBB159_19
; %bb.21:                               ;   in Loop: Header=BB159_20 Depth=2
	v_ashrrev_i32_e32 v4, 31, v3
	v_dual_mov_b32 v11, 0 :: v_dual_mov_b32 v12, 0
	s_mov_b32 s42, 0
	s_mov_b64 s[14:15], s[0:1]
	s_delay_alu instid0(VALU_DEP_2) | instskip(NEXT) | instid1(VALU_DEP_1)
	v_lshlrev_b64 v[4:5], 3, v[3:4]
	v_add_co_u32 v4, vcc_lo, s40, v4
	s_delay_alu instid0(VALU_DEP_2)
	v_add_co_ci_u32_e32 v5, vcc_lo, s41, v5, vcc_lo
	.p2align	6
.LBB159_22:                             ;   Parent Loop BB159_8 Depth=1
                                        ;     Parent Loop BB159_20 Depth=2
                                        ; =>    This Inner Loop Header: Depth=3
	global_load_b64 v[13:14], v[4:5], off offset:-4
	s_add_u32 s44, s14, -4
	s_addc_u32 s45, s15, -1
	v_add_co_u32 v4, vcc_lo, v4, 8
	s_load_b64 s[44:45], s[44:45], 0x0
	v_add_co_ci_u32_e32 v5, vcc_lo, 0, v5, vcc_lo
	s_add_i32 s42, s42, 1
	s_add_u32 s14, s14, 8
	s_addc_u32 s15, s15, 0
	s_cmp_ge_i32 s42, s37
	s_waitcnt vmcnt(0) lgkmcnt(0)
	v_mul_f32_e32 v15, s45, v14
	s_delay_alu instid0(VALU_DEP_1) | instskip(NEXT) | instid1(VALU_DEP_1)
	v_dual_mul_f32 v14, s44, v14 :: v_dual_fmac_f32 v15, s44, v13
	v_fma_f32 v13, v13, s45, -v14
	s_delay_alu instid0(VALU_DEP_1)
	v_dual_add_f32 v12, v12, v15 :: v_dual_add_f32 v11, v11, v13
	s_cbranch_scc0 .LBB159_22
	s_branch .LBB159_19
.LBB159_23:                             ;   in Loop: Header=BB159_8 Depth=1
	s_or_b32 exec_lo, exec_lo, s38
.LBB159_24:                             ;   in Loop: Header=BB159_8 Depth=1
	s_delay_alu instid0(SALU_CYCLE_1)
	s_mov_b32 s0, exec_lo
	s_waitcnt lgkmcnt(0)
	s_barrier
	buffer_gl0_inv
	v_cmpx_gt_i32_e64 s35, v0
	s_cbranch_execz .LBB159_7
; %bb.25:                               ;   in Loop: Header=BB159_8 Depth=1
	v_dual_mov_b32 v5, v9 :: v_dual_mov_b32 v10, v0
	s_add_i32 s36, s36, 8
	s_mov_b32 s1, 0
	s_set_inst_prefetch_distance 0x1
	.p2align	6
.LBB159_26:                             ;   Parent Loop BB159_8 Depth=1
                                        ; =>  This Loop Header: Depth=2
                                        ;       Child Loop BB159_27 Depth 3
	v_dual_mov_b32 v3, 0 :: v_dual_mov_b32 v4, 0
	v_mov_b32_e32 v11, v5
	s_mov_b32 s11, -1
	s_mov_b32 s9, 0
	s_mov_b32 s12, 0
	.p2align	6
.LBB159_27:                             ;   Parent Loop BB159_8 Depth=1
                                        ;     Parent Loop BB159_26 Depth=2
                                        ; =>    This Inner Loop Header: Depth=3
	s_delay_alu instid0(SALU_CYCLE_1)
	v_mov_b32_e32 v14, s12
	s_add_i32 s11, s11, 1
	s_add_i32 s12, s12, 8
	v_cmp_eq_u32_e32 vcc_lo, s11, v10
	ds_load_b64 v[12:13], v11
	ds_load_b64 v[14:15], v14
	v_add_nc_u32_e32 v11, s28, v11
	s_or_b32 s9, vcc_lo, s9
	s_waitcnt lgkmcnt(0)
	v_mul_f32_e32 v16, v15, v13
	v_mul_f32_e32 v13, v14, v13
	s_delay_alu instid0(VALU_DEP_2) | instskip(NEXT) | instid1(VALU_DEP_2)
	v_fma_f32 v14, v14, v12, -v16
	v_fmac_f32_e32 v13, v15, v12
	s_delay_alu instid0(VALU_DEP_1)
	v_dual_add_f32 v3, v3, v14 :: v_dual_add_f32 v4, v4, v13
	s_and_not1_b32 exec_lo, exec_lo, s9
	s_cbranch_execnz .LBB159_27
; %bb.28:                               ;   in Loop: Header=BB159_26 Depth=2
	s_or_b32 exec_lo, exec_lo, s9
	v_lshl_add_u32 v11, v10, 3, s36
	v_add_nc_u32_e32 v10, s19, v10
	v_add_nc_u32_e32 v5, s22, v5
	ds_store_b64 v11, v[3:4]
	v_cmp_le_i32_e32 vcc_lo, s35, v10
	s_or_b32 s1, vcc_lo, s1
	s_delay_alu instid0(SALU_CYCLE_1)
	s_and_not1_b32 exec_lo, exec_lo, s1
	s_cbranch_execnz .LBB159_26
	s_branch .LBB159_7
.LBB159_29:
	s_and_saveexec_b32 s0, s2
	s_cbranch_execz .LBB159_34
; %bb.30:
	s_lshl_b32 s1, s18, 3
	s_mov_b32 s2, 0
	v_add3_u32 v3, 0, s1, v7
	s_lshl_b32 s4, s19, 3
	.p2align	6
.LBB159_31:                             ; =>This Loop Header: Depth=1
                                        ;     Child Loop BB159_32 Depth 2
	s_delay_alu instid0(VALU_DEP_1)
	v_dual_mov_b32 v4, v3 :: v_dual_mov_b32 v1, v0
	s_mov_b32 s5, 0
	s_mov_b32 s6, 0
	.p2align	6
.LBB159_32:                             ;   Parent Loop BB159_31 Depth=1
                                        ; =>  This Inner Loop Header: Depth=2
	ds_load_b64 v[7:8], v4
	v_ashrrev_i32_e32 v2, 31, v1
	s_add_i32 s6, s6, 1
	v_add_nc_u32_e32 v4, s1, v4
	v_cmp_eq_u32_e32 vcc_lo, s6, v6
	s_delay_alu instid0(VALU_DEP_3) | instskip(SKIP_2) | instid1(VALU_DEP_2)
	v_lshlrev_b64 v[9:10], 3, v[1:2]
	v_add_nc_u32_e32 v1, s3, v1
	s_or_b32 s5, vcc_lo, s5
	v_add_co_u32 v9, s0, s24, v9
	s_delay_alu instid0(VALU_DEP_1)
	v_add_co_ci_u32_e64 v10, s0, s25, v10, s0
	s_waitcnt lgkmcnt(0)
	global_store_b64 v[9:10], v[7:8], off
	s_and_not1_b32 exec_lo, exec_lo, s5
	s_cbranch_execnz .LBB159_32
; %bb.33:                               ;   in Loop: Header=BB159_31 Depth=1
	s_or_b32 exec_lo, exec_lo, s5
	v_add_nc_u32_e32 v0, s19, v0
	v_add_nc_u32_e32 v6, s19, v6
	;; [unrolled: 1-line block ×3, first 2 shown]
	s_delay_alu instid0(VALU_DEP_3) | instskip(SKIP_1) | instid1(SALU_CYCLE_1)
	v_cmp_le_i32_e32 vcc_lo, s18, v0
	s_or_b32 s2, vcc_lo, s2
	s_and_not1_b32 exec_lo, exec_lo, s2
	s_cbranch_execnz .LBB159_31
.LBB159_34:
	s_nop 0
	s_sendmsg sendmsg(MSG_DEALLOC_VGPRS)
	s_endpgm
	.section	.rodata,"a",@progbits
	.p2align	6, 0x0
	.amdhsa_kernel _ZN9rocsolver6v33100L21larft_kernel_backwardI19rocblas_complex_numIfEPS3_EEv15rocblas_storev_iiT0_iilPT_lS8_il
		.amdhsa_group_segment_fixed_size 0
		.amdhsa_private_segment_fixed_size 0
		.amdhsa_kernarg_size 336
		.amdhsa_user_sgpr_count 14
		.amdhsa_user_sgpr_dispatch_ptr 0
		.amdhsa_user_sgpr_queue_ptr 0
		.amdhsa_user_sgpr_kernarg_segment_ptr 1
		.amdhsa_user_sgpr_dispatch_id 0
		.amdhsa_user_sgpr_private_segment_size 0
		.amdhsa_wavefront_size32 1
		.amdhsa_uses_dynamic_stack 0
		.amdhsa_enable_private_segment 0
		.amdhsa_system_sgpr_workgroup_id_x 1
		.amdhsa_system_sgpr_workgroup_id_y 1
		.amdhsa_system_sgpr_workgroup_id_z 0
		.amdhsa_system_sgpr_workgroup_info 0
		.amdhsa_system_vgpr_workitem_id 0
		.amdhsa_next_free_vgpr 17
		.amdhsa_next_free_sgpr 46
		.amdhsa_reserve_vcc 1
		.amdhsa_float_round_mode_32 0
		.amdhsa_float_round_mode_16_64 0
		.amdhsa_float_denorm_mode_32 3
		.amdhsa_float_denorm_mode_16_64 3
		.amdhsa_dx10_clamp 1
		.amdhsa_ieee_mode 1
		.amdhsa_fp16_overflow 0
		.amdhsa_workgroup_processor_mode 1
		.amdhsa_memory_ordered 1
		.amdhsa_forward_progress 0
		.amdhsa_shared_vgpr_count 0
		.amdhsa_exception_fp_ieee_invalid_op 0
		.amdhsa_exception_fp_denorm_src 0
		.amdhsa_exception_fp_ieee_div_zero 0
		.amdhsa_exception_fp_ieee_overflow 0
		.amdhsa_exception_fp_ieee_underflow 0
		.amdhsa_exception_fp_ieee_inexact 0
		.amdhsa_exception_int_div_zero 0
	.end_amdhsa_kernel
	.section	.text._ZN9rocsolver6v33100L21larft_kernel_backwardI19rocblas_complex_numIfEPS3_EEv15rocblas_storev_iiT0_iilPT_lS8_il,"axG",@progbits,_ZN9rocsolver6v33100L21larft_kernel_backwardI19rocblas_complex_numIfEPS3_EEv15rocblas_storev_iiT0_iilPT_lS8_il,comdat
.Lfunc_end159:
	.size	_ZN9rocsolver6v33100L21larft_kernel_backwardI19rocblas_complex_numIfEPS3_EEv15rocblas_storev_iiT0_iilPT_lS8_il, .Lfunc_end159-_ZN9rocsolver6v33100L21larft_kernel_backwardI19rocblas_complex_numIfEPS3_EEv15rocblas_storev_iiT0_iilPT_lS8_il
                                        ; -- End function
	.section	.AMDGPU.csdata,"",@progbits
; Kernel info:
; codeLenInByte = 1808
; NumSgprs: 48
; NumVgprs: 17
; ScratchSize: 0
; MemoryBound: 0
; FloatMode: 240
; IeeeMode: 1
; LDSByteSize: 0 bytes/workgroup (compile time only)
; SGPRBlocks: 5
; VGPRBlocks: 2
; NumSGPRsForWavesPerEU: 48
; NumVGPRsForWavesPerEU: 17
; Occupancy: 16
; WaveLimiterHint : 0
; COMPUTE_PGM_RSRC2:SCRATCH_EN: 0
; COMPUTE_PGM_RSRC2:USER_SGPR: 14
; COMPUTE_PGM_RSRC2:TRAP_HANDLER: 0
; COMPUTE_PGM_RSRC2:TGID_X_EN: 1
; COMPUTE_PGM_RSRC2:TGID_Y_EN: 1
; COMPUTE_PGM_RSRC2:TGID_Z_EN: 0
; COMPUTE_PGM_RSRC2:TIDIG_COMP_CNT: 0
	.section	.text._ZN9rocsolver6v33100L9copymatA1I19rocblas_complex_numIfEPS3_EEviiT0_iilPT_,"axG",@progbits,_ZN9rocsolver6v33100L9copymatA1I19rocblas_complex_numIfEPS3_EEviiT0_iilPT_,comdat
	.globl	_ZN9rocsolver6v33100L9copymatA1I19rocblas_complex_numIfEPS3_EEviiT0_iilPT_ ; -- Begin function _ZN9rocsolver6v33100L9copymatA1I19rocblas_complex_numIfEPS3_EEviiT0_iilPT_
	.p2align	8
	.type	_ZN9rocsolver6v33100L9copymatA1I19rocblas_complex_numIfEPS3_EEviiT0_iilPT_,@function
_ZN9rocsolver6v33100L9copymatA1I19rocblas_complex_numIfEPS3_EEviiT0_iilPT_: ; @_ZN9rocsolver6v33100L9copymatA1I19rocblas_complex_numIfEPS3_EEviiT0_iilPT_
; %bb.0:
	s_clause 0x1
	s_load_b32 s2, s[0:1], 0x34
	s_load_b64 s[8:9], s[0:1], 0x0
	v_bfe_u32 v2, v0, 10, 10
	v_and_b32_e32 v3, 0x3ff, v0
	s_waitcnt lgkmcnt(0)
	s_lshr_b32 s3, s2, 16
	s_and_b32 s2, s2, 0xffff
	s_delay_alu instid0(VALU_DEP_1) | instskip(SKIP_1) | instid1(VALU_DEP_2)
	v_mad_u64_u32 v[0:1], null, s14, s3, v[2:3]
	v_mad_u64_u32 v[1:2], null, s13, s2, v[3:4]
	v_cmp_gt_u32_e32 vcc_lo, s8, v0
	s_delay_alu instid0(VALU_DEP_2) | instskip(NEXT) | instid1(VALU_DEP_1)
	v_cmp_gt_u32_e64 s2, s9, v1
	s_and_b32 s2, s2, vcc_lo
	s_delay_alu instid0(SALU_CYCLE_1)
	s_and_saveexec_b32 s3, s2
	s_cbranch_execz .LBB160_2
; %bb.1:
	s_load_b256 s[0:7], s[0:1], 0x8
	s_ashr_i32 s10, s8, 31
	s_ashr_i32 s11, s9, 31
	s_mul_hi_u32 s12, s8, s15
	s_mul_i32 s13, s8, s15
	s_mul_i32 s10, s10, s15
	;; [unrolled: 1-line block ×3, first 2 shown]
	s_mul_hi_u32 s14, s13, s9
	s_add_i32 s10, s12, s10
	s_add_i32 s11, s14, s11
	s_mul_i32 s12, s10, s9
	s_mul_i32 s10, s13, s9
	s_add_i32 s11, s11, s12
	v_mad_u64_u32 v[6:7], null, v1, s8, v[0:1]
	s_lshl_b64 s[10:11], s[10:11], 3
	s_waitcnt lgkmcnt(0)
	v_mad_u64_u32 v[2:3], null, v1, s3, v[0:1]
	s_add_u32 s9, s6, s10
	s_mul_i32 s5, s15, s5
	s_mul_hi_u32 s10, s15, s4
	v_mov_b32_e32 v3, 0
	s_mul_i32 s4, s15, s4
	s_addc_u32 s3, s7, s11
	s_add_i32 s5, s10, s5
	s_mov_b32 s6, s2
	s_lshl_b64 s[4:5], s[4:5], 3
	s_ashr_i32 s7, s2, 31
	v_lshlrev_b64 v[4:5], 3, v[2:3]
	s_add_u32 s2, s0, s4
	s_addc_u32 s4, s1, s5
	s_lshl_b64 s[0:1], s[6:7], 3
	v_mov_b32_e32 v7, v3
	s_add_u32 s0, s2, s0
	s_addc_u32 s1, s4, s1
	v_add_co_u32 v4, vcc_lo, s0, v4
	v_add_co_ci_u32_e32 v5, vcc_lo, s1, v5, vcc_lo
	v_lshlrev_b64 v[0:1], 3, v[6:7]
	global_load_b64 v[4:5], v[4:5], off
	v_add_co_u32 v0, vcc_lo, s9, v0
	v_add_co_ci_u32_e32 v1, vcc_lo, s3, v1, vcc_lo
	s_waitcnt vmcnt(0)
	global_store_b64 v[0:1], v[4:5], off
.LBB160_2:
	s_nop 0
	s_sendmsg sendmsg(MSG_DEALLOC_VGPRS)
	s_endpgm
	.section	.rodata,"a",@progbits
	.p2align	6, 0x0
	.amdhsa_kernel _ZN9rocsolver6v33100L9copymatA1I19rocblas_complex_numIfEPS3_EEviiT0_iilPT_
		.amdhsa_group_segment_fixed_size 0
		.amdhsa_private_segment_fixed_size 0
		.amdhsa_kernarg_size 296
		.amdhsa_user_sgpr_count 13
		.amdhsa_user_sgpr_dispatch_ptr 0
		.amdhsa_user_sgpr_queue_ptr 0
		.amdhsa_user_sgpr_kernarg_segment_ptr 1
		.amdhsa_user_sgpr_dispatch_id 0
		.amdhsa_user_sgpr_private_segment_size 0
		.amdhsa_wavefront_size32 1
		.amdhsa_uses_dynamic_stack 0
		.amdhsa_enable_private_segment 0
		.amdhsa_system_sgpr_workgroup_id_x 1
		.amdhsa_system_sgpr_workgroup_id_y 1
		.amdhsa_system_sgpr_workgroup_id_z 1
		.amdhsa_system_sgpr_workgroup_info 0
		.amdhsa_system_vgpr_workitem_id 1
		.amdhsa_next_free_vgpr 8
		.amdhsa_next_free_sgpr 16
		.amdhsa_reserve_vcc 1
		.amdhsa_float_round_mode_32 0
		.amdhsa_float_round_mode_16_64 0
		.amdhsa_float_denorm_mode_32 3
		.amdhsa_float_denorm_mode_16_64 3
		.amdhsa_dx10_clamp 1
		.amdhsa_ieee_mode 1
		.amdhsa_fp16_overflow 0
		.amdhsa_workgroup_processor_mode 1
		.amdhsa_memory_ordered 1
		.amdhsa_forward_progress 0
		.amdhsa_shared_vgpr_count 0
		.amdhsa_exception_fp_ieee_invalid_op 0
		.amdhsa_exception_fp_denorm_src 0
		.amdhsa_exception_fp_ieee_div_zero 0
		.amdhsa_exception_fp_ieee_overflow 0
		.amdhsa_exception_fp_ieee_underflow 0
		.amdhsa_exception_fp_ieee_inexact 0
		.amdhsa_exception_int_div_zero 0
	.end_amdhsa_kernel
	.section	.text._ZN9rocsolver6v33100L9copymatA1I19rocblas_complex_numIfEPS3_EEviiT0_iilPT_,"axG",@progbits,_ZN9rocsolver6v33100L9copymatA1I19rocblas_complex_numIfEPS3_EEviiT0_iilPT_,comdat
.Lfunc_end160:
	.size	_ZN9rocsolver6v33100L9copymatA1I19rocblas_complex_numIfEPS3_EEviiT0_iilPT_, .Lfunc_end160-_ZN9rocsolver6v33100L9copymatA1I19rocblas_complex_numIfEPS3_EEviiT0_iilPT_
                                        ; -- End function
	.section	.AMDGPU.csdata,"",@progbits
; Kernel info:
; codeLenInByte = 320
; NumSgprs: 18
; NumVgprs: 8
; ScratchSize: 0
; MemoryBound: 0
; FloatMode: 240
; IeeeMode: 1
; LDSByteSize: 0 bytes/workgroup (compile time only)
; SGPRBlocks: 2
; VGPRBlocks: 0
; NumSGPRsForWavesPerEU: 18
; NumVGPRsForWavesPerEU: 8
; Occupancy: 16
; WaveLimiterHint : 0
; COMPUTE_PGM_RSRC2:SCRATCH_EN: 0
; COMPUTE_PGM_RSRC2:USER_SGPR: 13
; COMPUTE_PGM_RSRC2:TRAP_HANDLER: 0
; COMPUTE_PGM_RSRC2:TGID_X_EN: 1
; COMPUTE_PGM_RSRC2:TGID_Y_EN: 1
; COMPUTE_PGM_RSRC2:TGID_Z_EN: 1
; COMPUTE_PGM_RSRC2:TIDIG_COMP_CNT: 1
	.section	.text._ZN9rocsolver6v33100L8addmatA1I19rocblas_complex_numIfEPS3_EEviiT0_iilPT_,"axG",@progbits,_ZN9rocsolver6v33100L8addmatA1I19rocblas_complex_numIfEPS3_EEviiT0_iilPT_,comdat
	.globl	_ZN9rocsolver6v33100L8addmatA1I19rocblas_complex_numIfEPS3_EEviiT0_iilPT_ ; -- Begin function _ZN9rocsolver6v33100L8addmatA1I19rocblas_complex_numIfEPS3_EEviiT0_iilPT_
	.p2align	8
	.type	_ZN9rocsolver6v33100L8addmatA1I19rocblas_complex_numIfEPS3_EEviiT0_iilPT_,@function
_ZN9rocsolver6v33100L8addmatA1I19rocblas_complex_numIfEPS3_EEviiT0_iilPT_: ; @_ZN9rocsolver6v33100L8addmatA1I19rocblas_complex_numIfEPS3_EEviiT0_iilPT_
; %bb.0:
	s_clause 0x1
	s_load_b32 s2, s[0:1], 0x34
	s_load_b64 s[8:9], s[0:1], 0x0
	v_bfe_u32 v2, v0, 10, 10
	v_and_b32_e32 v3, 0x3ff, v0
	s_waitcnt lgkmcnt(0)
	s_lshr_b32 s3, s2, 16
	s_and_b32 s2, s2, 0xffff
	s_delay_alu instid0(VALU_DEP_1) | instskip(SKIP_1) | instid1(VALU_DEP_2)
	v_mad_u64_u32 v[0:1], null, s14, s3, v[2:3]
	v_mad_u64_u32 v[1:2], null, s13, s2, v[3:4]
	v_cmp_gt_u32_e32 vcc_lo, s8, v0
	s_delay_alu instid0(VALU_DEP_2) | instskip(NEXT) | instid1(VALU_DEP_1)
	v_cmp_gt_u32_e64 s2, s9, v1
	s_and_b32 s2, s2, vcc_lo
	s_delay_alu instid0(SALU_CYCLE_1)
	s_and_saveexec_b32 s3, s2
	s_cbranch_execz .LBB161_2
; %bb.1:
	s_load_b256 s[0:7], s[0:1], 0x8
	s_ashr_i32 s10, s8, 31
	s_ashr_i32 s11, s9, 31
	s_mul_hi_u32 s12, s8, s15
	s_mul_i32 s13, s8, s15
	s_mul_i32 s10, s10, s15
	s_mul_i32 s11, s13, s11
	s_mul_hi_u32 s14, s13, s9
	s_add_i32 s10, s12, s10
	s_add_i32 s11, s14, s11
	s_mul_i32 s12, s10, s9
	v_mad_u64_u32 v[2:3], null, v1, s8, v[0:1]
	v_mov_b32_e32 v3, 0
	s_mul_i32 s10, s13, s9
	s_add_i32 s11, s11, s12
	s_delay_alu instid0(SALU_CYCLE_1)
	s_lshl_b64 s[8:9], s[10:11], 3
	s_waitcnt lgkmcnt(0)
	v_mad_u64_u32 v[4:5], null, v1, s3, v[0:1]
	s_add_u32 s8, s6, s8
	s_mul_i32 s5, s15, s5
	s_mul_hi_u32 s6, s15, s4
	v_mov_b32_e32 v5, v3
	s_mul_i32 s4, s15, s4
	s_addc_u32 s9, s7, s9
	s_add_i32 s5, s6, s5
	v_lshlrev_b64 v[0:1], 3, v[2:3]
	s_lshl_b64 s[4:5], s[4:5], 3
	s_mov_b32 s6, s2
	s_ashr_i32 s7, s2, 31
	v_lshlrev_b64 v[2:3], 3, v[4:5]
	s_add_u32 s2, s0, s4
	s_addc_u32 s3, s1, s5
	s_lshl_b64 s[0:1], s[6:7], 3
	v_add_co_u32 v0, vcc_lo, s8, v0
	s_add_u32 s0, s2, s0
	v_add_co_ci_u32_e32 v1, vcc_lo, s9, v1, vcc_lo
	s_addc_u32 s1, s3, s1
	v_add_co_u32 v2, vcc_lo, s0, v2
	v_add_co_ci_u32_e32 v3, vcc_lo, s1, v3, vcc_lo
	global_load_b64 v[0:1], v[0:1], off
	global_load_b64 v[4:5], v[2:3], off
	s_waitcnt vmcnt(0)
	v_dual_sub_f32 v0, v4, v0 :: v_dual_sub_f32 v1, v5, v1
	global_store_b64 v[2:3], v[0:1], off
.LBB161_2:
	s_nop 0
	s_sendmsg sendmsg(MSG_DEALLOC_VGPRS)
	s_endpgm
	.section	.rodata,"a",@progbits
	.p2align	6, 0x0
	.amdhsa_kernel _ZN9rocsolver6v33100L8addmatA1I19rocblas_complex_numIfEPS3_EEviiT0_iilPT_
		.amdhsa_group_segment_fixed_size 0
		.amdhsa_private_segment_fixed_size 0
		.amdhsa_kernarg_size 296
		.amdhsa_user_sgpr_count 13
		.amdhsa_user_sgpr_dispatch_ptr 0
		.amdhsa_user_sgpr_queue_ptr 0
		.amdhsa_user_sgpr_kernarg_segment_ptr 1
		.amdhsa_user_sgpr_dispatch_id 0
		.amdhsa_user_sgpr_private_segment_size 0
		.amdhsa_wavefront_size32 1
		.amdhsa_uses_dynamic_stack 0
		.amdhsa_enable_private_segment 0
		.amdhsa_system_sgpr_workgroup_id_x 1
		.amdhsa_system_sgpr_workgroup_id_y 1
		.amdhsa_system_sgpr_workgroup_id_z 1
		.amdhsa_system_sgpr_workgroup_info 0
		.amdhsa_system_vgpr_workitem_id 1
		.amdhsa_next_free_vgpr 6
		.amdhsa_next_free_sgpr 16
		.amdhsa_reserve_vcc 1
		.amdhsa_float_round_mode_32 0
		.amdhsa_float_round_mode_16_64 0
		.amdhsa_float_denorm_mode_32 3
		.amdhsa_float_denorm_mode_16_64 3
		.amdhsa_dx10_clamp 1
		.amdhsa_ieee_mode 1
		.amdhsa_fp16_overflow 0
		.amdhsa_workgroup_processor_mode 1
		.amdhsa_memory_ordered 1
		.amdhsa_forward_progress 0
		.amdhsa_shared_vgpr_count 0
		.amdhsa_exception_fp_ieee_invalid_op 0
		.amdhsa_exception_fp_denorm_src 0
		.amdhsa_exception_fp_ieee_div_zero 0
		.amdhsa_exception_fp_ieee_overflow 0
		.amdhsa_exception_fp_ieee_underflow 0
		.amdhsa_exception_fp_ieee_inexact 0
		.amdhsa_exception_int_div_zero 0
	.end_amdhsa_kernel
	.section	.text._ZN9rocsolver6v33100L8addmatA1I19rocblas_complex_numIfEPS3_EEviiT0_iilPT_,"axG",@progbits,_ZN9rocsolver6v33100L8addmatA1I19rocblas_complex_numIfEPS3_EEviiT0_iilPT_,comdat
.Lfunc_end161:
	.size	_ZN9rocsolver6v33100L8addmatA1I19rocblas_complex_numIfEPS3_EEviiT0_iilPT_, .Lfunc_end161-_ZN9rocsolver6v33100L8addmatA1I19rocblas_complex_numIfEPS3_EEviiT0_iilPT_
                                        ; -- End function
	.section	.AMDGPU.csdata,"",@progbits
; Kernel info:
; codeLenInByte = 340
; NumSgprs: 18
; NumVgprs: 6
; ScratchSize: 0
; MemoryBound: 0
; FloatMode: 240
; IeeeMode: 1
; LDSByteSize: 0 bytes/workgroup (compile time only)
; SGPRBlocks: 2
; VGPRBlocks: 0
; NumSGPRsForWavesPerEU: 18
; NumVGPRsForWavesPerEU: 6
; Occupancy: 16
; WaveLimiterHint : 0
; COMPUTE_PGM_RSRC2:SCRATCH_EN: 0
; COMPUTE_PGM_RSRC2:USER_SGPR: 13
; COMPUTE_PGM_RSRC2:TRAP_HANDLER: 0
; COMPUTE_PGM_RSRC2:TGID_X_EN: 1
; COMPUTE_PGM_RSRC2:TGID_Y_EN: 1
; COMPUTE_PGM_RSRC2:TGID_Z_EN: 1
; COMPUTE_PGM_RSRC2:TIDIG_COMP_CNT: 1
	.section	.text._ZN9rocsolver6v33100L8copy_matI19rocblas_complex_numIfEPS3_S4_NS0_7no_maskEEEviiT0_iilT1_iilT2_13rocblas_fill_17rocblas_diagonal_,"axG",@progbits,_ZN9rocsolver6v33100L8copy_matI19rocblas_complex_numIfEPS3_S4_NS0_7no_maskEEEviiT0_iilT1_iilT2_13rocblas_fill_17rocblas_diagonal_,comdat
	.globl	_ZN9rocsolver6v33100L8copy_matI19rocblas_complex_numIfEPS3_S4_NS0_7no_maskEEEviiT0_iilT1_iilT2_13rocblas_fill_17rocblas_diagonal_ ; -- Begin function _ZN9rocsolver6v33100L8copy_matI19rocblas_complex_numIfEPS3_S4_NS0_7no_maskEEEviiT0_iilT1_iilT2_13rocblas_fill_17rocblas_diagonal_
	.p2align	8
	.type	_ZN9rocsolver6v33100L8copy_matI19rocblas_complex_numIfEPS3_S4_NS0_7no_maskEEEviiT0_iilT1_iilT2_13rocblas_fill_17rocblas_diagonal_,@function
_ZN9rocsolver6v33100L8copy_matI19rocblas_complex_numIfEPS3_S4_NS0_7no_maskEEEviiT0_iilT1_iilT2_13rocblas_fill_17rocblas_diagonal_: ; @_ZN9rocsolver6v33100L8copy_matI19rocblas_complex_numIfEPS3_S4_NS0_7no_maskEEEviiT0_iilT1_iilT2_13rocblas_fill_17rocblas_diagonal_
; %bb.0:
	s_clause 0x1
	s_load_b32 s4, s[0:1], 0x54
	s_load_b64 s[2:3], s[0:1], 0x0
	v_and_b32_e32 v2, 0x3ff, v0
	v_bfe_u32 v3, v0, 10, 10
	s_waitcnt lgkmcnt(0)
	s_lshr_b32 s5, s4, 16
	s_and_b32 s4, s4, 0xffff
	s_delay_alu instid0(VALU_DEP_1) | instid1(SALU_CYCLE_1)
	v_mad_u64_u32 v[0:1], null, s13, s4, v[2:3]
	v_mad_u64_u32 v[1:2], null, s14, s5, v[3:4]
	s_delay_alu instid0(VALU_DEP_2) | instskip(NEXT) | instid1(VALU_DEP_2)
	v_cmp_gt_u32_e32 vcc_lo, s2, v0
	v_cmp_gt_u32_e64 s2, s3, v1
	s_delay_alu instid0(VALU_DEP_1) | instskip(NEXT) | instid1(SALU_CYCLE_1)
	s_and_b32 s2, s2, vcc_lo
	s_and_saveexec_b32 s3, s2
	s_cbranch_execz .LBB162_14
; %bb.1:
	s_load_b64 s[4:5], s[0:1], 0x3c
	s_waitcnt lgkmcnt(0)
	s_cmpk_lt_i32 s4, 0x7a
	s_cbranch_scc1 .LBB162_4
; %bb.2:
	s_cmpk_gt_i32 s4, 0x7a
	s_cbranch_scc0 .LBB162_5
; %bb.3:
	s_cmpk_lg_i32 s4, 0x7b
	s_mov_b32 s3, -1
	s_cselect_b32 s6, -1, 0
	s_cbranch_execz .LBB162_6
	s_branch .LBB162_7
.LBB162_4:
	s_mov_b32 s6, 0
	s_mov_b32 s3, 0
	s_cbranch_execnz .LBB162_8
	s_branch .LBB162_10
.LBB162_5:
	s_mov_b32 s3, 0
	s_mov_b32 s6, 0
.LBB162_6:
	v_cmp_gt_u32_e32 vcc_lo, v0, v1
	v_cmp_le_u32_e64 s2, v0, v1
	s_and_not1_b32 s3, s3, exec_lo
	s_and_not1_b32 s6, s6, exec_lo
	s_and_b32 s7, vcc_lo, exec_lo
	s_delay_alu instid0(VALU_DEP_1)
	s_and_b32 s2, s2, exec_lo
	s_or_b32 s3, s3, s7
	s_or_b32 s6, s6, s2
.LBB162_7:
	s_branch .LBB162_10
.LBB162_8:
	s_cmpk_eq_i32 s4, 0x79
	s_mov_b32 s6, -1
	s_cbranch_scc0 .LBB162_10
; %bb.9:
	v_cmp_gt_u32_e32 vcc_lo, v1, v0
	v_cmp_le_u32_e64 s2, v1, v0
	s_and_not1_b32 s3, s3, exec_lo
	s_and_b32 s4, vcc_lo, exec_lo
	s_delay_alu instid0(VALU_DEP_1)
	s_or_not1_b32 s6, s2, exec_lo
	s_or_b32 s3, s3, s4
.LBB162_10:
	s_and_saveexec_b32 s2, s6
; %bb.11:
	v_cmp_eq_u32_e32 vcc_lo, v0, v1
	s_cmpk_eq_i32 s5, 0x83
	s_cselect_b32 s4, -1, 0
	s_and_not1_b32 s3, s3, exec_lo
	s_and_b32 s4, s4, vcc_lo
	s_delay_alu instid0(SALU_CYCLE_1) | instskip(NEXT) | instid1(SALU_CYCLE_1)
	s_and_b32 s4, s4, exec_lo
	s_or_b32 s3, s3, s4
; %bb.12:
	s_or_b32 exec_lo, exec_lo, s2
	s_delay_alu instid0(SALU_CYCLE_1)
	s_and_b32 exec_lo, exec_lo, s3
	s_cbranch_execz .LBB162_14
; %bb.13:
	s_load_b256 s[4:11], s[0:1], 0x8
	s_waitcnt lgkmcnt(0)
	v_mad_u64_u32 v[2:3], null, v1, s7, v[0:1]
	s_mul_i32 s2, s15, s9
	s_mul_hi_u32 s9, s15, s8
	v_mov_b32_e32 v3, 0
	s_mul_i32 s8, s15, s8
	s_add_i32 s9, s9, s2
	s_ashr_i32 s3, s6, 31
	s_lshl_b64 s[8:9], s[8:9], 3
	s_mov_b32 s2, s6
	v_lshlrev_b64 v[4:5], 3, v[2:3]
	s_add_u32 s4, s4, s8
	s_addc_u32 s5, s5, s9
	s_lshl_b64 s[2:3], s[2:3], 3
	s_delay_alu instid0(SALU_CYCLE_1)
	s_add_u32 s2, s4, s2
	s_addc_u32 s3, s5, s3
	v_add_co_u32 v4, vcc_lo, s2, v4
	v_add_co_ci_u32_e32 v5, vcc_lo, s3, v5, vcc_lo
	s_load_b128 s[0:3], s[0:1], 0x28
	global_load_b64 v[4:5], v[4:5], off
	s_waitcnt lgkmcnt(0)
	v_mad_u64_u32 v[6:7], null, v1, s1, v[0:1]
	s_mul_i32 s3, s15, s3
	s_mul_hi_u32 s4, s15, s2
	v_mov_b32_e32 v7, v3
	s_add_i32 s3, s4, s3
	s_mul_i32 s2, s15, s2
	s_ashr_i32 s5, s0, 31
	s_lshl_b64 s[2:3], s[2:3], 3
	s_mov_b32 s4, s0
	v_lshlrev_b64 v[0:1], 3, v[6:7]
	s_add_u32 s2, s10, s2
	s_addc_u32 s3, s11, s3
	s_lshl_b64 s[0:1], s[4:5], 3
	s_delay_alu instid0(SALU_CYCLE_1)
	s_add_u32 s0, s2, s0
	s_addc_u32 s1, s3, s1
	v_add_co_u32 v0, vcc_lo, s0, v0
	v_add_co_ci_u32_e32 v1, vcc_lo, s1, v1, vcc_lo
	s_waitcnt vmcnt(0)
	global_store_b64 v[0:1], v[4:5], off
.LBB162_14:
	s_nop 0
	s_sendmsg sendmsg(MSG_DEALLOC_VGPRS)
	s_endpgm
	.section	.rodata,"a",@progbits
	.p2align	6, 0x0
	.amdhsa_kernel _ZN9rocsolver6v33100L8copy_matI19rocblas_complex_numIfEPS3_S4_NS0_7no_maskEEEviiT0_iilT1_iilT2_13rocblas_fill_17rocblas_diagonal_
		.amdhsa_group_segment_fixed_size 0
		.amdhsa_private_segment_fixed_size 0
		.amdhsa_kernarg_size 328
		.amdhsa_user_sgpr_count 13
		.amdhsa_user_sgpr_dispatch_ptr 0
		.amdhsa_user_sgpr_queue_ptr 0
		.amdhsa_user_sgpr_kernarg_segment_ptr 1
		.amdhsa_user_sgpr_dispatch_id 0
		.amdhsa_user_sgpr_private_segment_size 0
		.amdhsa_wavefront_size32 1
		.amdhsa_uses_dynamic_stack 0
		.amdhsa_enable_private_segment 0
		.amdhsa_system_sgpr_workgroup_id_x 1
		.amdhsa_system_sgpr_workgroup_id_y 1
		.amdhsa_system_sgpr_workgroup_id_z 1
		.amdhsa_system_sgpr_workgroup_info 0
		.amdhsa_system_vgpr_workitem_id 1
		.amdhsa_next_free_vgpr 8
		.amdhsa_next_free_sgpr 16
		.amdhsa_reserve_vcc 1
		.amdhsa_float_round_mode_32 0
		.amdhsa_float_round_mode_16_64 0
		.amdhsa_float_denorm_mode_32 3
		.amdhsa_float_denorm_mode_16_64 3
		.amdhsa_dx10_clamp 1
		.amdhsa_ieee_mode 1
		.amdhsa_fp16_overflow 0
		.amdhsa_workgroup_processor_mode 1
		.amdhsa_memory_ordered 1
		.amdhsa_forward_progress 0
		.amdhsa_shared_vgpr_count 0
		.amdhsa_exception_fp_ieee_invalid_op 0
		.amdhsa_exception_fp_denorm_src 0
		.amdhsa_exception_fp_ieee_div_zero 0
		.amdhsa_exception_fp_ieee_overflow 0
		.amdhsa_exception_fp_ieee_underflow 0
		.amdhsa_exception_fp_ieee_inexact 0
		.amdhsa_exception_int_div_zero 0
	.end_amdhsa_kernel
	.section	.text._ZN9rocsolver6v33100L8copy_matI19rocblas_complex_numIfEPS3_S4_NS0_7no_maskEEEviiT0_iilT1_iilT2_13rocblas_fill_17rocblas_diagonal_,"axG",@progbits,_ZN9rocsolver6v33100L8copy_matI19rocblas_complex_numIfEPS3_S4_NS0_7no_maskEEEviiT0_iilT1_iilT2_13rocblas_fill_17rocblas_diagonal_,comdat
.Lfunc_end162:
	.size	_ZN9rocsolver6v33100L8copy_matI19rocblas_complex_numIfEPS3_S4_NS0_7no_maskEEEviiT0_iilT1_iilT2_13rocblas_fill_17rocblas_diagonal_, .Lfunc_end162-_ZN9rocsolver6v33100L8copy_matI19rocblas_complex_numIfEPS3_S4_NS0_7no_maskEEEviiT0_iilT1_iilT2_13rocblas_fill_17rocblas_diagonal_
                                        ; -- End function
	.section	.AMDGPU.csdata,"",@progbits
; Kernel info:
; codeLenInByte = 540
; NumSgprs: 18
; NumVgprs: 8
; ScratchSize: 0
; MemoryBound: 0
; FloatMode: 240
; IeeeMode: 1
; LDSByteSize: 0 bytes/workgroup (compile time only)
; SGPRBlocks: 2
; VGPRBlocks: 0
; NumSGPRsForWavesPerEU: 18
; NumVGPRsForWavesPerEU: 8
; Occupancy: 16
; WaveLimiterHint : 0
; COMPUTE_PGM_RSRC2:SCRATCH_EN: 0
; COMPUTE_PGM_RSRC2:USER_SGPR: 13
; COMPUTE_PGM_RSRC2:TRAP_HANDLER: 0
; COMPUTE_PGM_RSRC2:TGID_X_EN: 1
; COMPUTE_PGM_RSRC2:TGID_Y_EN: 1
; COMPUTE_PGM_RSRC2:TGID_Z_EN: 1
; COMPUTE_PGM_RSRC2:TIDIG_COMP_CNT: 1
	.section	.text._ZN9rocsolver6v33100L18geqr2_kernel_smallILi256E19rocblas_complex_numIfEifPS3_EEvT1_S5_T3_lS5_lPT2_lPT0_l,"axG",@progbits,_ZN9rocsolver6v33100L18geqr2_kernel_smallILi256E19rocblas_complex_numIfEifPS3_EEvT1_S5_T3_lS5_lPT2_lPT0_l,comdat
	.globl	_ZN9rocsolver6v33100L18geqr2_kernel_smallILi256E19rocblas_complex_numIfEifPS3_EEvT1_S5_T3_lS5_lPT2_lPT0_l ; -- Begin function _ZN9rocsolver6v33100L18geqr2_kernel_smallILi256E19rocblas_complex_numIfEifPS3_EEvT1_S5_T3_lS5_lPT2_lPT0_l
	.p2align	8
	.type	_ZN9rocsolver6v33100L18geqr2_kernel_smallILi256E19rocblas_complex_numIfEifPS3_EEvT1_S5_T3_lS5_lPT2_lPT0_l,@function
_ZN9rocsolver6v33100L18geqr2_kernel_smallILi256E19rocblas_complex_numIfEifPS3_EEvT1_S5_T3_lS5_lPT2_lPT0_l: ; @_ZN9rocsolver6v33100L18geqr2_kernel_smallILi256E19rocblas_complex_numIfEifPS3_EEvT1_S5_T3_lS5_lPT2_lPT0_l
; %bb.0:
	s_clause 0x4
	s_load_b256 s[4:11], s[0:1], 0x20
	s_load_b64 s[12:13], s[0:1], 0x0
	s_load_b128 s[24:27], s[0:1], 0x8
	s_load_b32 s17, s[0:1], 0x18
	s_load_b64 s[2:3], s[0:1], 0x40
	s_ashr_i32 s21, s15, 31
	v_and_b32_e32 v1, 0x7f, v0
	v_lshrrev_b32_e32 v5, 7, v0
	s_delay_alu instid0(VALU_DEP_2)
	v_lshlrev_b32_e32 v6, 3, v1
	s_waitcnt lgkmcnt(0)
	s_mul_i32 s0, s15, s5
	s_mul_hi_u32 s1, s15, s4
	s_mul_i32 s5, s21, s4
	s_add_i32 s1, s1, s0
	s_mul_i32 s0, s15, s4
	s_add_i32 s1, s1, s5
	s_delay_alu instid0(SALU_CYCLE_1) | instskip(SKIP_4) | instid1(SALU_CYCLE_1)
	s_lshl_b64 s[4:5], s[0:1], 3
	v_cmp_gt_i32_e64 s0, s12, v1
	s_add_u32 s1, s24, s4
	s_addc_u32 s16, s25, s5
	s_lshl_b64 s[4:5], s[26:27], 3
	s_add_u32 s14, s1, s4
	s_addc_u32 s16, s16, s5
	s_and_saveexec_b32 s4, s0
	s_cbranch_execz .LBB163_6
; %bb.1:
	v_lshrrev_b32_e32 v7, 7, v0
	s_mov_b32 s5, 0
	s_lshl_b32 s18, s12, 4
	s_lshl_b32 s19, s17, 1
	v_mov_b32_e32 v9, v1
	v_mul_lo_u32 v2, s12, v7
	v_cmp_gt_i32_e32 vcc_lo, s13, v7
	s_delay_alu instid0(VALU_DEP_2) | instskip(SKIP_1) | instid1(VALU_DEP_2)
	v_lshlrev_b32_e32 v4, 3, v2
	v_mad_u64_u32 v[2:3], null, s17, v7, v[1:2]
	v_add3_u32 v8, v4, v6, 0
	s_set_inst_prefetch_distance 0x1
	s_branch .LBB163_3
	.p2align	6
.LBB163_2:                              ;   in Loop: Header=BB163_3 Depth=1
	s_or_b32 exec_lo, exec_lo, s20
	v_add_nc_u32_e32 v9, 0x80, v9
	v_add_nc_u32_e32 v8, 0x400, v8
	;; [unrolled: 1-line block ×3, first 2 shown]
	s_delay_alu instid0(VALU_DEP_3) | instskip(NEXT) | instid1(VALU_DEP_1)
	v_cmp_le_i32_e64 s1, s12, v9
	s_or_b32 s5, s1, s5
	s_delay_alu instid0(SALU_CYCLE_1)
	s_and_not1_b32 exec_lo, exec_lo, s5
	s_cbranch_execz .LBB163_6
.LBB163_3:                              ; =>This Loop Header: Depth=1
                                        ;     Child Loop BB163_5 Depth 2
	s_and_saveexec_b32 s20, vcc_lo
	s_cbranch_execz .LBB163_2
; %bb.4:                                ;   in Loop: Header=BB163_3 Depth=1
	s_delay_alu instid0(VALU_DEP_2)
	v_dual_mov_b32 v3, v2 :: v_dual_mov_b32 v10, v8
	v_mov_b32_e32 v11, v7
	s_mov_b32 s22, 0
	.p2align	6
.LBB163_5:                              ;   Parent Loop BB163_3 Depth=1
                                        ; =>  This Inner Loop Header: Depth=2
	s_delay_alu instid0(VALU_DEP_2) | instskip(NEXT) | instid1(VALU_DEP_2)
	v_ashrrev_i32_e32 v4, 31, v3
	v_add_nc_u32_e32 v11, 2, v11
	s_delay_alu instid0(VALU_DEP_2) | instskip(SKIP_1) | instid1(VALU_DEP_2)
	v_lshlrev_b64 v[12:13], 3, v[3:4]
	v_add_nc_u32_e32 v3, s19, v3
	v_add_co_u32 v12, s1, s14, v12
	s_delay_alu instid0(VALU_DEP_1)
	v_add_co_ci_u32_e64 v13, s1, s16, v13, s1
	v_cmp_le_i32_e64 s1, s13, v11
	global_load_b64 v[12:13], v[12:13], off
	s_or_b32 s22, s1, s22
	s_waitcnt vmcnt(0)
	ds_store_b64 v10, v[12:13]
	v_add_nc_u32_e32 v10, s18, v10
	s_and_not1_b32 exec_lo, exec_lo, s22
	s_cbranch_execnz .LBB163_5
	s_branch .LBB163_2
.LBB163_6:
	s_set_inst_prefetch_distance 0x2
	s_or_b32 exec_lo, exec_lo, s4
	s_min_i32 s18, s13, s12
	s_waitcnt lgkmcnt(0)
	s_cmp_lt_i32 s18, 1
	s_barrier
	buffer_gl0_inv
	s_cbranch_scc1 .LBB163_44
; %bb.7:
	v_mbcnt_lo_u32_b32 v2, -1, 0
	s_mul_i32 s1, s15, s9
	s_mul_hi_u32 s4, s15, s8
	s_mul_i32 s5, s21, s8
	s_add_i32 s1, s4, s1
	v_cmp_ne_u32_e32 vcc_lo, 31, v2
	s_mul_i32 s4, s15, s8
	s_add_i32 s5, s1, s5
	s_mul_i32 s1, s15, s3
	s_lshl_b64 s[4:5], s[4:5], 2
	v_add_co_ci_u32_e32 v3, vcc_lo, 0, v2, vcc_lo
	v_cmp_gt_u32_e32 vcc_lo, 30, v2
	s_mul_hi_u32 s3, s15, s2
	s_add_u32 s19, s6, s4
	s_addc_u32 s20, s7, s5
	s_add_i32 s1, s3, s1
	v_cndmask_b32_e64 v4, 0, 1, vcc_lo
	v_cmp_gt_u32_e32 vcc_lo, 28, v2
	s_mul_i32 s3, s21, s2
	s_mul_i32 s2, s15, s2
	s_add_i32 s3, s1, s3
	v_lshlrev_b32_e32 v7, 2, v3
	v_cndmask_b32_e64 v8, 0, 1, vcc_lo
	v_cmp_gt_u32_e32 vcc_lo, 24, v2
	v_dual_mov_b32 v16, 1.0 :: v_dual_lshlrev_b32 v3, 1, v4
	s_lshl_b64 s[2:3], s[2:3], 3
	s_delay_alu instid0(VALU_DEP_3)
	v_lshlrev_b32_e32 v4, 2, v8
	v_cndmask_b32_e64 v9, 0, 1, vcc_lo
	v_cmp_gt_u32_e32 vcc_lo, 16, v2
	s_mul_i32 s1, s13, s12
	s_add_u32 s15, s10, s2
	s_addc_u32 s21, s11, s3
	v_lshlrev_b32_e32 v11, 3, v9
	v_cndmask_b32_e64 v10, 0, 1, vcc_lo
	s_lshl_b32 s1, s1, 3
	v_add_lshl_u32 v8, v3, v2, 2
	v_add_lshl_u32 v9, v4, v2, 2
	s_add_i32 s22, s1, 0
	v_lshlrev_b32_e32 v12, 4, v10
	v_add_lshl_u32 v10, v11, v2, 2
	s_lshl_b32 s1, s13, 3
	v_and_b32_e32 v13, 31, v0
	s_add_i32 s23, s22, s1
	v_add_lshl_u32 v11, v12, v2, 2
	v_mad_u64_u32 v[2:3], null, s12, v0, s[12:13]
	v_lshrrev_b32_e32 v4, 2, v0
	v_lshlrev_b32_e32 v3, 3, v0
	s_cmp_lg_u64 s[6:7], 0
	v_cmp_eq_u32_e64 s1, 0, v13
	s_cselect_b32 s7, -1, 0
	s_lshl_b32 s24, s12, 3
	v_cmp_eq_u32_e64 s2, 0, v0
	v_add3_u32 v12, v3, 0, 8
	v_lshl_add_u32 v13, v2, 3, 0
	v_add3_u32 v14, 0, s24, v3
	v_dual_mov_b32 v2, 0 :: v_dual_add_nc_u32 v15, s23, v4
	s_mov_b32 s9, 0
	s_add_i32 s25, s24, 8
	s_lshl_b32 s26, s12, 11
	s_mov_b32 s27, 0
	s_mov_b32 s8, s9
	s_branch .LBB163_9
.LBB163_8:                              ;   in Loop: Header=BB163_9 Depth=1
	s_set_inst_prefetch_distance 0x2
	s_or_b32 exec_lo, exec_lo, s4
	v_add_nc_u32_e32 v12, s25, v12
	v_add_nc_u32_e32 v13, s25, v13
	;; [unrolled: 1-line block ×3, first 2 shown]
	s_add_i32 s8, s8, 1
	s_add_i32 s27, s27, s25
	s_cmp_eq_u32 s8, s18
	s_waitcnt lgkmcnt(0)
	s_barrier
	buffer_gl0_inv
	s_cbranch_scc1 .LBB163_44
.LBB163_9:                              ; =>This Loop Header: Depth=1
                                        ;     Child Loop BB163_11 Depth 2
                                        ;     Child Loop BB163_30 Depth 2
	;; [unrolled: 1-line block ×3, first 2 shown]
                                        ;       Child Loop BB163_36 Depth 3
                                        ;     Child Loop BB163_40 Depth 2
                                        ;       Child Loop BB163_42 Depth 3
	s_sub_i32 s28, s12, s8
	v_dual_mov_b32 v3, 0 :: v_dual_mov_b32 v4, 0
	s_add_i32 s30, s28, -1
	s_delay_alu instid0(SALU_CYCLE_1) | instskip(NEXT) | instid1(VALU_DEP_1)
	v_cmp_gt_i32_e64 s3, s30, v0
	s_and_saveexec_b32 s4, s3
	s_cbranch_execz .LBB163_13
; %bb.10:                               ;   in Loop: Header=BB163_9 Depth=1
	v_dual_mov_b32 v3, 0 :: v_dual_mov_b32 v18, v0
	v_dual_mov_b32 v17, v12 :: v_dual_mov_b32 v4, 0
	s_mov_b32 s5, 0
	.p2align	6
.LBB163_11:                             ;   Parent Loop BB163_9 Depth=1
                                        ; =>  This Inner Loop Header: Depth=2
	ds_load_b64 v[19:20], v17
	v_add_nc_u32_e32 v18, 0x100, v18
	v_add_nc_u32_e32 v17, 0x800, v17
	s_delay_alu instid0(VALU_DEP_2) | instskip(SKIP_4) | instid1(VALU_DEP_2)
	v_cmp_le_i32_e32 vcc_lo, s30, v18
	s_or_b32 s5, vcc_lo, s5
	s_waitcnt lgkmcnt(0)
	v_mul_f32_e32 v21, v20, v20
	v_mul_f32_e32 v22, v20, v19
	v_fmac_f32_e32 v21, v19, v19
	s_delay_alu instid0(VALU_DEP_2) | instskip(NEXT) | instid1(VALU_DEP_1)
	v_fma_f32 v19, v19, v20, -v22
	v_dual_add_f32 v4, v4, v21 :: v_dual_add_f32 v3, v3, v19
	s_and_not1_b32 exec_lo, exec_lo, s5
	s_cbranch_execnz .LBB163_11
; %bb.12:                               ;   in Loop: Header=BB163_9 Depth=1
	s_or_b32 exec_lo, exec_lo, s5
.LBB163_13:                             ;   in Loop: Header=BB163_9 Depth=1
	s_delay_alu instid0(SALU_CYCLE_1)
	s_or_b32 exec_lo, exec_lo, s4
	ds_bpermute_b32 v17, v7, v4
	ds_bpermute_b32 v18, v7, v3
	s_waitcnt lgkmcnt(0)
	v_dual_add_f32 v4, v4, v17 :: v_dual_add_f32 v3, v3, v18
	ds_bpermute_b32 v17, v8, v4
	ds_bpermute_b32 v18, v8, v3
	s_waitcnt lgkmcnt(0)
	v_dual_add_f32 v4, v4, v17 :: v_dual_add_f32 v3, v3, v18
	;; [unrolled: 4-line block ×4, first 2 shown]
	ds_bpermute_b32 v3, v11, v19
	ds_bpermute_b32 v17, v11, v4
	s_waitcnt lgkmcnt(1)
	v_add_f32_e32 v3, v19, v3
	s_and_saveexec_b32 s4, s1
	s_cbranch_execz .LBB163_15
; %bb.14:                               ;   in Loop: Header=BB163_9 Depth=1
	s_waitcnt lgkmcnt(0)
	v_add_f32_e32 v4, v4, v17
	ds_store_2addr_b32 v15, v3, v4 offset0:2 offset1:3
.LBB163_15:                             ;   in Loop: Header=BB163_9 Depth=1
	s_or_b32 exec_lo, exec_lo, s4
	s_lshl_b32 s4, s8, 3
	s_mul_i32 s5, s8, s12
	s_add_i32 s29, s4, 0
	s_lshl_b32 s4, s5, 3
	s_waitcnt lgkmcnt(0)
	s_add_i32 s29, s29, s4
	s_barrier
	buffer_gl0_inv
	s_and_saveexec_b32 s31, s2
	s_cbranch_execz .LBB163_28
; %bb.16:                               ;   in Loop: Header=BB163_9 Depth=1
	v_mov_b32_e32 v4, s23
	s_lshl_b64 s[4:5], s[8:9], 2
	s_mov_b32 s34, 0
	s_add_u32 s10, s19, s4
	s_addc_u32 s11, s20, s5
	ds_load_2addr_b32 v[17:18], v4 offset0:4 offset1:6
	ds_load_2addr_b32 v[19:20], v4 offset0:8 offset1:10
	s_mov_b32 s6, exec_lo
                                        ; implicit-def: $sgpr4
                                        ; implicit-def: $sgpr5
                                        ; implicit-def: $sgpr33
                                        ; implicit-def: $sgpr35
	s_waitcnt lgkmcnt(1)
	v_add_f32_e32 v3, v3, v17
	ds_load_2addr_b32 v[21:22], v4 offset0:12 offset1:14
	v_add_f32_e32 v3, v3, v18
	s_waitcnt lgkmcnt(1)
	s_delay_alu instid0(VALU_DEP_1) | instskip(SKIP_4) | instid1(VALU_DEP_1)
	v_dual_mov_b32 v17, s29 :: v_dual_add_f32 v18, v3, v19
	ds_load_b32 v4, v4 offset:64
	ds_load_b32 v3, v17 offset:4
	v_add_f32_e32 v17, v18, v20
	s_waitcnt lgkmcnt(2)
	v_add_f32_e32 v17, v17, v21
	s_delay_alu instid0(VALU_DEP_1) | instskip(SKIP_1) | instid1(VALU_DEP_1)
	v_add_f32_e32 v17, v17, v22
	s_waitcnt lgkmcnt(0)
	v_dual_add_f32 v17, v17, v4 :: v_dual_mul_f32 v4, v3, v3
	s_delay_alu instid0(VALU_DEP_1) | instskip(NEXT) | instid1(VALU_DEP_1)
	v_max_f32_e32 v18, v17, v4
	v_cmpx_nlt_f32_e32 0, v18
	s_xor_b32 s6, exec_lo, s6
	s_cbranch_execz .LBB163_20
; %bb.17:                               ;   in Loop: Header=BB163_9 Depth=1
	v_dual_mov_b32 v3, v2 :: v_dual_mov_b32 v4, s23
	s_mov_b32 s33, 0
	s_and_b32 vcc_lo, exec_lo, s7
                                        ; implicit-def: $sgpr4
                                        ; implicit-def: $sgpr5
	ds_store_b64 v4, v[2:3]
	s_cbranch_vccz .LBB163_19
; %bb.18:                               ;   in Loop: Header=BB163_9 Depth=1
	v_mov_b32_e32 v3, s29
	s_mov_b32 s34, -1
	s_mov_b32 s5, 1.0
	s_mov_b32 s4, 0
	ds_load_b32 v4, v3
	ds_store_b32 v3, v16
	s_waitcnt lgkmcnt(1)
	global_store_b32 v2, v4, s[10:11]
.LBB163_19:                             ;   in Loop: Header=BB163_9 Depth=1
	s_mov_b32 s35, 1.0
	s_and_b32 s34, s34, exec_lo
                                        ; implicit-def: $vgpr4
                                        ; implicit-def: $vgpr17
                                        ; implicit-def: $vgpr3
.LBB163_20:                             ;   in Loop: Header=BB163_9 Depth=1
	s_or_saveexec_b32 s36, s6
	v_dual_mov_b32 v18, s4 :: v_dual_mov_b32 v19, s5
	s_xor_b32 exec_lo, exec_lo, s36
	s_cbranch_execz .LBB163_25
; %bb.21:                               ;   in Loop: Header=BB163_9 Depth=1
	v_mov_b32_e32 v18, s29
	ds_load_b32 v18, v18
	s_waitcnt lgkmcnt(0)
	v_fma_f32 v19, v18, v18, v4
	s_delay_alu instid0(VALU_DEP_1) | instskip(NEXT) | instid1(VALU_DEP_1)
	v_add_f32_e32 v17, v17, v19
	v_mul_f32_e32 v19, 0x4f800000, v17
	v_cmp_gt_f32_e32 vcc_lo, 0xf800000, v17
	s_delay_alu instid0(VALU_DEP_2) | instskip(NEXT) | instid1(VALU_DEP_1)
	v_cndmask_b32_e32 v17, v17, v19, vcc_lo
	v_sqrt_f32_e32 v19, v17
	s_waitcnt_depctr 0xfff
	v_add_nc_u32_e32 v20, -1, v19
	v_add_nc_u32_e32 v21, 1, v19
	s_delay_alu instid0(VALU_DEP_2) | instskip(NEXT) | instid1(VALU_DEP_2)
	v_fma_f32 v22, -v20, v19, v17
	v_fma_f32 v23, -v21, v19, v17
	s_delay_alu instid0(VALU_DEP_2) | instskip(NEXT) | instid1(VALU_DEP_1)
	v_cmp_ge_f32_e64 s4, 0, v22
	v_cndmask_b32_e64 v19, v19, v20, s4
	s_delay_alu instid0(VALU_DEP_3) | instskip(NEXT) | instid1(VALU_DEP_1)
	v_cmp_lt_f32_e64 s4, 0, v23
	v_cndmask_b32_e64 v19, v19, v21, s4
	s_delay_alu instid0(VALU_DEP_1) | instskip(NEXT) | instid1(VALU_DEP_1)
	v_mul_f32_e32 v20, 0x37800000, v19
	v_cndmask_b32_e32 v19, v19, v20, vcc_lo
	v_cmp_class_f32_e64 vcc_lo, v17, 0x260
	s_delay_alu instid0(VALU_DEP_2) | instskip(SKIP_1) | instid1(VALU_DEP_2)
	v_cndmask_b32_e32 v17, v19, v17, vcc_lo
	v_cmp_le_f32_e32 vcc_lo, 0, v18
	v_cndmask_b32_e64 v17, v17, -v17, vcc_lo
	s_delay_alu instid0(VALU_DEP_1) | instskip(SKIP_2) | instid1(VALU_DEP_3)
	v_dual_sub_f32 v19, v18, v17 :: v_dual_sub_f32 v18, v17, v18
	v_div_scale_f32 v20, null, v17, v17, -v3
	v_div_scale_f32 v28, s4, -v3, v17, -v3
	v_div_scale_f32 v21, null, v17, v17, v18
	s_delay_alu instid0(VALU_DEP_3) | instskip(SKIP_1) | instid1(VALU_DEP_2)
	v_rcp_f32_e32 v24, v20
	v_div_scale_f32 v29, s5, v18, v17, v18
	v_rcp_f32_e32 v25, v21
	s_waitcnt_depctr 0xfff
	v_fma_f32 v31, -v20, v24, 1.0
	v_fma_f32 v32, -v21, v25, 1.0
	v_fmac_f32_e32 v4, v19, v19
	s_delay_alu instid0(VALU_DEP_2) | instskip(NEXT) | instid1(VALU_DEP_2)
	v_dual_fmac_f32 v24, v31, v24 :: v_dual_fmac_f32 v25, v32, v25
	v_div_scale_f32 v22, null, v4, v4, v19
	v_div_scale_f32 v23, null, v4, v4, -v3
	v_div_scale_f32 v30, vcc_lo, v19, v4, v19
	s_delay_alu instid0(VALU_DEP_3) | instskip(NEXT) | instid1(VALU_DEP_2)
	v_rcp_f32_e32 v26, v22
	v_rcp_f32_e32 v27, v23
	v_div_scale_f32 v35, s6, -v3, v4, -v3
	s_waitcnt_depctr 0xfff
	v_fma_f32 v33, -v22, v26, 1.0
	v_fma_f32 v34, -v23, v27, 1.0
	s_delay_alu instid0(VALU_DEP_2) | instskip(NEXT) | instid1(VALU_DEP_1)
	v_fmac_f32_e32 v26, v33, v26
	v_mul_f32_e32 v32, v30, v26
	s_delay_alu instid0(VALU_DEP_1) | instskip(NEXT) | instid1(VALU_DEP_1)
	v_fma_f32 v37, -v22, v32, v30
	v_dual_fmac_f32 v27, v34, v27 :: v_dual_fmac_f32 v32, v37, v26
	s_delay_alu instid0(VALU_DEP_1) | instskip(NEXT) | instid1(VALU_DEP_2)
	v_dual_mul_f32 v31, v28, v24 :: v_dual_mul_f32 v34, v35, v27
	v_fma_f32 v22, -v22, v32, v30
	s_delay_alu instid0(VALU_DEP_2) | instskip(NEXT) | instid1(VALU_DEP_3)
	v_fma_f32 v36, -v20, v31, v28
	v_fma_f32 v39, -v23, v34, v35
	v_mul_f32_e32 v33, v29, v25
	s_delay_alu instid0(VALU_DEP_4) | instskip(NEXT) | instid1(VALU_DEP_3)
	v_div_fmas_f32 v22, v22, v26, v32
	v_dual_fmac_f32 v31, v36, v24 :: v_dual_fmac_f32 v34, v39, v27
	s_delay_alu instid0(VALU_DEP_3) | instskip(SKIP_1) | instid1(VALU_DEP_3)
	v_fma_f32 v38, -v21, v33, v29
	s_mov_b32 vcc_lo, s6
	v_div_fixup_f32 v19, v22, v4, v19
	s_delay_alu instid0(VALU_DEP_3) | instskip(SKIP_2) | instid1(VALU_DEP_2)
	v_fma_f32 v20, -v20, v31, v28
	v_fma_f32 v23, -v23, v34, v35
	v_fmac_f32_e32 v33, v38, v25
	v_div_fmas_f32 v23, v23, v27, v34
	s_delay_alu instid0(VALU_DEP_2) | instskip(SKIP_1) | instid1(VALU_DEP_1)
	v_fma_f32 v21, -v21, v33, v29
	s_mov_b32 vcc_lo, s5
	v_div_fmas_f32 v21, v21, v25, v33
	s_mov_b32 vcc_lo, s4
	v_mov_b32_e32 v25, s23
	v_div_fmas_f32 v24, v20, v24, v31
	s_and_b32 vcc_lo, exec_lo, s7
	v_div_fixup_f32 v20, v21, v17, v18
	v_div_fixup_f32 v18, v23, v4, -v3
	s_delay_alu instid0(VALU_DEP_3)
	v_div_fixup_f32 v21, v24, v17, -v3
	ds_store_b64 v25, v[20:21]
	s_cbranch_vccz .LBB163_43
; %bb.22:                               ;   in Loop: Header=BB163_9 Depth=1
	v_mov_b32_e32 v3, s29
	global_store_b32 v2, v17, s[10:11]
	ds_store_b32 v3, v16
	s_cbranch_execnz .LBB163_24
.LBB163_23:                             ;   in Loop: Header=BB163_9 Depth=1
	v_mov_b32_e32 v3, s29
	ds_store_b32 v3, v17
.LBB163_24:                             ;   in Loop: Header=BB163_9 Depth=1
	s_or_b32 s34, s34, exec_lo
.LBB163_25:                             ;   in Loop: Header=BB163_9 Depth=1
	s_or_b32 exec_lo, exec_lo, s36
	v_dual_mov_b32 v3, s35 :: v_dual_mov_b32 v4, s33
	s_and_saveexec_b32 s4, s34
	s_cbranch_execz .LBB163_27
; %bb.26:                               ;   in Loop: Header=BB163_9 Depth=1
	v_dual_mov_b32 v17, s29 :: v_dual_mov_b32 v4, v18
	v_mov_b32_e32 v3, v19
	ds_store_b32 v17, v2 offset:4
.LBB163_27:                             ;   in Loop: Header=BB163_9 Depth=1
	s_or_b32 exec_lo, exec_lo, s4
	v_mov_b32_e32 v19, s23
	s_lshl_b64 s[4:5], s[8:9], 3
	s_delay_alu instid0(SALU_CYCLE_1)
	s_add_u32 s4, s15, s4
	s_addc_u32 s5, s21, s5
	ds_load_b64 v[17:18], v19
	s_waitcnt lgkmcnt(0)
	global_store_b64 v2, v[17:18], s[4:5]
	v_xor_b32_e32 v18, 0x80000000, v18
	ds_store_2addr_b64 v19, v[17:18], v[3:4] offset1:1
.LBB163_28:                             ;   in Loop: Header=BB163_9 Depth=1
	s_or_b32 exec_lo, exec_lo, s31
	s_waitcnt lgkmcnt(0)
	s_waitcnt_vscnt null, 0x0
	s_barrier
	buffer_gl0_inv
	s_and_saveexec_b32 s4, s3
	s_cbranch_execz .LBB163_31
; %bb.29:                               ;   in Loop: Header=BB163_9 Depth=1
	v_mov_b32_e32 v3, v0
	s_mov_b32 s3, 0
	s_mov_b32 s5, 0
	.p2align	6
.LBB163_30:                             ;   Parent Loop BB163_9 Depth=1
                                        ; =>  This Inner Loop Header: Depth=2
	s_delay_alu instid0(VALU_DEP_1)
	v_dual_mov_b32 v4, s23 :: v_dual_add_nc_u32 v3, 0x100, v3
	v_add_nc_u32_e32 v22, s5, v12
	s_addk_i32 s5, 0x800
	ds_load_b64 v[17:18], v4 offset:8
	ds_load_b64 v[19:20], v22
	v_cmp_le_i32_e32 vcc_lo, s30, v3
	s_or_b32 s3, vcc_lo, s3
	s_waitcnt lgkmcnt(0)
	v_mul_f32_e32 v4, v18, v20
	v_mul_f32_e32 v21, v17, v20
	s_delay_alu instid0(VALU_DEP_2) | instskip(NEXT) | instid1(VALU_DEP_2)
	v_fma_f32 v20, v17, v19, -v4
	v_fmac_f32_e32 v21, v18, v19
	ds_store_b64 v22, v[20:21]
	s_and_not1_b32 exec_lo, exec_lo, s3
	s_cbranch_execnz .LBB163_30
.LBB163_31:                             ;   in Loop: Header=BB163_9 Depth=1
	s_or_b32 exec_lo, exec_lo, s4
	s_not_b32 s3, s8
	s_mov_b32 s4, exec_lo
	s_add_i32 s3, s3, s13
	s_waitcnt lgkmcnt(0)
	s_barrier
	buffer_gl0_inv
	v_cmpx_gt_i32_e64 s3, v0
	s_cbranch_execz .LBB163_37
; %bb.32:                               ;   in Loop: Header=BB163_9 Depth=1
	v_dual_mov_b32 v3, v13 :: v_dual_mov_b32 v4, v0
	s_cmp_gt_i32 s28, 0
	s_mov_b32 s5, 0
	s_cselect_b32 s6, -1, 0
	s_set_inst_prefetch_distance 0x1
	s_branch .LBB163_34
	.p2align	6
.LBB163_33:                             ;   in Loop: Header=BB163_34 Depth=2
	v_mov_b32_e32 v19, s23
	v_lshl_add_u32 v22, v4, 3, s22
	v_add_nc_u32_e32 v4, 0x100, v4
	v_add_nc_u32_e32 v3, s26, v3
	ds_load_b64 v[19:20], v19
	v_cmp_le_i32_e32 vcc_lo, s3, v4
	s_or_b32 s5, vcc_lo, s5
	s_waitcnt lgkmcnt(0)
	v_mul_f32_e32 v23, v17, v20
	v_mul_f32_e32 v21, v18, v20
	s_delay_alu instid0(VALU_DEP_2) | instskip(NEXT) | instid1(VALU_DEP_2)
	v_fma_f32 v20, v18, v19, -v23
	v_fmac_f32_e32 v21, v17, v19
	ds_store_b64 v22, v[20:21]
	s_and_not1_b32 exec_lo, exec_lo, s5
	s_cbranch_execz .LBB163_37
.LBB163_34:                             ;   Parent Loop BB163_9 Depth=1
                                        ; =>  This Loop Header: Depth=2
                                        ;       Child Loop BB163_36 Depth 3
	v_dual_mov_b32 v17, 0 :: v_dual_mov_b32 v18, 0
	s_and_not1_b32 vcc_lo, exec_lo, s6
	s_cbranch_vccnz .LBB163_33
; %bb.35:                               ;   in Loop: Header=BB163_34 Depth=2
	v_dual_mov_b32 v17, 0 :: v_dual_mov_b32 v18, 0
	v_mov_b32_e32 v19, v3
	s_mov_b32 s10, 0
	s_mov_b32 s11, s27
	.p2align	6
.LBB163_36:                             ;   Parent Loop BB163_9 Depth=1
                                        ;     Parent Loop BB163_34 Depth=2
                                        ; =>    This Inner Loop Header: Depth=3
	s_delay_alu instid0(SALU_CYCLE_1)
	v_mov_b32_e32 v22, s11
	s_add_i32 s10, s10, 1
	s_add_i32 s11, s11, 8
	s_cmp_ge_i32 s10, s28
	ds_load_b64 v[20:21], v19
	ds_load_b64 v[22:23], v22
	s_waitcnt lgkmcnt(0)
	v_dual_mul_f32 v24, v23, v21 :: v_dual_add_nc_u32 v19, 8, v19
	v_mul_f32_e32 v23, v23, v20
	s_delay_alu instid0(VALU_DEP_2) | instskip(NEXT) | instid1(VALU_DEP_2)
	v_fmac_f32_e32 v24, v22, v20
	v_fma_f32 v20, v22, v21, -v23
	s_delay_alu instid0(VALU_DEP_2) | instskip(NEXT) | instid1(VALU_DEP_2)
	v_add_f32_e32 v18, v18, v24
	v_add_f32_e32 v17, v17, v20
	s_cbranch_scc0 .LBB163_36
	s_branch .LBB163_33
.LBB163_37:                             ;   in Loop: Header=BB163_9 Depth=1
	s_set_inst_prefetch_distance 0x2
	s_or_b32 exec_lo, exec_lo, s4
	s_delay_alu instid0(SALU_CYCLE_1)
	s_mov_b32 s4, exec_lo
	s_waitcnt lgkmcnt(0)
	s_barrier
	buffer_gl0_inv
	v_cmpx_gt_i32_e64 s28, v0
	s_cbranch_execz .LBB163_8
; %bb.38:                               ;   in Loop: Header=BB163_9 Depth=1
	v_dual_mov_b32 v3, v14 :: v_dual_mov_b32 v4, v0
	s_cmp_gt_i32 s3, 0
	s_mov_b32 s5, 0
	s_cselect_b32 s6, -1, 0
	s_set_inst_prefetch_distance 0x1
	s_branch .LBB163_40
	.p2align	6
.LBB163_39:                             ;   in Loop: Header=BB163_40 Depth=2
	v_add_nc_u32_e32 v4, 0x100, v4
	v_add_nc_u32_e32 v3, 0x800, v3
	s_delay_alu instid0(VALU_DEP_2) | instskip(SKIP_1) | instid1(SALU_CYCLE_1)
	v_cmp_le_i32_e32 vcc_lo, s28, v4
	s_or_b32 s5, vcc_lo, s5
	s_and_not1_b32 exec_lo, exec_lo, s5
	s_cbranch_execz .LBB163_8
.LBB163_40:                             ;   Parent Loop BB163_9 Depth=1
                                        ; =>  This Loop Header: Depth=2
                                        ;       Child Loop BB163_42 Depth 3
	s_and_not1_b32 vcc_lo, exec_lo, s6
	s_cbranch_vccnz .LBB163_39
; %bb.41:                               ;   in Loop: Header=BB163_40 Depth=2
	v_lshl_add_u32 v17, v4, 3, s29
	v_mov_b32_e32 v18, v3
	s_mov_b32 s10, 0
	s_mov_b32 s11, s22
	.p2align	6
.LBB163_42:                             ;   Parent Loop BB163_9 Depth=1
                                        ;     Parent Loop BB163_40 Depth=2
                                        ; =>    This Inner Loop Header: Depth=3
	s_delay_alu instid0(SALU_CYCLE_1)
	v_mov_b32_e32 v21, s11
	s_add_i32 s10, s10, 1
	s_add_i32 s11, s11, 8
	s_cmp_ge_i32 s10, s3
	ds_load_b64 v[19:20], v17
	ds_load_b64 v[21:22], v21
	;; [unrolled: 1-line block ×3, first 2 shown]
	s_waitcnt lgkmcnt(1)
	v_mul_f32_e32 v25, v22, v20
	v_mul_f32_e32 v20, v21, v20
	s_delay_alu instid0(VALU_DEP_2) | instskip(SKIP_1) | instid1(VALU_DEP_1)
	v_fma_f32 v21, v21, v19, -v25
	s_waitcnt lgkmcnt(0)
	v_dual_fmac_f32 v20, v22, v19 :: v_dual_sub_f32 v19, v23, v21
	s_delay_alu instid0(VALU_DEP_1)
	v_sub_f32_e32 v20, v24, v20
	ds_store_b64 v18, v[19:20]
	v_add_nc_u32_e32 v18, s24, v18
	s_cbranch_scc0 .LBB163_42
	s_branch .LBB163_39
.LBB163_43:                             ;   in Loop: Header=BB163_9 Depth=1
	s_branch .LBB163_23
.LBB163_44:
	s_and_saveexec_b32 s1, s0
	s_cbranch_execz .LBB163_50
; %bb.45:
	v_mul_lo_u32 v0, s12, v5
	v_mad_u64_u32 v[2:3], null, s17, v5, v[1:2]
	v_cmp_gt_i32_e32 vcc_lo, s13, v5
	s_lshl_b32 s2, s17, 1
	s_mov_b32 s3, 0
	s_lshl_b32 s4, s12, 4
	s_delay_alu instid0(VALU_DEP_3) | instskip(NEXT) | instid1(VALU_DEP_1)
	v_lshlrev_b32_e32 v0, 3, v0
	v_add3_u32 v0, v0, v6, 0
	s_set_inst_prefetch_distance 0x1
	s_branch .LBB163_47
	.p2align	6
.LBB163_46:                             ;   in Loop: Header=BB163_47 Depth=1
	s_or_b32 exec_lo, exec_lo, s5
	v_add_nc_u32_e32 v1, 0x80, v1
	v_add_nc_u32_e32 v2, 0x80, v2
	;; [unrolled: 1-line block ×3, first 2 shown]
	s_delay_alu instid0(VALU_DEP_3) | instskip(NEXT) | instid1(VALU_DEP_1)
	v_cmp_le_i32_e64 s0, s12, v1
	s_or_b32 s3, s0, s3
	s_delay_alu instid0(SALU_CYCLE_1)
	s_and_not1_b32 exec_lo, exec_lo, s3
	s_cbranch_execz .LBB163_50
.LBB163_47:                             ; =>This Loop Header: Depth=1
                                        ;     Child Loop BB163_49 Depth 2
	s_and_saveexec_b32 s5, vcc_lo
	s_cbranch_execz .LBB163_46
; %bb.48:                               ;   in Loop: Header=BB163_47 Depth=1
	v_dual_mov_b32 v6, v0 :: v_dual_mov_b32 v3, v2
	v_mov_b32_e32 v7, v5
	s_mov_b32 s6, 0
	.p2align	6
.LBB163_49:                             ;   Parent Loop BB163_47 Depth=1
                                        ; =>  This Inner Loop Header: Depth=2
	ds_load_b64 v[8:9], v6
	v_ashrrev_i32_e32 v4, 31, v3
	v_add_nc_u32_e32 v7, 2, v7
	v_add_nc_u32_e32 v6, s4, v6
	s_delay_alu instid0(VALU_DEP_3) | instskip(NEXT) | instid1(VALU_DEP_3)
	v_lshlrev_b64 v[10:11], 3, v[3:4]
	v_cmp_le_i32_e64 s0, s13, v7
	v_add_nc_u32_e32 v3, s2, v3
	s_delay_alu instid0(VALU_DEP_2) | instskip(NEXT) | instid1(VALU_DEP_3)
	s_or_b32 s6, s0, s6
	v_add_co_u32 v10, s1, s14, v10
	s_delay_alu instid0(VALU_DEP_1)
	v_add_co_ci_u32_e64 v11, s1, s16, v11, s1
	s_waitcnt lgkmcnt(0)
	global_store_b64 v[10:11], v[8:9], off
	s_and_not1_b32 exec_lo, exec_lo, s6
	s_cbranch_execnz .LBB163_49
	s_branch .LBB163_46
.LBB163_50:
	s_set_inst_prefetch_distance 0x2
	s_nop 0
	s_sendmsg sendmsg(MSG_DEALLOC_VGPRS)
	s_endpgm
	.section	.rodata,"a",@progbits
	.p2align	6, 0x0
	.amdhsa_kernel _ZN9rocsolver6v33100L18geqr2_kernel_smallILi256E19rocblas_complex_numIfEifPS3_EEvT1_S5_T3_lS5_lPT2_lPT0_l
		.amdhsa_group_segment_fixed_size 0
		.amdhsa_private_segment_fixed_size 0
		.amdhsa_kernarg_size 72
		.amdhsa_user_sgpr_count 14
		.amdhsa_user_sgpr_dispatch_ptr 0
		.amdhsa_user_sgpr_queue_ptr 0
		.amdhsa_user_sgpr_kernarg_segment_ptr 1
		.amdhsa_user_sgpr_dispatch_id 0
		.amdhsa_user_sgpr_private_segment_size 0
		.amdhsa_wavefront_size32 1
		.amdhsa_uses_dynamic_stack 0
		.amdhsa_enable_private_segment 0
		.amdhsa_system_sgpr_workgroup_id_x 1
		.amdhsa_system_sgpr_workgroup_id_y 0
		.amdhsa_system_sgpr_workgroup_id_z 1
		.amdhsa_system_sgpr_workgroup_info 0
		.amdhsa_system_vgpr_workitem_id 0
		.amdhsa_next_free_vgpr 40
		.amdhsa_next_free_sgpr 37
		.amdhsa_reserve_vcc 1
		.amdhsa_float_round_mode_32 0
		.amdhsa_float_round_mode_16_64 0
		.amdhsa_float_denorm_mode_32 3
		.amdhsa_float_denorm_mode_16_64 3
		.amdhsa_dx10_clamp 1
		.amdhsa_ieee_mode 1
		.amdhsa_fp16_overflow 0
		.amdhsa_workgroup_processor_mode 1
		.amdhsa_memory_ordered 1
		.amdhsa_forward_progress 0
		.amdhsa_shared_vgpr_count 0
		.amdhsa_exception_fp_ieee_invalid_op 0
		.amdhsa_exception_fp_denorm_src 0
		.amdhsa_exception_fp_ieee_div_zero 0
		.amdhsa_exception_fp_ieee_overflow 0
		.amdhsa_exception_fp_ieee_underflow 0
		.amdhsa_exception_fp_ieee_inexact 0
		.amdhsa_exception_int_div_zero 0
	.end_amdhsa_kernel
	.section	.text._ZN9rocsolver6v33100L18geqr2_kernel_smallILi256E19rocblas_complex_numIfEifPS3_EEvT1_S5_T3_lS5_lPT2_lPT0_l,"axG",@progbits,_ZN9rocsolver6v33100L18geqr2_kernel_smallILi256E19rocblas_complex_numIfEifPS3_EEvT1_S5_T3_lS5_lPT2_lPT0_l,comdat
.Lfunc_end163:
	.size	_ZN9rocsolver6v33100L18geqr2_kernel_smallILi256E19rocblas_complex_numIfEifPS3_EEvT1_S5_T3_lS5_lPT2_lPT0_l, .Lfunc_end163-_ZN9rocsolver6v33100L18geqr2_kernel_smallILi256E19rocblas_complex_numIfEifPS3_EEvT1_S5_T3_lS5_lPT2_lPT0_l
                                        ; -- End function
	.section	.AMDGPU.csdata,"",@progbits
; Kernel info:
; codeLenInByte = 3024
; NumSgprs: 39
; NumVgprs: 40
; ScratchSize: 0
; MemoryBound: 0
; FloatMode: 240
; IeeeMode: 1
; LDSByteSize: 0 bytes/workgroup (compile time only)
; SGPRBlocks: 4
; VGPRBlocks: 4
; NumSGPRsForWavesPerEU: 39
; NumVGPRsForWavesPerEU: 40
; Occupancy: 16
; WaveLimiterHint : 0
; COMPUTE_PGM_RSRC2:SCRATCH_EN: 0
; COMPUTE_PGM_RSRC2:USER_SGPR: 14
; COMPUTE_PGM_RSRC2:TRAP_HANDLER: 0
; COMPUTE_PGM_RSRC2:TGID_X_EN: 1
; COMPUTE_PGM_RSRC2:TGID_Y_EN: 0
; COMPUTE_PGM_RSRC2:TGID_Z_EN: 1
; COMPUTE_PGM_RSRC2:TIDIG_COMP_CNT: 0
	.section	.text._ZN9rocsolver6v33100L12restore_diagI19rocblas_complex_numIfEifPS3_EEvPT1_llT2_lT0_lS8_,"axG",@progbits,_ZN9rocsolver6v33100L12restore_diagI19rocblas_complex_numIfEifPS3_EEvPT1_llT2_lT0_lS8_,comdat
	.globl	_ZN9rocsolver6v33100L12restore_diagI19rocblas_complex_numIfEifPS3_EEvPT1_llT2_lT0_lS8_ ; -- Begin function _ZN9rocsolver6v33100L12restore_diagI19rocblas_complex_numIfEifPS3_EEvPT1_llT2_lT0_lS8_
	.p2align	8
	.type	_ZN9rocsolver6v33100L12restore_diagI19rocblas_complex_numIfEifPS3_EEvPT1_llT2_lT0_lS8_,@function
_ZN9rocsolver6v33100L12restore_diagI19rocblas_complex_numIfEifPS3_EEvPT1_llT2_lT0_lS8_: ; @_ZN9rocsolver6v33100L12restore_diagI19rocblas_complex_numIfEifPS3_EEvPT1_llT2_lT0_lS8_
; %bb.0:
	s_clause 0x1
	s_load_b32 s2, s[0:1], 0x4c
	s_load_b32 s3, s[0:1], 0x38
	v_bfe_u32 v2, v0, 10, 10
	s_waitcnt lgkmcnt(0)
	s_lshr_b32 s2, s2, 16
	s_delay_alu instid0(VALU_DEP_1) | instid1(SALU_CYCLE_1)
	v_mad_u64_u32 v[0:1], null, s15, s2, v[2:3]
	s_mov_b32 s2, exec_lo
	s_delay_alu instid0(VALU_DEP_1)
	v_cmpx_gt_i32_e64 s3, v0
	s_cbranch_execz .LBB164_2
; %bb.1:
	s_clause 0x3
	s_load_b64 s[2:3], s[0:1], 0x30
	s_load_b256 s[4:11], s[0:1], 0x0
	s_load_b32 s12, s[0:1], 0x28
	s_load_b64 s[0:1], s[0:1], 0x20
	s_ashr_i32 s13, s14, 31
	s_waitcnt lgkmcnt(0)
	s_mul_i32 s3, s14, s3
	s_mul_hi_u32 s15, s14, s2
	s_mul_i32 s16, s13, s2
	s_add_i32 s3, s15, s3
	s_mul_i32 s2, s14, s2
	s_add_i32 s3, s3, s16
	s_mul_i32 s9, s14, s9
	s_lshl_b64 s[2:3], s[2:3], 3
	s_mul_hi_u32 s15, s14, s8
	s_add_u32 s2, s10, s2
	s_addc_u32 s3, s11, s3
	s_lshl_b64 s[0:1], s[0:1], 3
	s_mul_i32 s13, s13, s8
	s_add_u32 s2, s2, s0
	v_mad_u64_u32 v[2:3], null, v0, s12, v[0:1]
	v_ashrrev_i32_e32 v1, 31, v0
	s_addc_u32 s3, s3, s1
	s_add_i32 s1, s15, s9
	s_mul_i32 s0, s14, s8
	s_add_i32 s1, s1, s13
	v_lshlrev_b64 v[0:1], 2, v[0:1]
	s_lshl_b64 s[0:1], s[0:1], 2
	v_ashrrev_i32_e32 v3, 31, v2
	s_add_u32 s4, s4, s0
	s_addc_u32 s5, s5, s1
	s_lshl_b64 s[0:1], s[6:7], 2
	s_delay_alu instid0(SALU_CYCLE_1)
	s_add_u32 s0, s4, s0
	s_addc_u32 s1, s5, s1
	v_add_co_u32 v0, vcc_lo, s0, v0
	v_add_co_ci_u32_e32 v1, vcc_lo, s1, v1, vcc_lo
	global_load_b32 v0, v[0:1], off
	v_lshlrev_b64 v[1:2], 3, v[2:3]
	s_delay_alu instid0(VALU_DEP_1) | instskip(NEXT) | instid1(VALU_DEP_2)
	v_add_co_u32 v3, vcc_lo, s2, v1
	v_add_co_ci_u32_e32 v4, vcc_lo, s3, v2, vcc_lo
	v_mov_b32_e32 v1, 0
	s_waitcnt vmcnt(0)
	global_store_b64 v[3:4], v[0:1], off
.LBB164_2:
	s_nop 0
	s_sendmsg sendmsg(MSG_DEALLOC_VGPRS)
	s_endpgm
	.section	.rodata,"a",@progbits
	.p2align	6, 0x0
	.amdhsa_kernel _ZN9rocsolver6v33100L12restore_diagI19rocblas_complex_numIfEifPS3_EEvPT1_llT2_lT0_lS8_
		.amdhsa_group_segment_fixed_size 0
		.amdhsa_private_segment_fixed_size 0
		.amdhsa_kernarg_size 320
		.amdhsa_user_sgpr_count 14
		.amdhsa_user_sgpr_dispatch_ptr 0
		.amdhsa_user_sgpr_queue_ptr 0
		.amdhsa_user_sgpr_kernarg_segment_ptr 1
		.amdhsa_user_sgpr_dispatch_id 0
		.amdhsa_user_sgpr_private_segment_size 0
		.amdhsa_wavefront_size32 1
		.amdhsa_uses_dynamic_stack 0
		.amdhsa_enable_private_segment 0
		.amdhsa_system_sgpr_workgroup_id_x 1
		.amdhsa_system_sgpr_workgroup_id_y 1
		.amdhsa_system_sgpr_workgroup_id_z 0
		.amdhsa_system_sgpr_workgroup_info 0
		.amdhsa_system_vgpr_workitem_id 1
		.amdhsa_next_free_vgpr 5
		.amdhsa_next_free_sgpr 17
		.amdhsa_reserve_vcc 1
		.amdhsa_float_round_mode_32 0
		.amdhsa_float_round_mode_16_64 0
		.amdhsa_float_denorm_mode_32 3
		.amdhsa_float_denorm_mode_16_64 3
		.amdhsa_dx10_clamp 1
		.amdhsa_ieee_mode 1
		.amdhsa_fp16_overflow 0
		.amdhsa_workgroup_processor_mode 1
		.amdhsa_memory_ordered 1
		.amdhsa_forward_progress 0
		.amdhsa_shared_vgpr_count 0
		.amdhsa_exception_fp_ieee_invalid_op 0
		.amdhsa_exception_fp_denorm_src 0
		.amdhsa_exception_fp_ieee_div_zero 0
		.amdhsa_exception_fp_ieee_overflow 0
		.amdhsa_exception_fp_ieee_underflow 0
		.amdhsa_exception_fp_ieee_inexact 0
		.amdhsa_exception_int_div_zero 0
	.end_amdhsa_kernel
	.section	.text._ZN9rocsolver6v33100L12restore_diagI19rocblas_complex_numIfEifPS3_EEvPT1_llT2_lT0_lS8_,"axG",@progbits,_ZN9rocsolver6v33100L12restore_diagI19rocblas_complex_numIfEifPS3_EEvPT1_llT2_lT0_lS8_,comdat
.Lfunc_end164:
	.size	_ZN9rocsolver6v33100L12restore_diagI19rocblas_complex_numIfEifPS3_EEvPT1_llT2_lT0_lS8_, .Lfunc_end164-_ZN9rocsolver6v33100L12restore_diagI19rocblas_complex_numIfEifPS3_EEvPT1_llT2_lT0_lS8_
                                        ; -- End function
	.section	.AMDGPU.csdata,"",@progbits
; Kernel info:
; codeLenInByte = 308
; NumSgprs: 19
; NumVgprs: 5
; ScratchSize: 0
; MemoryBound: 0
; FloatMode: 240
; IeeeMode: 1
; LDSByteSize: 0 bytes/workgroup (compile time only)
; SGPRBlocks: 2
; VGPRBlocks: 0
; NumSGPRsForWavesPerEU: 19
; NumVGPRsForWavesPerEU: 5
; Occupancy: 16
; WaveLimiterHint : 0
; COMPUTE_PGM_RSRC2:SCRATCH_EN: 0
; COMPUTE_PGM_RSRC2:USER_SGPR: 14
; COMPUTE_PGM_RSRC2:TRAP_HANDLER: 0
; COMPUTE_PGM_RSRC2:TGID_X_EN: 1
; COMPUTE_PGM_RSRC2:TGID_Y_EN: 1
; COMPUTE_PGM_RSRC2:TGID_Z_EN: 0
; COMPUTE_PGM_RSRC2:TIDIG_COMP_CNT: 1
	.section	.text._ZN9rocsolver6v33100L16gesdd_flip_signsI19rocblas_complex_numIfEfEEviPT0_lPT_ilS7_ili,"axG",@progbits,_ZN9rocsolver6v33100L16gesdd_flip_signsI19rocblas_complex_numIfEfEEviPT0_lPT_ilS7_ili,comdat
	.globl	_ZN9rocsolver6v33100L16gesdd_flip_signsI19rocblas_complex_numIfEfEEviPT0_lPT_ilS7_ili ; -- Begin function _ZN9rocsolver6v33100L16gesdd_flip_signsI19rocblas_complex_numIfEfEEviPT0_lPT_ilS7_ili
	.p2align	8
	.type	_ZN9rocsolver6v33100L16gesdd_flip_signsI19rocblas_complex_numIfEfEEviPT0_lPT_ilS7_ili,@function
_ZN9rocsolver6v33100L16gesdd_flip_signsI19rocblas_complex_numIfEfEEviPT0_lPT_ilS7_ili: ; @_ZN9rocsolver6v33100L16gesdd_flip_signsI19rocblas_complex_numIfEfEEviPT0_lPT_ilS7_ili
; %bb.0:
	s_load_b32 s24, s[0:1], 0x48
	s_waitcnt lgkmcnt(0)
	s_cmp_ge_i32 s15, s24
	s_cbranch_scc1 .LBB165_13
; %bb.1:
	s_clause 0x8
	s_load_b32 s18, s[0:1], 0x5c
	s_load_b32 s25, s[0:1], 0x0
	s_load_b64 s[2:3], s[0:1], 0x40
	s_load_b64 s[12:13], s[0:1], 0x50
	s_load_b32 s27, s[0:1], 0x20
	s_load_b64 s[16:17], s[0:1], 0x18
	s_load_b128 s[4:7], s[0:1], 0x8
	s_load_b128 s[8:11], s[0:1], 0x28
	s_load_b32 s26, s[0:1], 0x38
	s_waitcnt lgkmcnt(0)
	s_and_b32 s1, s18, 0xffff
	s_cmp_gt_i32 s25, 0
	v_mad_u64_u32 v[1:2], null, s14, s1, v[0:1]
	v_mov_b32_e32 v0, 0
	s_cselect_b32 s14, -1, 0
	s_add_i32 s27, s27, 1
	s_mul_i32 s12, s12, s1
	s_lshl_b64 s[6:7], s[6:7], 2
	s_delay_alu instid0(VALU_DEP_2)
	v_cmp_gt_i32_e64 s0, s25, v1
	s_branch .LBB165_3
.LBB165_2:                              ;   in Loop: Header=BB165_3 Depth=1
	s_or_b32 exec_lo, exec_lo, s28
	s_add_i32 s15, s15, s13
	s_delay_alu instid0(SALU_CYCLE_1)
	s_cmp_lt_i32 s15, s24
	s_cbranch_scc0 .LBB165_13
.LBB165_3:                              ; =>This Loop Header: Depth=1
                                        ;     Child Loop BB165_6 Depth 2
                                        ;       Child Loop BB165_9 Depth 3
	s_delay_alu instid0(VALU_DEP_1)
	s_and_saveexec_b32 s28, s0
	s_cbranch_execz .LBB165_2
; %bb.4:                                ;   in Loop: Header=BB165_3 Depth=1
	s_ashr_i32 s1, s15, 31
	s_mul_hi_u32 s18, s6, s15
	s_mul_i32 s19, s6, s1
	s_mul_i32 s20, s7, s15
	s_add_i32 s18, s18, s19
	s_mul_i32 s19, s6, s15
	s_add_i32 s20, s18, s20
	s_mul_i32 s21, s15, s9
	s_mul_hi_u32 s22, s15, s8
	s_add_u32 s18, s4, s19
	s_addc_u32 s19, s5, s20
	s_add_i32 s20, s22, s21
	s_mul_i32 s21, s1, s8
	s_mul_hi_u32 s22, s15, s2
	s_add_i32 s21, s20, s21
	s_mul_i32 s20, s15, s8
	s_mul_i32 s1, s1, s2
	s_lshl_b64 s[20:21], s[20:21], 3
	v_mov_b32_e32 v4, v1
	s_add_u32 s29, s16, s20
	s_mul_i32 s20, s15, s3
	s_addc_u32 s30, s17, s21
	s_add_i32 s20, s22, s20
	s_mov_b32 s34, 0
	s_add_i32 s21, s20, s1
	s_mul_i32 s20, s15, s2
	s_delay_alu instid0(SALU_CYCLE_1) | instskip(NEXT) | instid1(SALU_CYCLE_1)
	s_lshl_b64 s[20:21], s[20:21], 3
	s_add_u32 s31, s10, s20
	s_addc_u32 s33, s11, s21
	s_branch .LBB165_6
.LBB165_5:                              ;   in Loop: Header=BB165_6 Depth=2
	s_set_inst_prefetch_distance 0x2
	v_add_nc_u32_e32 v4, s12, v4
	s_delay_alu instid0(VALU_DEP_1) | instskip(SKIP_1) | instid1(SALU_CYCLE_1)
	v_cmp_le_i32_e32 vcc_lo, s25, v4
	s_or_b32 s34, vcc_lo, s34
	s_and_not1_b32 exec_lo, exec_lo, s34
	s_cbranch_execz .LBB165_2
.LBB165_6:                              ;   Parent Loop BB165_3 Depth=1
                                        ; =>  This Loop Header: Depth=2
                                        ;       Child Loop BB165_9 Depth 3
	s_and_not1_b32 vcc_lo, exec_lo, s14
	s_cbranch_vccnz .LBB165_5
; %bb.7:                                ;   in Loop: Header=BB165_6 Depth=2
	v_cmp_eq_u32_e64 s1, 0, v4
	v_mov_b32_e32 v2, v4
	s_mov_b32 s20, 0
	s_mov_b64 s[22:23], s[18:19]
	s_mov_b32 s35, s25
	s_set_inst_prefetch_distance 0x1
	s_branch .LBB165_9
	.p2align	6
.LBB165_8:                              ;   in Loop: Header=BB165_9 Depth=3
	s_or_b32 exec_lo, exec_lo, s21
	s_add_i32 s35, s35, -1
	v_add_nc_u32_e32 v2, s26, v2
	s_add_i32 s20, s20, s27
	s_add_u32 s22, s22, 4
	s_addc_u32 s23, s23, 0
	s_cmp_lg_u32 s35, 0
	s_cbranch_scc0 .LBB165_5
.LBB165_9:                              ;   Parent Loop BB165_3 Depth=1
                                        ;     Parent Loop BB165_6 Depth=2
                                        ; =>    This Inner Loop Header: Depth=3
	s_ashr_i32 s21, s20, 31
	s_delay_alu instid0(SALU_CYCLE_1) | instskip(NEXT) | instid1(SALU_CYCLE_1)
	s_lshl_b64 s[36:37], s[20:21], 3
	s_add_u32 s36, s29, s36
	s_addc_u32 s37, s30, s37
	global_load_b32 v5, v0, s[36:37]
	s_waitcnt vmcnt(0)
	v_cmp_ngt_f32_e32 vcc_lo, 0, v5
	s_cbranch_vccnz .LBB165_11
; %bb.10:                               ;   in Loop: Header=BB165_9 Depth=3
	v_ashrrev_i32_e32 v3, 31, v2
	s_delay_alu instid0(VALU_DEP_1) | instskip(NEXT) | instid1(VALU_DEP_1)
	v_lshlrev_b64 v[6:7], 3, v[2:3]
	v_add_co_u32 v6, vcc_lo, s31, v6
	s_delay_alu instid0(VALU_DEP_2)
	v_add_co_ci_u32_e32 v7, vcc_lo, s33, v7, vcc_lo
	global_load_b64 v[8:9], v[6:7], off
	s_waitcnt vmcnt(0)
	v_xor_b32_e32 v8, 0x80000000, v8
	v_xor_b32_e32 v9, 0x80000000, v9
	global_store_b64 v[6:7], v[8:9], off
.LBB165_11:                             ;   in Loop: Header=BB165_9 Depth=3
	s_and_saveexec_b32 s21, s1
	s_cbranch_execz .LBB165_8
; %bb.12:                               ;   in Loop: Header=BB165_9 Depth=3
	v_and_b32_e32 v3, 0x7fffffff, v5
	global_store_b32 v0, v3, s[22:23]
	s_branch .LBB165_8
.LBB165_13:
	s_nop 0
	s_sendmsg sendmsg(MSG_DEALLOC_VGPRS)
	s_endpgm
	.section	.rodata,"a",@progbits
	.p2align	6, 0x0
	.amdhsa_kernel _ZN9rocsolver6v33100L16gesdd_flip_signsI19rocblas_complex_numIfEfEEviPT0_lPT_ilS7_ili
		.amdhsa_group_segment_fixed_size 0
		.amdhsa_private_segment_fixed_size 0
		.amdhsa_kernarg_size 336
		.amdhsa_user_sgpr_count 14
		.amdhsa_user_sgpr_dispatch_ptr 0
		.amdhsa_user_sgpr_queue_ptr 0
		.amdhsa_user_sgpr_kernarg_segment_ptr 1
		.amdhsa_user_sgpr_dispatch_id 0
		.amdhsa_user_sgpr_private_segment_size 0
		.amdhsa_wavefront_size32 1
		.amdhsa_uses_dynamic_stack 0
		.amdhsa_enable_private_segment 0
		.amdhsa_system_sgpr_workgroup_id_x 1
		.amdhsa_system_sgpr_workgroup_id_y 1
		.amdhsa_system_sgpr_workgroup_id_z 0
		.amdhsa_system_sgpr_workgroup_info 0
		.amdhsa_system_vgpr_workitem_id 0
		.amdhsa_next_free_vgpr 10
		.amdhsa_next_free_sgpr 38
		.amdhsa_reserve_vcc 1
		.amdhsa_float_round_mode_32 0
		.amdhsa_float_round_mode_16_64 0
		.amdhsa_float_denorm_mode_32 3
		.amdhsa_float_denorm_mode_16_64 3
		.amdhsa_dx10_clamp 1
		.amdhsa_ieee_mode 1
		.amdhsa_fp16_overflow 0
		.amdhsa_workgroup_processor_mode 1
		.amdhsa_memory_ordered 1
		.amdhsa_forward_progress 0
		.amdhsa_shared_vgpr_count 0
		.amdhsa_exception_fp_ieee_invalid_op 0
		.amdhsa_exception_fp_denorm_src 0
		.amdhsa_exception_fp_ieee_div_zero 0
		.amdhsa_exception_fp_ieee_overflow 0
		.amdhsa_exception_fp_ieee_underflow 0
		.amdhsa_exception_fp_ieee_inexact 0
		.amdhsa_exception_int_div_zero 0
	.end_amdhsa_kernel
	.section	.text._ZN9rocsolver6v33100L16gesdd_flip_signsI19rocblas_complex_numIfEfEEviPT0_lPT_ilS7_ili,"axG",@progbits,_ZN9rocsolver6v33100L16gesdd_flip_signsI19rocblas_complex_numIfEfEEviPT0_lPT_ilS7_ili,comdat
.Lfunc_end165:
	.size	_ZN9rocsolver6v33100L16gesdd_flip_signsI19rocblas_complex_numIfEfEEviPT0_lPT_ilS7_ili, .Lfunc_end165-_ZN9rocsolver6v33100L16gesdd_flip_signsI19rocblas_complex_numIfEfEEviPT0_lPT_ilS7_ili
                                        ; -- End function
	.section	.AMDGPU.csdata,"",@progbits
; Kernel info:
; codeLenInByte = 560
; NumSgprs: 40
; NumVgprs: 10
; ScratchSize: 0
; MemoryBound: 0
; FloatMode: 240
; IeeeMode: 1
; LDSByteSize: 0 bytes/workgroup (compile time only)
; SGPRBlocks: 4
; VGPRBlocks: 1
; NumSGPRsForWavesPerEU: 40
; NumVGPRsForWavesPerEU: 10
; Occupancy: 16
; WaveLimiterHint : 0
; COMPUTE_PGM_RSRC2:SCRATCH_EN: 0
; COMPUTE_PGM_RSRC2:USER_SGPR: 14
; COMPUTE_PGM_RSRC2:TRAP_HANDLER: 0
; COMPUTE_PGM_RSRC2:TGID_X_EN: 1
; COMPUTE_PGM_RSRC2:TGID_Y_EN: 1
; COMPUTE_PGM_RSRC2:TGID_Z_EN: 0
; COMPUTE_PGM_RSRC2:TIDIG_COMP_CNT: 0
	.section	.text._ZN9rocsolver6v33100L16org2r_init_identI19rocblas_complex_numIfEPS3_EEviiiT0_iil,"axG",@progbits,_ZN9rocsolver6v33100L16org2r_init_identI19rocblas_complex_numIfEPS3_EEviiiT0_iil,comdat
	.globl	_ZN9rocsolver6v33100L16org2r_init_identI19rocblas_complex_numIfEPS3_EEviiiT0_iil ; -- Begin function _ZN9rocsolver6v33100L16org2r_init_identI19rocblas_complex_numIfEPS3_EEviiiT0_iil
	.p2align	8
	.type	_ZN9rocsolver6v33100L16org2r_init_identI19rocblas_complex_numIfEPS3_EEviiiT0_iil,@function
_ZN9rocsolver6v33100L16org2r_init_identI19rocblas_complex_numIfEPS3_EEviiiT0_iil: ; @_ZN9rocsolver6v33100L16org2r_init_identI19rocblas_complex_numIfEPS3_EEviiiT0_iil
; %bb.0:
	s_clause 0x1
	s_load_b32 s2, s[0:1], 0x34
	s_load_b128 s[4:7], s[0:1], 0x0
	v_and_b32_e32 v1, 0x3ff, v0
	v_bfe_u32 v0, v0, 10, 10
	s_waitcnt lgkmcnt(0)
	s_lshr_b32 s3, s2, 16
	s_and_b32 s2, s2, 0xffff
	s_delay_alu instid0(SALU_CYCLE_1) | instskip(SKIP_1) | instid1(VALU_DEP_2)
	v_mad_u64_u32 v[4:5], null, s13, s2, v[1:2]
	v_mad_u64_u32 v[2:3], null, s14, s3, v[0:1]
	v_cmp_gt_u32_e32 vcc_lo, s4, v4
	s_delay_alu instid0(VALU_DEP_2) | instskip(NEXT) | instid1(VALU_DEP_1)
	v_cmp_gt_u32_e64 s2, s5, v2
	s_and_b32 s2, vcc_lo, s2
	s_delay_alu instid0(SALU_CYCLE_1)
	s_and_saveexec_b32 s3, s2
	s_cbranch_execz .LBB166_5
; %bb.1:
	s_clause 0x1
	s_load_b64 s[4:5], s[0:1], 0x20
	s_load_b128 s[0:3], s[0:1], 0x10
                                        ; implicit-def: $vgpr0_vgpr1
	s_waitcnt lgkmcnt(0)
	s_mul_i32 s5, s15, s5
	s_mul_hi_u32 s7, s15, s4
	s_mul_i32 s4, s15, s4
	s_add_i32 s5, s7, s5
	s_ashr_i32 s9, s2, 31
	s_lshl_b64 s[4:5], s[4:5], 3
	s_mov_b32 s8, s2
	s_add_u32 s2, s0, s4
	s_addc_u32 s4, s1, s5
	s_lshl_b64 s[0:1], s[8:9], 3
	s_delay_alu instid0(SALU_CYCLE_1)
	s_add_u32 s0, s2, s0
	s_addc_u32 s1, s4, s1
	s_mov_b32 s4, 0
	s_mov_b32 s2, exec_lo
	v_cmpx_ne_u32_e64 v4, v2
	s_xor_b32 s2, exec_lo, s2
	s_cbranch_execnz .LBB166_6
; %bb.2:
	s_and_not1_saveexec_b32 s2, s2
	s_cbranch_execnz .LBB166_13
.LBB166_3:
	s_or_b32 exec_lo, exec_lo, s2
	s_delay_alu instid0(SALU_CYCLE_1)
	s_and_b32 exec_lo, exec_lo, s4
	s_cbranch_execz .LBB166_5
.LBB166_4:
	v_mov_b32_e32 v2, 0
	global_store_b32 v[0:1], v2, off
.LBB166_5:
	s_nop 0
	s_sendmsg sendmsg(MSG_DEALLOC_VGPRS)
	s_endpgm
.LBB166_6:
	s_mov_b32 s5, exec_lo
                                        ; implicit-def: $vgpr0_vgpr1
	v_cmpx_le_u32_e64 v2, v4
	s_xor_b32 s5, exec_lo, s5
	s_cbranch_execz .LBB166_10
; %bb.7:
	v_cmp_le_u32_e32 vcc_lo, s6, v2
                                        ; implicit-def: $vgpr0_vgpr1
	s_and_saveexec_b32 s6, vcc_lo
	s_delay_alu instid0(SALU_CYCLE_1)
	s_xor_b32 s6, exec_lo, s6
	s_cbranch_execz .LBB166_9
; %bb.8:
	v_mad_u64_u32 v[5:6], null, v2, s3, v[4:5]
	v_mov_b32_e32 v6, 0
	s_mov_b32 s4, exec_lo
	s_delay_alu instid0(VALU_DEP_1) | instskip(NEXT) | instid1(VALU_DEP_1)
	v_lshlrev_b64 v[0:1], 3, v[5:6]
	v_add_co_u32 v2, vcc_lo, s0, v0
	s_delay_alu instid0(VALU_DEP_2) | instskip(NEXT) | instid1(VALU_DEP_2)
	v_add_co_ci_u32_e32 v3, vcc_lo, s1, v1, vcc_lo
	v_add_co_u32 v0, vcc_lo, v2, 4
	s_delay_alu instid0(VALU_DEP_2)
	v_add_co_ci_u32_e32 v1, vcc_lo, 0, v3, vcc_lo
	global_store_b32 v[2:3], v6, off
.LBB166_9:
	s_or_b32 exec_lo, exec_lo, s6
	s_delay_alu instid0(SALU_CYCLE_1)
	s_and_b32 s4, s4, exec_lo
                                        ; implicit-def: $vgpr4_vgpr5
                                        ; implicit-def: $vgpr2_vgpr3
.LBB166_10:
	s_and_not1_saveexec_b32 s5, s5
	s_cbranch_execz .LBB166_12
; %bb.11:
	v_mad_u64_u32 v[5:6], null, v2, s3, v[4:5]
	v_mov_b32_e32 v6, 0
	s_or_b32 s4, s4, exec_lo
	s_delay_alu instid0(VALU_DEP_1) | instskip(NEXT) | instid1(VALU_DEP_1)
	v_lshlrev_b64 v[0:1], 3, v[5:6]
	v_add_co_u32 v2, vcc_lo, s0, v0
	s_delay_alu instid0(VALU_DEP_2) | instskip(NEXT) | instid1(VALU_DEP_2)
	v_add_co_ci_u32_e32 v3, vcc_lo, s1, v1, vcc_lo
	v_add_co_u32 v0, vcc_lo, v2, 4
	s_delay_alu instid0(VALU_DEP_2)
	v_add_co_ci_u32_e32 v1, vcc_lo, 0, v3, vcc_lo
	global_store_b32 v[2:3], v6, off
.LBB166_12:
	s_or_b32 exec_lo, exec_lo, s5
	s_delay_alu instid0(SALU_CYCLE_1)
	s_and_b32 s4, s4, exec_lo
                                        ; implicit-def: $vgpr2_vgpr3
	s_and_not1_saveexec_b32 s2, s2
	s_cbranch_execz .LBB166_3
.LBB166_13:
	v_mad_u64_u32 v[0:1], null, v2, s3, v[2:3]
	v_dual_mov_b32 v1, 0 :: v_dual_mov_b32 v4, 1.0
	s_or_b32 s4, s4, exec_lo
	s_delay_alu instid0(VALU_DEP_1) | instskip(NEXT) | instid1(VALU_DEP_1)
	v_lshlrev_b64 v[0:1], 3, v[0:1]
	v_add_co_u32 v2, vcc_lo, s0, v0
	s_delay_alu instid0(VALU_DEP_2) | instskip(NEXT) | instid1(VALU_DEP_2)
	v_add_co_ci_u32_e32 v3, vcc_lo, s1, v1, vcc_lo
	v_add_co_u32 v0, vcc_lo, v2, 4
	s_delay_alu instid0(VALU_DEP_2) | instskip(SKIP_2) | instid1(SALU_CYCLE_1)
	v_add_co_ci_u32_e32 v1, vcc_lo, 0, v3, vcc_lo
	global_store_b32 v[2:3], v4, off
	s_or_b32 exec_lo, exec_lo, s2
	s_and_b32 exec_lo, exec_lo, s4
	s_cbranch_execnz .LBB166_4
	s_branch .LBB166_5
	.section	.rodata,"a",@progbits
	.p2align	6, 0x0
	.amdhsa_kernel _ZN9rocsolver6v33100L16org2r_init_identI19rocblas_complex_numIfEPS3_EEviiiT0_iil
		.amdhsa_group_segment_fixed_size 0
		.amdhsa_private_segment_fixed_size 0
		.amdhsa_kernarg_size 296
		.amdhsa_user_sgpr_count 13
		.amdhsa_user_sgpr_dispatch_ptr 0
		.amdhsa_user_sgpr_queue_ptr 0
		.amdhsa_user_sgpr_kernarg_segment_ptr 1
		.amdhsa_user_sgpr_dispatch_id 0
		.amdhsa_user_sgpr_private_segment_size 0
		.amdhsa_wavefront_size32 1
		.amdhsa_uses_dynamic_stack 0
		.amdhsa_enable_private_segment 0
		.amdhsa_system_sgpr_workgroup_id_x 1
		.amdhsa_system_sgpr_workgroup_id_y 1
		.amdhsa_system_sgpr_workgroup_id_z 1
		.amdhsa_system_sgpr_workgroup_info 0
		.amdhsa_system_vgpr_workitem_id 1
		.amdhsa_next_free_vgpr 7
		.amdhsa_next_free_sgpr 16
		.amdhsa_reserve_vcc 1
		.amdhsa_float_round_mode_32 0
		.amdhsa_float_round_mode_16_64 0
		.amdhsa_float_denorm_mode_32 3
		.amdhsa_float_denorm_mode_16_64 3
		.amdhsa_dx10_clamp 1
		.amdhsa_ieee_mode 1
		.amdhsa_fp16_overflow 0
		.amdhsa_workgroup_processor_mode 1
		.amdhsa_memory_ordered 1
		.amdhsa_forward_progress 0
		.amdhsa_shared_vgpr_count 0
		.amdhsa_exception_fp_ieee_invalid_op 0
		.amdhsa_exception_fp_denorm_src 0
		.amdhsa_exception_fp_ieee_div_zero 0
		.amdhsa_exception_fp_ieee_overflow 0
		.amdhsa_exception_fp_ieee_underflow 0
		.amdhsa_exception_fp_ieee_inexact 0
		.amdhsa_exception_int_div_zero 0
	.end_amdhsa_kernel
	.section	.text._ZN9rocsolver6v33100L16org2r_init_identI19rocblas_complex_numIfEPS3_EEviiiT0_iil,"axG",@progbits,_ZN9rocsolver6v33100L16org2r_init_identI19rocblas_complex_numIfEPS3_EEviiiT0_iil,comdat
.Lfunc_end166:
	.size	_ZN9rocsolver6v33100L16org2r_init_identI19rocblas_complex_numIfEPS3_EEviiiT0_iil, .Lfunc_end166-_ZN9rocsolver6v33100L16org2r_init_identI19rocblas_complex_numIfEPS3_EEviiiT0_iil
                                        ; -- End function
	.section	.AMDGPU.csdata,"",@progbits
; Kernel info:
; codeLenInByte = 556
; NumSgprs: 18
; NumVgprs: 7
; ScratchSize: 0
; MemoryBound: 0
; FloatMode: 240
; IeeeMode: 1
; LDSByteSize: 0 bytes/workgroup (compile time only)
; SGPRBlocks: 2
; VGPRBlocks: 0
; NumSGPRsForWavesPerEU: 18
; NumVGPRsForWavesPerEU: 7
; Occupancy: 16
; WaveLimiterHint : 0
; COMPUTE_PGM_RSRC2:SCRATCH_EN: 0
; COMPUTE_PGM_RSRC2:USER_SGPR: 13
; COMPUTE_PGM_RSRC2:TRAP_HANDLER: 0
; COMPUTE_PGM_RSRC2:TGID_X_EN: 1
; COMPUTE_PGM_RSRC2:TGID_Y_EN: 1
; COMPUTE_PGM_RSRC2:TGID_Z_EN: 1
; COMPUTE_PGM_RSRC2:TIDIG_COMP_CNT: 1
	.section	.text._ZN9rocsolver6v33100L12subtract_tauI19rocblas_complex_numIfEPS3_EEviiT0_iilPT_l,"axG",@progbits,_ZN9rocsolver6v33100L12subtract_tauI19rocblas_complex_numIfEPS3_EEviiT0_iilPT_l,comdat
	.globl	_ZN9rocsolver6v33100L12subtract_tauI19rocblas_complex_numIfEPS3_EEviiT0_iilPT_l ; -- Begin function _ZN9rocsolver6v33100L12subtract_tauI19rocblas_complex_numIfEPS3_EEviiT0_iilPT_l
	.p2align	8
	.type	_ZN9rocsolver6v33100L12subtract_tauI19rocblas_complex_numIfEPS3_EEviiT0_iilPT_l,@function
_ZN9rocsolver6v33100L12subtract_tauI19rocblas_complex_numIfEPS3_EEviiT0_iilPT_l: ; @_ZN9rocsolver6v33100L12subtract_tauI19rocblas_complex_numIfEPS3_EEviiT0_iilPT_l
; %bb.0:
	s_clause 0x3
	s_load_b64 s[8:9], s[0:1], 0x10
	s_load_b128 s[4:7], s[0:1], 0x18
	s_load_b64 s[10:11], s[0:1], 0x28
	s_load_b128 s[0:3], s[0:1], 0x0
	s_waitcnt lgkmcnt(0)
	s_ashr_i32 s13, s8, 31
	s_mov_b32 s12, s8
	s_mul_i32 s5, s15, s5
	s_mul_hi_u32 s8, s15, s4
	s_mul_i32 s4, s15, s4
	s_add_i32 s5, s8, s5
	s_mul_i32 s8, s15, s11
	s_lshl_b64 s[4:5], s[4:5], 3
	s_mul_hi_u32 s11, s15, s10
	s_add_u32 s14, s2, s4
	s_addc_u32 s5, s3, s5
	s_lshl_b64 s[2:3], s[12:13], 3
	s_mul_i32 s4, s15, s10
	s_add_u32 s10, s14, s2
	s_addc_u32 s12, s5, s3
	s_add_i32 s5, s11, s8
	s_mul_i32 s1, s9, s1
	s_lshl_b64 s[2:3], s[4:5], 3
	s_delay_alu instid0(SALU_CYCLE_1) | instskip(SKIP_4) | instid1(SALU_CYCLE_1)
	s_add_u32 s2, s6, s2
	s_addc_u32 s3, s7, s3
	s_add_i32 s0, s1, s0
	s_load_b64 s[4:5], s[2:3], 0x0
	s_ashr_i32 s1, s0, 31
	s_lshl_b64 s[0:1], s[0:1], 3
	s_waitcnt lgkmcnt(0)
	s_xor_b32 s6, s4, 0x80000000
	s_xor_b32 s5, s5, 0x80000000
	s_delay_alu instid0(SALU_CYCLE_1)
	v_dual_mov_b32 v2, 0 :: v_dual_mov_b32 v1, s5
	v_mov_b32_e32 v0, s6
	s_add_u32 s0, s10, s0
	s_addc_u32 s1, s12, s1
	global_store_b64 v2, v[0:1], s[2:3]
	v_sub_f32_e64 v0, 1.0, s4
	global_store_b64 v2, v[0:1], s[0:1]
	s_nop 0
	s_sendmsg sendmsg(MSG_DEALLOC_VGPRS)
	s_endpgm
	.section	.rodata,"a",@progbits
	.p2align	6, 0x0
	.amdhsa_kernel _ZN9rocsolver6v33100L12subtract_tauI19rocblas_complex_numIfEPS3_EEviiT0_iilPT_l
		.amdhsa_group_segment_fixed_size 0
		.amdhsa_private_segment_fixed_size 0
		.amdhsa_kernarg_size 48
		.amdhsa_user_sgpr_count 15
		.amdhsa_user_sgpr_dispatch_ptr 0
		.amdhsa_user_sgpr_queue_ptr 0
		.amdhsa_user_sgpr_kernarg_segment_ptr 1
		.amdhsa_user_sgpr_dispatch_id 0
		.amdhsa_user_sgpr_private_segment_size 0
		.amdhsa_wavefront_size32 1
		.amdhsa_uses_dynamic_stack 0
		.amdhsa_enable_private_segment 0
		.amdhsa_system_sgpr_workgroup_id_x 1
		.amdhsa_system_sgpr_workgroup_id_y 0
		.amdhsa_system_sgpr_workgroup_id_z 0
		.amdhsa_system_sgpr_workgroup_info 0
		.amdhsa_system_vgpr_workitem_id 0
		.amdhsa_next_free_vgpr 3
		.amdhsa_next_free_sgpr 16
		.amdhsa_reserve_vcc 0
		.amdhsa_float_round_mode_32 0
		.amdhsa_float_round_mode_16_64 0
		.amdhsa_float_denorm_mode_32 3
		.amdhsa_float_denorm_mode_16_64 3
		.amdhsa_dx10_clamp 1
		.amdhsa_ieee_mode 1
		.amdhsa_fp16_overflow 0
		.amdhsa_workgroup_processor_mode 1
		.amdhsa_memory_ordered 1
		.amdhsa_forward_progress 0
		.amdhsa_shared_vgpr_count 0
		.amdhsa_exception_fp_ieee_invalid_op 0
		.amdhsa_exception_fp_denorm_src 0
		.amdhsa_exception_fp_ieee_div_zero 0
		.amdhsa_exception_fp_ieee_overflow 0
		.amdhsa_exception_fp_ieee_underflow 0
		.amdhsa_exception_fp_ieee_inexact 0
		.amdhsa_exception_int_div_zero 0
	.end_amdhsa_kernel
	.section	.text._ZN9rocsolver6v33100L12subtract_tauI19rocblas_complex_numIfEPS3_EEviiT0_iilPT_l,"axG",@progbits,_ZN9rocsolver6v33100L12subtract_tauI19rocblas_complex_numIfEPS3_EEviiT0_iilPT_l,comdat
.Lfunc_end167:
	.size	_ZN9rocsolver6v33100L12subtract_tauI19rocblas_complex_numIfEPS3_EEviiT0_iilPT_l, .Lfunc_end167-_ZN9rocsolver6v33100L12subtract_tauI19rocblas_complex_numIfEPS3_EEviiT0_iilPT_l
                                        ; -- End function
	.section	.AMDGPU.csdata,"",@progbits
; Kernel info:
; codeLenInByte = 224
; NumSgprs: 16
; NumVgprs: 3
; ScratchSize: 0
; MemoryBound: 0
; FloatMode: 240
; IeeeMode: 1
; LDSByteSize: 0 bytes/workgroup (compile time only)
; SGPRBlocks: 1
; VGPRBlocks: 0
; NumSGPRsForWavesPerEU: 16
; NumVGPRsForWavesPerEU: 3
; Occupancy: 16
; WaveLimiterHint : 0
; COMPUTE_PGM_RSRC2:SCRATCH_EN: 0
; COMPUTE_PGM_RSRC2:USER_SGPR: 15
; COMPUTE_PGM_RSRC2:TRAP_HANDLER: 0
; COMPUTE_PGM_RSRC2:TGID_X_EN: 1
; COMPUTE_PGM_RSRC2:TGID_Y_EN: 0
; COMPUTE_PGM_RSRC2:TGID_Z_EN: 0
; COMPUTE_PGM_RSRC2:TIDIG_COMP_CNT: 0
	.section	.text._ZN9rocsolver6v33100L6restauI19rocblas_complex_numIfEEEviPT_l,"axG",@progbits,_ZN9rocsolver6v33100L6restauI19rocblas_complex_numIfEEEviPT_l,comdat
	.globl	_ZN9rocsolver6v33100L6restauI19rocblas_complex_numIfEEEviPT_l ; -- Begin function _ZN9rocsolver6v33100L6restauI19rocblas_complex_numIfEEEviPT_l
	.p2align	8
	.type	_ZN9rocsolver6v33100L6restauI19rocblas_complex_numIfEEEviPT_l,@function
_ZN9rocsolver6v33100L6restauI19rocblas_complex_numIfEEEviPT_l: ; @_ZN9rocsolver6v33100L6restauI19rocblas_complex_numIfEEEviPT_l
; %bb.0:
	s_clause 0x1
	s_load_b32 s2, s[0:1], 0x24
	s_load_b32 s3, s[0:1], 0x0
	s_waitcnt lgkmcnt(0)
	s_and_b32 s2, s2, 0xffff
	s_delay_alu instid0(SALU_CYCLE_1) | instskip(SKIP_1) | instid1(VALU_DEP_1)
	v_mad_u64_u32 v[1:2], null, s14, s2, v[0:1]
	s_mov_b32 s2, exec_lo
	v_cmpx_gt_u32_e64 s3, v1
	s_cbranch_execz .LBB168_2
; %bb.1:
	s_load_b128 s[0:3], s[0:1], 0x8
	v_mov_b32_e32 v2, 0
	s_delay_alu instid0(VALU_DEP_1)
	v_lshlrev_b64 v[0:1], 3, v[1:2]
	s_waitcnt lgkmcnt(0)
	s_mul_i32 s3, s15, s3
	s_mul_hi_u32 s4, s15, s2
	s_mul_i32 s2, s15, s2
	s_add_i32 s3, s4, s3
	s_delay_alu instid0(SALU_CYCLE_1) | instskip(NEXT) | instid1(SALU_CYCLE_1)
	s_lshl_b64 s[2:3], s[2:3], 3
	s_add_u32 s0, s0, s2
	s_addc_u32 s1, s1, s3
	v_add_co_u32 v0, vcc_lo, s0, v0
	v_add_co_ci_u32_e32 v1, vcc_lo, s1, v1, vcc_lo
	global_load_b64 v[2:3], v[0:1], off
	s_waitcnt vmcnt(0)
	v_xor_b32_e32 v2, 0x80000000, v2
	v_xor_b32_e32 v3, 0x80000000, v3
	global_store_b64 v[0:1], v[2:3], off
.LBB168_2:
	s_nop 0
	s_sendmsg sendmsg(MSG_DEALLOC_VGPRS)
	s_endpgm
	.section	.rodata,"a",@progbits
	.p2align	6, 0x0
	.amdhsa_kernel _ZN9rocsolver6v33100L6restauI19rocblas_complex_numIfEEEviPT_l
		.amdhsa_group_segment_fixed_size 0
		.amdhsa_private_segment_fixed_size 0
		.amdhsa_kernarg_size 280
		.amdhsa_user_sgpr_count 14
		.amdhsa_user_sgpr_dispatch_ptr 0
		.amdhsa_user_sgpr_queue_ptr 0
		.amdhsa_user_sgpr_kernarg_segment_ptr 1
		.amdhsa_user_sgpr_dispatch_id 0
		.amdhsa_user_sgpr_private_segment_size 0
		.amdhsa_wavefront_size32 1
		.amdhsa_uses_dynamic_stack 0
		.amdhsa_enable_private_segment 0
		.amdhsa_system_sgpr_workgroup_id_x 1
		.amdhsa_system_sgpr_workgroup_id_y 1
		.amdhsa_system_sgpr_workgroup_id_z 0
		.amdhsa_system_sgpr_workgroup_info 0
		.amdhsa_system_vgpr_workitem_id 0
		.amdhsa_next_free_vgpr 4
		.amdhsa_next_free_sgpr 16
		.amdhsa_reserve_vcc 1
		.amdhsa_float_round_mode_32 0
		.amdhsa_float_round_mode_16_64 0
		.amdhsa_float_denorm_mode_32 3
		.amdhsa_float_denorm_mode_16_64 3
		.amdhsa_dx10_clamp 1
		.amdhsa_ieee_mode 1
		.amdhsa_fp16_overflow 0
		.amdhsa_workgroup_processor_mode 1
		.amdhsa_memory_ordered 1
		.amdhsa_forward_progress 0
		.amdhsa_shared_vgpr_count 0
		.amdhsa_exception_fp_ieee_invalid_op 0
		.amdhsa_exception_fp_denorm_src 0
		.amdhsa_exception_fp_ieee_div_zero 0
		.amdhsa_exception_fp_ieee_overflow 0
		.amdhsa_exception_fp_ieee_underflow 0
		.amdhsa_exception_fp_ieee_inexact 0
		.amdhsa_exception_int_div_zero 0
	.end_amdhsa_kernel
	.section	.text._ZN9rocsolver6v33100L6restauI19rocblas_complex_numIfEEEviPT_l,"axG",@progbits,_ZN9rocsolver6v33100L6restauI19rocblas_complex_numIfEEEviPT_l,comdat
.Lfunc_end168:
	.size	_ZN9rocsolver6v33100L6restauI19rocblas_complex_numIfEEEviPT_l, .Lfunc_end168-_ZN9rocsolver6v33100L6restauI19rocblas_complex_numIfEEEviPT_l
                                        ; -- End function
	.section	.AMDGPU.csdata,"",@progbits
; Kernel info:
; codeLenInByte = 180
; NumSgprs: 18
; NumVgprs: 4
; ScratchSize: 0
; MemoryBound: 0
; FloatMode: 240
; IeeeMode: 1
; LDSByteSize: 0 bytes/workgroup (compile time only)
; SGPRBlocks: 2
; VGPRBlocks: 0
; NumSGPRsForWavesPerEU: 18
; NumVGPRsForWavesPerEU: 4
; Occupancy: 16
; WaveLimiterHint : 0
; COMPUTE_PGM_RSRC2:SCRATCH_EN: 0
; COMPUTE_PGM_RSRC2:USER_SGPR: 14
; COMPUTE_PGM_RSRC2:TRAP_HANDLER: 0
; COMPUTE_PGM_RSRC2:TGID_X_EN: 1
; COMPUTE_PGM_RSRC2:TGID_Y_EN: 1
; COMPUTE_PGM_RSRC2:TGID_Z_EN: 0
; COMPUTE_PGM_RSRC2:TIDIG_COMP_CNT: 0
	.section	.text._ZN9rocsolver6v33100L14copy_trans_matI19rocblas_complex_numIfES3_PS3_S4_NS0_7no_maskEEEv18rocblas_operation_iiT1_iilT2_iilT3_13rocblas_fill_17rocblas_diagonal_,"axG",@progbits,_ZN9rocsolver6v33100L14copy_trans_matI19rocblas_complex_numIfES3_PS3_S4_NS0_7no_maskEEEv18rocblas_operation_iiT1_iilT2_iilT3_13rocblas_fill_17rocblas_diagonal_,comdat
	.globl	_ZN9rocsolver6v33100L14copy_trans_matI19rocblas_complex_numIfES3_PS3_S4_NS0_7no_maskEEEv18rocblas_operation_iiT1_iilT2_iilT3_13rocblas_fill_17rocblas_diagonal_ ; -- Begin function _ZN9rocsolver6v33100L14copy_trans_matI19rocblas_complex_numIfES3_PS3_S4_NS0_7no_maskEEEv18rocblas_operation_iiT1_iilT2_iilT3_13rocblas_fill_17rocblas_diagonal_
	.p2align	8
	.type	_ZN9rocsolver6v33100L14copy_trans_matI19rocblas_complex_numIfES3_PS3_S4_NS0_7no_maskEEEv18rocblas_operation_iiT1_iilT2_iilT3_13rocblas_fill_17rocblas_diagonal_,@function
_ZN9rocsolver6v33100L14copy_trans_matI19rocblas_complex_numIfES3_PS3_S4_NS0_7no_maskEEEv18rocblas_operation_iiT1_iilT2_iilT3_13rocblas_fill_17rocblas_diagonal_: ; @_ZN9rocsolver6v33100L14copy_trans_matI19rocblas_complex_numIfES3_PS3_S4_NS0_7no_maskEEEv18rocblas_operation_iiT1_iilT2_iilT3_13rocblas_fill_17rocblas_diagonal_
; %bb.0:
	s_clause 0x1
	s_load_b32 s2, s[0:1], 0x5c
	s_load_b128 s[16:19], s[0:1], 0x0
	v_and_b32_e32 v2, 0x3ff, v0
	v_bfe_u32 v3, v0, 10, 10
	s_waitcnt lgkmcnt(0)
	s_lshr_b32 s3, s2, 16
	s_and_b32 s2, s2, 0xffff
	s_delay_alu instid0(VALU_DEP_1) | instid1(SALU_CYCLE_1)
	v_mad_u64_u32 v[0:1], null, s13, s2, v[2:3]
	v_mad_u64_u32 v[1:2], null, s14, s3, v[3:4]
	s_delay_alu instid0(VALU_DEP_2) | instskip(NEXT) | instid1(VALU_DEP_2)
	v_cmp_gt_u32_e32 vcc_lo, s17, v0
	v_cmp_gt_u32_e64 s2, s18, v1
	s_delay_alu instid0(VALU_DEP_1) | instskip(NEXT) | instid1(SALU_CYCLE_1)
	s_and_b32 s2, s2, vcc_lo
	s_and_saveexec_b32 s3, s2
	s_cbranch_execz .LBB169_18
; %bb.1:
	s_load_b64 s[4:5], s[0:1], 0x44
	s_waitcnt lgkmcnt(0)
	s_cmpk_lt_i32 s4, 0x7a
	s_cbranch_scc1 .LBB169_4
; %bb.2:
	s_cmpk_gt_i32 s4, 0x7a
	s_cbranch_scc0 .LBB169_5
; %bb.3:
	s_cmpk_lg_i32 s4, 0x7b
	s_mov_b32 s3, -1
	s_cselect_b32 s6, -1, 0
	s_cbranch_execz .LBB169_6
	s_branch .LBB169_7
.LBB169_4:
	s_mov_b32 s6, 0
	s_mov_b32 s3, 0
	s_cbranch_execnz .LBB169_8
	s_branch .LBB169_10
.LBB169_5:
	s_mov_b32 s3, 0
	s_mov_b32 s6, 0
.LBB169_6:
	v_cmp_gt_u32_e32 vcc_lo, v0, v1
	v_cmp_le_u32_e64 s2, v0, v1
	s_and_not1_b32 s3, s3, exec_lo
	s_and_not1_b32 s6, s6, exec_lo
	s_and_b32 s7, vcc_lo, exec_lo
	s_delay_alu instid0(VALU_DEP_1)
	s_and_b32 s2, s2, exec_lo
	s_or_b32 s3, s3, s7
	s_or_b32 s6, s6, s2
.LBB169_7:
	s_branch .LBB169_10
.LBB169_8:
	s_cmpk_eq_i32 s4, 0x79
	s_mov_b32 s6, -1
	s_cbranch_scc0 .LBB169_10
; %bb.9:
	v_cmp_gt_u32_e32 vcc_lo, v1, v0
	v_cmp_le_u32_e64 s2, v1, v0
	s_and_not1_b32 s3, s3, exec_lo
	s_and_b32 s4, vcc_lo, exec_lo
	s_delay_alu instid0(VALU_DEP_1)
	s_or_not1_b32 s6, s2, exec_lo
	s_or_b32 s3, s3, s4
.LBB169_10:
	s_and_saveexec_b32 s2, s6
; %bb.11:
	v_cmp_eq_u32_e32 vcc_lo, v0, v1
	s_cmpk_eq_i32 s5, 0x83
	s_cselect_b32 s4, -1, 0
	s_and_not1_b32 s3, s3, exec_lo
	s_and_b32 s4, s4, vcc_lo
	s_delay_alu instid0(SALU_CYCLE_1) | instskip(NEXT) | instid1(SALU_CYCLE_1)
	s_and_b32 s4, s4, exec_lo
	s_or_b32 s3, s3, s4
; %bb.12:
	s_or_b32 exec_lo, exec_lo, s2
	s_delay_alu instid0(SALU_CYCLE_1)
	s_and_b32 exec_lo, exec_lo, s3
	s_cbranch_execz .LBB169_18
; %bb.13:
	s_clause 0x1
	s_load_b256 s[4:11], s[0:1], 0x10
	s_load_b128 s[0:3], s[0:1], 0x30
	s_mov_b32 s12, 0
	s_waitcnt lgkmcnt(0)
	s_mul_i32 s9, s15, s9
	s_mul_hi_u32 s13, s15, s8
	v_mad_u64_u32 v[2:3], null, v1, s7, v[0:1]
	s_mul_i32 s8, s15, s8
	s_add_i32 s9, s13, s9
	v_mov_b32_e32 v3, 0
	s_lshl_b64 s[8:9], s[8:9], 3
	s_ashr_i32 s19, s6, 31
	s_mov_b32 s18, s6
	s_add_u32 s7, s4, s8
	s_addc_u32 s8, s5, s9
	s_lshl_b64 s[4:5], s[18:19], 3
	s_mul_i32 s3, s15, s3
	s_mul_hi_u32 s14, s15, s2
	v_lshlrev_b64 v[2:3], 3, v[2:3]
	s_add_u32 s4, s7, s4
	s_mul_i32 s2, s15, s2
	s_addc_u32 s5, s8, s5
	s_add_i32 s3, s14, s3
	s_mov_b32 s6, s0
	s_lshl_b64 s[2:3], s[2:3], 3
	s_ashr_i32 s7, s0, 31
	s_add_u32 s0, s10, s2
	v_add_co_u32 v2, vcc_lo, s4, v2
	s_addc_u32 s8, s11, s3
	s_lshl_b64 s[2:3], s[6:7], 3
	v_add_co_ci_u32_e32 v3, vcc_lo, s5, v3, vcc_lo
	s_add_u32 s0, s0, s2
	s_addc_u32 s2, s8, s3
	s_mov_b32 s4, -1
	s_cmpk_lt_i32 s16, 0x71
	s_mov_b32 s3, 0
	s_cbranch_scc0 .LBB169_19
; %bb.14:
	s_and_b32 vcc_lo, exec_lo, s4
	s_cbranch_vccnz .LBB169_22
.LBB169_15:
	s_and_not1_b32 vcc_lo, exec_lo, s3
	s_cbranch_vccz .LBB169_23
.LBB169_16:
	s_and_not1_b32 vcc_lo, exec_lo, s12
	s_cbranch_vccnz .LBB169_18
.LBB169_17:
	global_load_b64 v[2:3], v[2:3], off
	s_waitcnt vmcnt(0)
	v_mad_u64_u32 v[4:5], null, v0, s1, v[1:2]
	v_mov_b32_e32 v5, 0
	s_delay_alu instid0(VALU_DEP_1) | instskip(NEXT) | instid1(VALU_DEP_1)
	v_lshlrev_b64 v[0:1], 3, v[4:5]
	v_add_co_u32 v0, vcc_lo, s0, v0
	s_delay_alu instid0(VALU_DEP_2)
	v_add_co_ci_u32_e32 v1, vcc_lo, s2, v1, vcc_lo
	global_store_b64 v[0:1], v[2:3], off
.LBB169_18:
	s_nop 0
	s_sendmsg sendmsg(MSG_DEALLOC_VGPRS)
	s_endpgm
.LBB169_19:
	s_cmpk_eq_i32 s16, 0x71
	s_mov_b32 s3, -1
	s_cbranch_scc0 .LBB169_21
; %bb.20:
	global_load_b64 v[4:5], v[2:3], off
	v_mad_u64_u32 v[6:7], null, v0, s1, v[1:2]
	v_mov_b32_e32 v7, 0
	s_mov_b32 s3, 0
	s_delay_alu instid0(VALU_DEP_1) | instskip(NEXT) | instid1(VALU_DEP_1)
	v_lshlrev_b64 v[6:7], 3, v[6:7]
	v_add_co_u32 v6, vcc_lo, s0, v6
	s_delay_alu instid0(VALU_DEP_2)
	v_add_co_ci_u32_e32 v7, vcc_lo, s2, v7, vcc_lo
	s_waitcnt vmcnt(0)
	v_xor_b32_e32 v5, 0x80000000, v5
	global_store_b64 v[6:7], v[4:5], off
.LBB169_21:
	s_branch .LBB169_15
.LBB169_22:
	s_cmpk_lg_i32 s16, 0x70
	s_mov_b32 s12, -1
	s_cselect_b32 s3, -1, 0
	s_delay_alu instid0(SALU_CYCLE_1)
	s_and_not1_b32 vcc_lo, exec_lo, s3
	s_cbranch_vccnz .LBB169_16
.LBB169_23:
	global_load_b64 v[4:5], v[2:3], off
	v_mad_u64_u32 v[6:7], null, v1, s1, v[0:1]
	v_mov_b32_e32 v7, 0
	s_delay_alu instid0(VALU_DEP_1) | instskip(NEXT) | instid1(VALU_DEP_1)
	v_lshlrev_b64 v[6:7], 3, v[6:7]
	v_add_co_u32 v6, vcc_lo, s0, v6
	s_delay_alu instid0(VALU_DEP_2)
	v_add_co_ci_u32_e32 v7, vcc_lo, s2, v7, vcc_lo
	s_waitcnt vmcnt(0)
	global_store_b64 v[6:7], v[4:5], off
	s_cbranch_execz .LBB169_17
	s_branch .LBB169_18
	.section	.rodata,"a",@progbits
	.p2align	6, 0x0
	.amdhsa_kernel _ZN9rocsolver6v33100L14copy_trans_matI19rocblas_complex_numIfES3_PS3_S4_NS0_7no_maskEEEv18rocblas_operation_iiT1_iilT2_iilT3_13rocblas_fill_17rocblas_diagonal_
		.amdhsa_group_segment_fixed_size 0
		.amdhsa_private_segment_fixed_size 0
		.amdhsa_kernarg_size 336
		.amdhsa_user_sgpr_count 13
		.amdhsa_user_sgpr_dispatch_ptr 0
		.amdhsa_user_sgpr_queue_ptr 0
		.amdhsa_user_sgpr_kernarg_segment_ptr 1
		.amdhsa_user_sgpr_dispatch_id 0
		.amdhsa_user_sgpr_private_segment_size 0
		.amdhsa_wavefront_size32 1
		.amdhsa_uses_dynamic_stack 0
		.amdhsa_enable_private_segment 0
		.amdhsa_system_sgpr_workgroup_id_x 1
		.amdhsa_system_sgpr_workgroup_id_y 1
		.amdhsa_system_sgpr_workgroup_id_z 1
		.amdhsa_system_sgpr_workgroup_info 0
		.amdhsa_system_vgpr_workitem_id 1
		.amdhsa_next_free_vgpr 8
		.amdhsa_next_free_sgpr 20
		.amdhsa_reserve_vcc 1
		.amdhsa_float_round_mode_32 0
		.amdhsa_float_round_mode_16_64 0
		.amdhsa_float_denorm_mode_32 3
		.amdhsa_float_denorm_mode_16_64 3
		.amdhsa_dx10_clamp 1
		.amdhsa_ieee_mode 1
		.amdhsa_fp16_overflow 0
		.amdhsa_workgroup_processor_mode 1
		.amdhsa_memory_ordered 1
		.amdhsa_forward_progress 0
		.amdhsa_shared_vgpr_count 0
		.amdhsa_exception_fp_ieee_invalid_op 0
		.amdhsa_exception_fp_denorm_src 0
		.amdhsa_exception_fp_ieee_div_zero 0
		.amdhsa_exception_fp_ieee_overflow 0
		.amdhsa_exception_fp_ieee_underflow 0
		.amdhsa_exception_fp_ieee_inexact 0
		.amdhsa_exception_int_div_zero 0
	.end_amdhsa_kernel
	.section	.text._ZN9rocsolver6v33100L14copy_trans_matI19rocblas_complex_numIfES3_PS3_S4_NS0_7no_maskEEEv18rocblas_operation_iiT1_iilT2_iilT3_13rocblas_fill_17rocblas_diagonal_,"axG",@progbits,_ZN9rocsolver6v33100L14copy_trans_matI19rocblas_complex_numIfES3_PS3_S4_NS0_7no_maskEEEv18rocblas_operation_iiT1_iilT2_iilT3_13rocblas_fill_17rocblas_diagonal_,comdat
.Lfunc_end169:
	.size	_ZN9rocsolver6v33100L14copy_trans_matI19rocblas_complex_numIfES3_PS3_S4_NS0_7no_maskEEEv18rocblas_operation_iiT1_iilT2_iilT3_13rocblas_fill_17rocblas_diagonal_, .Lfunc_end169-_ZN9rocsolver6v33100L14copy_trans_matI19rocblas_complex_numIfES3_PS3_S4_NS0_7no_maskEEEv18rocblas_operation_iiT1_iilT2_iilT3_13rocblas_fill_17rocblas_diagonal_
                                        ; -- End function
	.section	.AMDGPU.csdata,"",@progbits
; Kernel info:
; codeLenInByte = 764
; NumSgprs: 22
; NumVgprs: 8
; ScratchSize: 0
; MemoryBound: 0
; FloatMode: 240
; IeeeMode: 1
; LDSByteSize: 0 bytes/workgroup (compile time only)
; SGPRBlocks: 2
; VGPRBlocks: 0
; NumSGPRsForWavesPerEU: 22
; NumVGPRsForWavesPerEU: 8
; Occupancy: 16
; WaveLimiterHint : 0
; COMPUTE_PGM_RSRC2:SCRATCH_EN: 0
; COMPUTE_PGM_RSRC2:USER_SGPR: 13
; COMPUTE_PGM_RSRC2:TRAP_HANDLER: 0
; COMPUTE_PGM_RSRC2:TGID_X_EN: 1
; COMPUTE_PGM_RSRC2:TGID_Y_EN: 1
; COMPUTE_PGM_RSRC2:TGID_Z_EN: 1
; COMPUTE_PGM_RSRC2:TIDIG_COMP_CNT: 1
	.section	.text._ZN9rocsolver6v33100L16orgl2_init_identI19rocblas_complex_numIfEPS3_EEviiiT0_iil,"axG",@progbits,_ZN9rocsolver6v33100L16orgl2_init_identI19rocblas_complex_numIfEPS3_EEviiiT0_iil,comdat
	.globl	_ZN9rocsolver6v33100L16orgl2_init_identI19rocblas_complex_numIfEPS3_EEviiiT0_iil ; -- Begin function _ZN9rocsolver6v33100L16orgl2_init_identI19rocblas_complex_numIfEPS3_EEviiiT0_iil
	.p2align	8
	.type	_ZN9rocsolver6v33100L16orgl2_init_identI19rocblas_complex_numIfEPS3_EEviiiT0_iil,@function
_ZN9rocsolver6v33100L16orgl2_init_identI19rocblas_complex_numIfEPS3_EEviiiT0_iil: ; @_ZN9rocsolver6v33100L16orgl2_init_identI19rocblas_complex_numIfEPS3_EEviiiT0_iil
; %bb.0:
	s_clause 0x1
	s_load_b32 s2, s[0:1], 0x34
	s_load_b128 s[4:7], s[0:1], 0x0
	v_and_b32_e32 v1, 0x3ff, v0
	v_bfe_u32 v0, v0, 10, 10
	s_waitcnt lgkmcnt(0)
	s_lshr_b32 s3, s2, 16
	s_and_b32 s2, s2, 0xffff
	s_delay_alu instid0(SALU_CYCLE_1) | instskip(SKIP_1) | instid1(VALU_DEP_2)
	v_mad_u64_u32 v[4:5], null, s13, s2, v[1:2]
	v_mad_u64_u32 v[2:3], null, s14, s3, v[0:1]
	v_cmp_gt_u32_e32 vcc_lo, s4, v4
	s_delay_alu instid0(VALU_DEP_2) | instskip(NEXT) | instid1(VALU_DEP_1)
	v_cmp_gt_u32_e64 s2, s5, v2
	s_and_b32 s2, vcc_lo, s2
	s_delay_alu instid0(SALU_CYCLE_1)
	s_and_saveexec_b32 s3, s2
	s_cbranch_execz .LBB170_5
; %bb.1:
	s_clause 0x1
	s_load_b64 s[4:5], s[0:1], 0x20
	s_load_b128 s[0:3], s[0:1], 0x10
                                        ; implicit-def: $vgpr0_vgpr1
	s_waitcnt lgkmcnt(0)
	s_mul_i32 s5, s15, s5
	s_mul_hi_u32 s7, s15, s4
	s_mul_i32 s4, s15, s4
	s_add_i32 s5, s7, s5
	s_ashr_i32 s9, s2, 31
	s_lshl_b64 s[4:5], s[4:5], 3
	s_mov_b32 s8, s2
	s_add_u32 s2, s0, s4
	s_addc_u32 s4, s1, s5
	s_lshl_b64 s[0:1], s[8:9], 3
	s_delay_alu instid0(SALU_CYCLE_1)
	s_add_u32 s0, s2, s0
	s_addc_u32 s1, s4, s1
	s_mov_b32 s4, 0
	s_mov_b32 s2, exec_lo
	v_cmpx_ne_u32_e64 v4, v2
	s_xor_b32 s2, exec_lo, s2
	s_cbranch_execnz .LBB170_6
; %bb.2:
	s_and_not1_saveexec_b32 s2, s2
	s_cbranch_execnz .LBB170_13
.LBB170_3:
	s_or_b32 exec_lo, exec_lo, s2
	s_delay_alu instid0(SALU_CYCLE_1)
	s_and_b32 exec_lo, exec_lo, s4
	s_cbranch_execz .LBB170_5
.LBB170_4:
	v_mov_b32_e32 v2, 0
	global_store_b32 v[0:1], v2, off
.LBB170_5:
	s_nop 0
	s_sendmsg sendmsg(MSG_DEALLOC_VGPRS)
	s_endpgm
.LBB170_6:
	s_mov_b32 s5, exec_lo
                                        ; implicit-def: $vgpr0_vgpr1
	v_cmpx_ge_u32_e64 v2, v4
	s_xor_b32 s5, exec_lo, s5
	s_cbranch_execz .LBB170_10
; %bb.7:
	v_cmp_le_u32_e32 vcc_lo, s6, v4
                                        ; implicit-def: $vgpr0_vgpr1
	s_and_saveexec_b32 s6, vcc_lo
	s_delay_alu instid0(SALU_CYCLE_1)
	s_xor_b32 s6, exec_lo, s6
	s_cbranch_execz .LBB170_9
; %bb.8:
	v_mad_u64_u32 v[5:6], null, v2, s3, v[4:5]
	v_mov_b32_e32 v6, 0
	s_mov_b32 s4, exec_lo
	s_delay_alu instid0(VALU_DEP_1) | instskip(NEXT) | instid1(VALU_DEP_1)
	v_lshlrev_b64 v[0:1], 3, v[5:6]
	v_add_co_u32 v2, vcc_lo, s0, v0
	s_delay_alu instid0(VALU_DEP_2) | instskip(NEXT) | instid1(VALU_DEP_2)
	v_add_co_ci_u32_e32 v3, vcc_lo, s1, v1, vcc_lo
	v_add_co_u32 v0, vcc_lo, v2, 4
	s_delay_alu instid0(VALU_DEP_2)
	v_add_co_ci_u32_e32 v1, vcc_lo, 0, v3, vcc_lo
	global_store_b32 v[2:3], v6, off
.LBB170_9:
	s_or_b32 exec_lo, exec_lo, s6
	s_delay_alu instid0(SALU_CYCLE_1)
	s_and_b32 s4, s4, exec_lo
                                        ; implicit-def: $vgpr4_vgpr5
                                        ; implicit-def: $vgpr2_vgpr3
.LBB170_10:
	s_and_not1_saveexec_b32 s5, s5
	s_cbranch_execz .LBB170_12
; %bb.11:
	v_mad_u64_u32 v[5:6], null, v2, s3, v[4:5]
	v_mov_b32_e32 v6, 0
	s_or_b32 s4, s4, exec_lo
	s_delay_alu instid0(VALU_DEP_1) | instskip(NEXT) | instid1(VALU_DEP_1)
	v_lshlrev_b64 v[0:1], 3, v[5:6]
	v_add_co_u32 v2, vcc_lo, s0, v0
	s_delay_alu instid0(VALU_DEP_2) | instskip(NEXT) | instid1(VALU_DEP_2)
	v_add_co_ci_u32_e32 v3, vcc_lo, s1, v1, vcc_lo
	v_add_co_u32 v0, vcc_lo, v2, 4
	s_delay_alu instid0(VALU_DEP_2)
	v_add_co_ci_u32_e32 v1, vcc_lo, 0, v3, vcc_lo
	global_store_b32 v[2:3], v6, off
.LBB170_12:
	s_or_b32 exec_lo, exec_lo, s5
	s_delay_alu instid0(SALU_CYCLE_1)
	s_and_b32 s4, s4, exec_lo
                                        ; implicit-def: $vgpr2_vgpr3
	s_and_not1_saveexec_b32 s2, s2
	s_cbranch_execz .LBB170_3
.LBB170_13:
	v_mad_u64_u32 v[0:1], null, v2, s3, v[2:3]
	v_dual_mov_b32 v1, 0 :: v_dual_mov_b32 v4, 1.0
	s_or_b32 s4, s4, exec_lo
	s_delay_alu instid0(VALU_DEP_1) | instskip(NEXT) | instid1(VALU_DEP_1)
	v_lshlrev_b64 v[0:1], 3, v[0:1]
	v_add_co_u32 v2, vcc_lo, s0, v0
	s_delay_alu instid0(VALU_DEP_2) | instskip(NEXT) | instid1(VALU_DEP_2)
	v_add_co_ci_u32_e32 v3, vcc_lo, s1, v1, vcc_lo
	v_add_co_u32 v0, vcc_lo, v2, 4
	s_delay_alu instid0(VALU_DEP_2) | instskip(SKIP_2) | instid1(SALU_CYCLE_1)
	v_add_co_ci_u32_e32 v1, vcc_lo, 0, v3, vcc_lo
	global_store_b32 v[2:3], v4, off
	s_or_b32 exec_lo, exec_lo, s2
	s_and_b32 exec_lo, exec_lo, s4
	s_cbranch_execnz .LBB170_4
	s_branch .LBB170_5
	.section	.rodata,"a",@progbits
	.p2align	6, 0x0
	.amdhsa_kernel _ZN9rocsolver6v33100L16orgl2_init_identI19rocblas_complex_numIfEPS3_EEviiiT0_iil
		.amdhsa_group_segment_fixed_size 0
		.amdhsa_private_segment_fixed_size 0
		.amdhsa_kernarg_size 296
		.amdhsa_user_sgpr_count 13
		.amdhsa_user_sgpr_dispatch_ptr 0
		.amdhsa_user_sgpr_queue_ptr 0
		.amdhsa_user_sgpr_kernarg_segment_ptr 1
		.amdhsa_user_sgpr_dispatch_id 0
		.amdhsa_user_sgpr_private_segment_size 0
		.amdhsa_wavefront_size32 1
		.amdhsa_uses_dynamic_stack 0
		.amdhsa_enable_private_segment 0
		.amdhsa_system_sgpr_workgroup_id_x 1
		.amdhsa_system_sgpr_workgroup_id_y 1
		.amdhsa_system_sgpr_workgroup_id_z 1
		.amdhsa_system_sgpr_workgroup_info 0
		.amdhsa_system_vgpr_workitem_id 1
		.amdhsa_next_free_vgpr 7
		.amdhsa_next_free_sgpr 16
		.amdhsa_reserve_vcc 1
		.amdhsa_float_round_mode_32 0
		.amdhsa_float_round_mode_16_64 0
		.amdhsa_float_denorm_mode_32 3
		.amdhsa_float_denorm_mode_16_64 3
		.amdhsa_dx10_clamp 1
		.amdhsa_ieee_mode 1
		.amdhsa_fp16_overflow 0
		.amdhsa_workgroup_processor_mode 1
		.amdhsa_memory_ordered 1
		.amdhsa_forward_progress 0
		.amdhsa_shared_vgpr_count 0
		.amdhsa_exception_fp_ieee_invalid_op 0
		.amdhsa_exception_fp_denorm_src 0
		.amdhsa_exception_fp_ieee_div_zero 0
		.amdhsa_exception_fp_ieee_overflow 0
		.amdhsa_exception_fp_ieee_underflow 0
		.amdhsa_exception_fp_ieee_inexact 0
		.amdhsa_exception_int_div_zero 0
	.end_amdhsa_kernel
	.section	.text._ZN9rocsolver6v33100L16orgl2_init_identI19rocblas_complex_numIfEPS3_EEviiiT0_iil,"axG",@progbits,_ZN9rocsolver6v33100L16orgl2_init_identI19rocblas_complex_numIfEPS3_EEviiiT0_iil,comdat
.Lfunc_end170:
	.size	_ZN9rocsolver6v33100L16orgl2_init_identI19rocblas_complex_numIfEPS3_EEviiiT0_iil, .Lfunc_end170-_ZN9rocsolver6v33100L16orgl2_init_identI19rocblas_complex_numIfEPS3_EEviiiT0_iil
                                        ; -- End function
	.section	.AMDGPU.csdata,"",@progbits
; Kernel info:
; codeLenInByte = 556
; NumSgprs: 18
; NumVgprs: 7
; ScratchSize: 0
; MemoryBound: 0
; FloatMode: 240
; IeeeMode: 1
; LDSByteSize: 0 bytes/workgroup (compile time only)
; SGPRBlocks: 2
; VGPRBlocks: 0
; NumSGPRsForWavesPerEU: 18
; NumVGPRsForWavesPerEU: 7
; Occupancy: 16
; WaveLimiterHint : 0
; COMPUTE_PGM_RSRC2:SCRATCH_EN: 0
; COMPUTE_PGM_RSRC2:USER_SGPR: 13
; COMPUTE_PGM_RSRC2:TRAP_HANDLER: 0
; COMPUTE_PGM_RSRC2:TGID_X_EN: 1
; COMPUTE_PGM_RSRC2:TGID_Y_EN: 1
; COMPUTE_PGM_RSRC2:TGID_Z_EN: 1
; COMPUTE_PGM_RSRC2:TIDIG_COMP_CNT: 1
	.section	.text._ZN9rocsolver6v33100L6iota_nI19rocblas_complex_numIdEEEvPT_jS4_,"axG",@progbits,_ZN9rocsolver6v33100L6iota_nI19rocblas_complex_numIdEEEvPT_jS4_,comdat
	.globl	_ZN9rocsolver6v33100L6iota_nI19rocblas_complex_numIdEEEvPT_jS4_ ; -- Begin function _ZN9rocsolver6v33100L6iota_nI19rocblas_complex_numIdEEEvPT_jS4_
	.p2align	8
	.type	_ZN9rocsolver6v33100L6iota_nI19rocblas_complex_numIdEEEvPT_jS4_,@function
_ZN9rocsolver6v33100L6iota_nI19rocblas_complex_numIdEEEvPT_jS4_: ; @_ZN9rocsolver6v33100L6iota_nI19rocblas_complex_numIdEEEvPT_jS4_
; %bb.0:
	s_load_b32 s2, s[0:1], 0x8
	s_waitcnt lgkmcnt(0)
	v_cmp_gt_u32_e32 vcc_lo, s2, v0
	s_and_saveexec_b32 s2, vcc_lo
	s_cbranch_execz .LBB171_2
; %bb.1:
	v_cvt_f64_u32_e32 v[1:2], v0
	s_clause 0x1
	s_load_b128 s[4:7], s[0:1], 0x10
	s_load_b64 s[0:1], s[0:1], 0x0
	v_lshlrev_b32_e32 v0, 4, v0
	s_waitcnt lgkmcnt(0)
	v_add_f64 v[3:4], s[6:7], 0
	s_delay_alu instid0(VALU_DEP_3)
	v_add_f64 v[1:2], s[4:5], v[1:2]
	global_store_b128 v0, v[1:4], s[0:1]
.LBB171_2:
	s_nop 0
	s_sendmsg sendmsg(MSG_DEALLOC_VGPRS)
	s_endpgm
	.section	.rodata,"a",@progbits
	.p2align	6, 0x0
	.amdhsa_kernel _ZN9rocsolver6v33100L6iota_nI19rocblas_complex_numIdEEEvPT_jS4_
		.amdhsa_group_segment_fixed_size 0
		.amdhsa_private_segment_fixed_size 0
		.amdhsa_kernarg_size 32
		.amdhsa_user_sgpr_count 15
		.amdhsa_user_sgpr_dispatch_ptr 0
		.amdhsa_user_sgpr_queue_ptr 0
		.amdhsa_user_sgpr_kernarg_segment_ptr 1
		.amdhsa_user_sgpr_dispatch_id 0
		.amdhsa_user_sgpr_private_segment_size 0
		.amdhsa_wavefront_size32 1
		.amdhsa_uses_dynamic_stack 0
		.amdhsa_enable_private_segment 0
		.amdhsa_system_sgpr_workgroup_id_x 1
		.amdhsa_system_sgpr_workgroup_id_y 0
		.amdhsa_system_sgpr_workgroup_id_z 0
		.amdhsa_system_sgpr_workgroup_info 0
		.amdhsa_system_vgpr_workitem_id 0
		.amdhsa_next_free_vgpr 5
		.amdhsa_next_free_sgpr 8
		.amdhsa_reserve_vcc 1
		.amdhsa_float_round_mode_32 0
		.amdhsa_float_round_mode_16_64 0
		.amdhsa_float_denorm_mode_32 3
		.amdhsa_float_denorm_mode_16_64 3
		.amdhsa_dx10_clamp 1
		.amdhsa_ieee_mode 1
		.amdhsa_fp16_overflow 0
		.amdhsa_workgroup_processor_mode 1
		.amdhsa_memory_ordered 1
		.amdhsa_forward_progress 0
		.amdhsa_shared_vgpr_count 0
		.amdhsa_exception_fp_ieee_invalid_op 0
		.amdhsa_exception_fp_denorm_src 0
		.amdhsa_exception_fp_ieee_div_zero 0
		.amdhsa_exception_fp_ieee_overflow 0
		.amdhsa_exception_fp_ieee_underflow 0
		.amdhsa_exception_fp_ieee_inexact 0
		.amdhsa_exception_int_div_zero 0
	.end_amdhsa_kernel
	.section	.text._ZN9rocsolver6v33100L6iota_nI19rocblas_complex_numIdEEEvPT_jS4_,"axG",@progbits,_ZN9rocsolver6v33100L6iota_nI19rocblas_complex_numIdEEEvPT_jS4_,comdat
.Lfunc_end171:
	.size	_ZN9rocsolver6v33100L6iota_nI19rocblas_complex_numIdEEEvPT_jS4_, .Lfunc_end171-_ZN9rocsolver6v33100L6iota_nI19rocblas_complex_numIdEEEvPT_jS4_
                                        ; -- End function
	.section	.AMDGPU.csdata,"",@progbits
; Kernel info:
; codeLenInByte = 96
; NumSgprs: 10
; NumVgprs: 5
; ScratchSize: 0
; MemoryBound: 0
; FloatMode: 240
; IeeeMode: 1
; LDSByteSize: 0 bytes/workgroup (compile time only)
; SGPRBlocks: 1
; VGPRBlocks: 0
; NumSGPRsForWavesPerEU: 10
; NumVGPRsForWavesPerEU: 5
; Occupancy: 16
; WaveLimiterHint : 0
; COMPUTE_PGM_RSRC2:SCRATCH_EN: 0
; COMPUTE_PGM_RSRC2:USER_SGPR: 15
; COMPUTE_PGM_RSRC2:TRAP_HANDLER: 0
; COMPUTE_PGM_RSRC2:TGID_X_EN: 1
; COMPUTE_PGM_RSRC2:TGID_Y_EN: 0
; COMPUTE_PGM_RSRC2:TGID_Z_EN: 0
; COMPUTE_PGM_RSRC2:TIDIG_COMP_CNT: 0
	.section	.text._ZN9rocsolver6v33100L16syev_scalar_caseI19rocblas_complex_numIdEdPS3_TnNSt9enable_ifIX18rocblas_is_complexIT_EEiE4typeELi0EEEv14rocblas_evect_T1_lPT0_li,"axG",@progbits,_ZN9rocsolver6v33100L16syev_scalar_caseI19rocblas_complex_numIdEdPS3_TnNSt9enable_ifIX18rocblas_is_complexIT_EEiE4typeELi0EEEv14rocblas_evect_T1_lPT0_li,comdat
	.globl	_ZN9rocsolver6v33100L16syev_scalar_caseI19rocblas_complex_numIdEdPS3_TnNSt9enable_ifIX18rocblas_is_complexIT_EEiE4typeELi0EEEv14rocblas_evect_T1_lPT0_li ; -- Begin function _ZN9rocsolver6v33100L16syev_scalar_caseI19rocblas_complex_numIdEdPS3_TnNSt9enable_ifIX18rocblas_is_complexIT_EEiE4typeELi0EEEv14rocblas_evect_T1_lPT0_li
	.p2align	8
	.type	_ZN9rocsolver6v33100L16syev_scalar_caseI19rocblas_complex_numIdEdPS3_TnNSt9enable_ifIX18rocblas_is_complexIT_EEiE4typeELi0EEEv14rocblas_evect_T1_lPT0_li,@function
_ZN9rocsolver6v33100L16syev_scalar_caseI19rocblas_complex_numIdEdPS3_TnNSt9enable_ifIX18rocblas_is_complexIT_EEiE4typeELi0EEEv14rocblas_evect_T1_lPT0_li: ; @_ZN9rocsolver6v33100L16syev_scalar_caseI19rocblas_complex_numIdEdPS3_TnNSt9enable_ifIX18rocblas_is_complexIT_EEiE4typeELi0EEEv14rocblas_evect_T1_lPT0_li
; %bb.0:
	s_clause 0x1
	s_load_b32 s2, s[0:1], 0x3c
	s_load_b32 s3, s[0:1], 0x28
	s_waitcnt lgkmcnt(0)
	s_and_b32 s2, s2, 0xffff
	s_delay_alu instid0(SALU_CYCLE_1) | instskip(SKIP_1) | instid1(VALU_DEP_1)
	v_mad_u64_u32 v[1:2], null, s15, s2, v[0:1]
	s_mov_b32 s2, exec_lo
	v_cmpx_gt_i32_e64 s3, v1
	s_cbranch_execz .LBB172_3
; %bb.1:
	s_load_b256 s[4:11], s[0:1], 0x8
	v_ashrrev_i32_e32 v0, 31, v1
	s_load_b32 s0, s[0:1], 0x0
	s_waitcnt lgkmcnt(0)
	v_mul_lo_u32 v4, v1, s7
	s_delay_alu instid0(VALU_DEP_2)
	v_mul_lo_u32 v5, v0, s6
	v_mad_u64_u32 v[2:3], null, v1, s6, 0
	v_mul_lo_u32 v8, v1, s11
	v_mul_lo_u32 v0, v0, s10
	v_mad_u64_u32 v[6:7], null, v1, s10, 0
	s_cmpk_lg_i32 s0, 0xd3
	s_delay_alu instid0(VALU_DEP_4) | instskip(NEXT) | instid1(VALU_DEP_2)
	v_add3_u32 v3, v3, v4, v5
	v_add3_u32 v7, v7, v8, v0
	s_delay_alu instid0(VALU_DEP_2) | instskip(NEXT) | instid1(VALU_DEP_2)
	v_lshlrev_b64 v[2:3], 4, v[2:3]
	v_lshlrev_b64 v[0:1], 3, v[6:7]
	s_delay_alu instid0(VALU_DEP_2) | instskip(NEXT) | instid1(VALU_DEP_3)
	v_add_co_u32 v2, vcc_lo, s4, v2
	v_add_co_ci_u32_e32 v3, vcc_lo, s5, v3, vcc_lo
	s_delay_alu instid0(VALU_DEP_3) | instskip(NEXT) | instid1(VALU_DEP_4)
	v_add_co_u32 v0, vcc_lo, s8, v0
	v_add_co_ci_u32_e32 v1, vcc_lo, s9, v1, vcc_lo
	global_load_b64 v[4:5], v[2:3], off
	s_waitcnt vmcnt(0)
	global_store_b64 v[0:1], v[4:5], off
	s_cbranch_scc1 .LBB172_3
; %bb.2:
	v_dual_mov_b32 v4, 0 :: v_dual_mov_b32 v5, 0x3ff00000
	s_delay_alu instid0(VALU_DEP_1)
	v_mov_b32_e32 v6, v4
	v_mov_b32_e32 v7, v4
	global_store_b128 v[2:3], v[4:7], off
.LBB172_3:
	s_nop 0
	s_sendmsg sendmsg(MSG_DEALLOC_VGPRS)
	s_endpgm
	.section	.rodata,"a",@progbits
	.p2align	6, 0x0
	.amdhsa_kernel _ZN9rocsolver6v33100L16syev_scalar_caseI19rocblas_complex_numIdEdPS3_TnNSt9enable_ifIX18rocblas_is_complexIT_EEiE4typeELi0EEEv14rocblas_evect_T1_lPT0_li
		.amdhsa_group_segment_fixed_size 0
		.amdhsa_private_segment_fixed_size 0
		.amdhsa_kernarg_size 304
		.amdhsa_user_sgpr_count 15
		.amdhsa_user_sgpr_dispatch_ptr 0
		.amdhsa_user_sgpr_queue_ptr 0
		.amdhsa_user_sgpr_kernarg_segment_ptr 1
		.amdhsa_user_sgpr_dispatch_id 0
		.amdhsa_user_sgpr_private_segment_size 0
		.amdhsa_wavefront_size32 1
		.amdhsa_uses_dynamic_stack 0
		.amdhsa_enable_private_segment 0
		.amdhsa_system_sgpr_workgroup_id_x 1
		.amdhsa_system_sgpr_workgroup_id_y 0
		.amdhsa_system_sgpr_workgroup_id_z 0
		.amdhsa_system_sgpr_workgroup_info 0
		.amdhsa_system_vgpr_workitem_id 0
		.amdhsa_next_free_vgpr 9
		.amdhsa_next_free_sgpr 16
		.amdhsa_reserve_vcc 1
		.amdhsa_float_round_mode_32 0
		.amdhsa_float_round_mode_16_64 0
		.amdhsa_float_denorm_mode_32 3
		.amdhsa_float_denorm_mode_16_64 3
		.amdhsa_dx10_clamp 1
		.amdhsa_ieee_mode 1
		.amdhsa_fp16_overflow 0
		.amdhsa_workgroup_processor_mode 1
		.amdhsa_memory_ordered 1
		.amdhsa_forward_progress 0
		.amdhsa_shared_vgpr_count 0
		.amdhsa_exception_fp_ieee_invalid_op 0
		.amdhsa_exception_fp_denorm_src 0
		.amdhsa_exception_fp_ieee_div_zero 0
		.amdhsa_exception_fp_ieee_overflow 0
		.amdhsa_exception_fp_ieee_underflow 0
		.amdhsa_exception_fp_ieee_inexact 0
		.amdhsa_exception_int_div_zero 0
	.end_amdhsa_kernel
	.section	.text._ZN9rocsolver6v33100L16syev_scalar_caseI19rocblas_complex_numIdEdPS3_TnNSt9enable_ifIX18rocblas_is_complexIT_EEiE4typeELi0EEEv14rocblas_evect_T1_lPT0_li,"axG",@progbits,_ZN9rocsolver6v33100L16syev_scalar_caseI19rocblas_complex_numIdEdPS3_TnNSt9enable_ifIX18rocblas_is_complexIT_EEiE4typeELi0EEEv14rocblas_evect_T1_lPT0_li,comdat
.Lfunc_end172:
	.size	_ZN9rocsolver6v33100L16syev_scalar_caseI19rocblas_complex_numIdEdPS3_TnNSt9enable_ifIX18rocblas_is_complexIT_EEiE4typeELi0EEEv14rocblas_evect_T1_lPT0_li, .Lfunc_end172-_ZN9rocsolver6v33100L16syev_scalar_caseI19rocblas_complex_numIdEdPS3_TnNSt9enable_ifIX18rocblas_is_complexIT_EEiE4typeELi0EEEv14rocblas_evect_T1_lPT0_li
                                        ; -- End function
	.section	.AMDGPU.csdata,"",@progbits
; Kernel info:
; codeLenInByte = 280
; NumSgprs: 18
; NumVgprs: 9
; ScratchSize: 0
; MemoryBound: 0
; FloatMode: 240
; IeeeMode: 1
; LDSByteSize: 0 bytes/workgroup (compile time only)
; SGPRBlocks: 2
; VGPRBlocks: 1
; NumSGPRsForWavesPerEU: 18
; NumVGPRsForWavesPerEU: 9
; Occupancy: 16
; WaveLimiterHint : 0
; COMPUTE_PGM_RSRC2:SCRATCH_EN: 0
; COMPUTE_PGM_RSRC2:USER_SGPR: 15
; COMPUTE_PGM_RSRC2:TRAP_HANDLER: 0
; COMPUTE_PGM_RSRC2:TGID_X_EN: 1
; COMPUTE_PGM_RSRC2:TGID_Y_EN: 0
; COMPUTE_PGM_RSRC2:TGID_Z_EN: 0
; COMPUTE_PGM_RSRC2:TIDIG_COMP_CNT: 0
	.section	.text._ZN9rocsolver6v33100L24sytd2_lower_kernel_smallILi256E19rocblas_complex_numIdEidPS3_EEvT1_T3_lS5_lPT2_lS8_lPT0_l,"axG",@progbits,_ZN9rocsolver6v33100L24sytd2_lower_kernel_smallILi256E19rocblas_complex_numIdEidPS3_EEvT1_T3_lS5_lPT2_lS8_lPT0_l,comdat
	.globl	_ZN9rocsolver6v33100L24sytd2_lower_kernel_smallILi256E19rocblas_complex_numIdEidPS3_EEvT1_T3_lS5_lPT2_lS8_lPT0_l ; -- Begin function _ZN9rocsolver6v33100L24sytd2_lower_kernel_smallILi256E19rocblas_complex_numIdEidPS3_EEvT1_T3_lS5_lPT2_lS8_lPT0_l
	.p2align	8
	.type	_ZN9rocsolver6v33100L24sytd2_lower_kernel_smallILi256E19rocblas_complex_numIdEidPS3_EEvT1_T3_lS5_lPT2_lS8_lPT0_l,@function
_ZN9rocsolver6v33100L24sytd2_lower_kernel_smallILi256E19rocblas_complex_numIdEidPS3_EEvT1_T3_lS5_lPT2_lS8_lPT0_l: ; @_ZN9rocsolver6v33100L24sytd2_lower_kernel_smallILi256E19rocblas_complex_numIdEidPS3_EEvT1_T3_lS5_lPT2_lS8_lPT0_l
; %bb.0:
	s_clause 0x3
	s_load_b64 s[2:3], s[0:1], 0x20
	s_load_b32 s18, s[0:1], 0x0
	s_load_b128 s[4:7], s[0:1], 0x8
	s_load_b32 s21, s[0:1], 0x18
	s_ashr_i32 s13, s15, 31
	v_and_b32_e32 v5, 0x7f, v0
	v_lshrrev_b32_e32 v15, 7, v0
	s_delay_alu instid0(VALU_DEP_2)
	v_lshlrev_b32_e32 v16, 4, v5
	s_waitcnt lgkmcnt(0)
	s_mul_i32 s3, s15, s3
	s_mul_hi_u32 s8, s15, s2
	s_mul_i32 s9, s13, s2
	s_add_i32 s3, s8, s3
	s_mul_i32 s2, s15, s2
	s_add_i32 s3, s3, s9
	s_delay_alu instid0(SALU_CYCLE_1) | instskip(SKIP_4) | instid1(SALU_CYCLE_1)
	s_lshl_b64 s[8:9], s[2:3], 4
	v_cmp_gt_i32_e64 s2, s18, v5
	s_add_u32 s3, s4, s8
	s_addc_u32 s8, s5, s9
	s_lshl_b64 s[4:5], s[6:7], 4
	s_add_u32 s19, s3, s4
	s_addc_u32 s20, s8, s5
	s_and_saveexec_b32 s4, s2
	s_cbranch_execz .LBB173_6
; %bb.1:
	v_lshrrev_b32_e32 v4, 7, v0
	v_mov_b32_e32 v7, v5
	s_mov_b32 s5, 0
	s_lshl_b32 s6, s18, 5
	s_lshl_b32 s7, s21, 1
	v_mul_lo_u32 v1, s18, v4
	v_cmp_gt_u32_e32 vcc_lo, s18, v4
	s_delay_alu instid0(VALU_DEP_2) | instskip(SKIP_1) | instid1(VALU_DEP_2)
	v_lshl_add_u32 v3, v1, 4, v16
	v_mad_u64_u32 v[1:2], null, s21, v4, v[5:6]
	v_add3_u32 v6, v3, 0, 16
	s_set_inst_prefetch_distance 0x1
	s_branch .LBB173_3
	.p2align	6
.LBB173_2:                              ;   in Loop: Header=BB173_3 Depth=1
	s_or_b32 exec_lo, exec_lo, s8
	v_add_nc_u32_e32 v7, 0x80, v7
	v_add_nc_u32_e32 v6, 0x800, v6
	;; [unrolled: 1-line block ×3, first 2 shown]
	s_delay_alu instid0(VALU_DEP_3) | instskip(NEXT) | instid1(VALU_DEP_1)
	v_cmp_le_i32_e64 s3, s18, v7
	s_or_b32 s5, s3, s5
	s_delay_alu instid0(SALU_CYCLE_1)
	s_and_not1_b32 exec_lo, exec_lo, s5
	s_cbranch_execz .LBB173_6
.LBB173_3:                              ; =>This Loop Header: Depth=1
                                        ;     Child Loop BB173_5 Depth 2
	s_and_saveexec_b32 s8, vcc_lo
	s_cbranch_execz .LBB173_2
; %bb.4:                                ;   in Loop: Header=BB173_3 Depth=1
	s_delay_alu instid0(VALU_DEP_2)
	v_dual_mov_b32 v2, v1 :: v_dual_mov_b32 v9, v4
	v_mov_b32_e32 v8, v6
	s_mov_b32 s9, 0
	.p2align	6
.LBB173_5:                              ;   Parent Loop BB173_3 Depth=1
                                        ; =>  This Inner Loop Header: Depth=2
	s_delay_alu instid0(VALU_DEP_2) | instskip(NEXT) | instid1(VALU_DEP_3)
	v_ashrrev_i32_e32 v3, 31, v2
	v_add_nc_u32_e32 v9, 2, v9
	s_delay_alu instid0(VALU_DEP_2) | instskip(SKIP_1) | instid1(VALU_DEP_2)
	v_lshlrev_b64 v[10:11], 4, v[2:3]
	v_add_nc_u32_e32 v2, s7, v2
	v_add_co_u32 v10, s3, s19, v10
	s_delay_alu instid0(VALU_DEP_1)
	v_add_co_ci_u32_e64 v11, s3, s20, v11, s3
	v_cmp_le_i32_e64 s3, s18, v9
	global_load_b128 v[10:13], v[10:11], off
	s_or_b32 s9, s3, s9
	s_waitcnt vmcnt(0)
	ds_store_2addr_b64 v8, v[10:11], v[12:13] offset1:1
	v_add_nc_u32_e32 v8, s6, v8
	s_and_not1_b32 exec_lo, exec_lo, s9
	s_cbranch_execnz .LBB173_5
	s_branch .LBB173_2
.LBB173_6:
	s_set_inst_prefetch_distance 0x2
	s_or_b32 exec_lo, exec_lo, s4
	s_waitcnt lgkmcnt(0)
	s_barrier
	buffer_gl0_inv
	s_and_saveexec_b32 s4, s2
	s_cbranch_execz .LBB173_16
; %bb.7:
	v_lshrrev_b32_e32 v3, 7, v0
	v_mul_lo_u32 v1, s18, v5
	v_mov_b32_e32 v7, v5
	s_mov_b32 s5, 0
	s_lshl_b32 s6, s18, 11
	v_mul_lo_u32 v2, s18, v3
	v_lshlrev_b32_e32 v4, 4, v3
	v_cmp_gt_u32_e32 vcc_lo, s18, v3
	s_lshl_b32 s7, s18, 5
	s_delay_alu instid0(VALU_DEP_2) | instskip(SKIP_2) | instid1(VALU_DEP_3)
	v_lshl_add_u32 v4, v1, 4, v4
	v_mov_b32_e32 v1, 0
	v_lshl_add_u32 v2, v2, 4, v16
	v_add3_u32 v4, v4, 0, 16
	s_delay_alu instid0(VALU_DEP_2)
	v_add3_u32 v6, v2, 0, 16
	s_branch .LBB173_9
.LBB173_8:                              ;   in Loop: Header=BB173_9 Depth=1
	s_set_inst_prefetch_distance 0x2
	s_or_b32 exec_lo, exec_lo, s8
	v_add_nc_u32_e32 v7, 0x80, v7
	v_add_nc_u32_e32 v4, s6, v4
	v_add_nc_u32_e32 v6, 0x800, v6
	s_delay_alu instid0(VALU_DEP_3) | instskip(NEXT) | instid1(VALU_DEP_1)
	v_cmp_le_i32_e64 s3, s18, v7
	s_or_b32 s5, s3, s5
	s_delay_alu instid0(SALU_CYCLE_1)
	s_and_not1_b32 exec_lo, exec_lo, s5
	s_cbranch_execz .LBB173_16
.LBB173_9:                              ; =>This Loop Header: Depth=1
                                        ;     Child Loop BB173_12 Depth 2
	s_and_saveexec_b32 s8, vcc_lo
	s_cbranch_execz .LBB173_8
; %bb.10:                               ;   in Loop: Header=BB173_9 Depth=1
	v_mul_lo_u32 v2, v7, s18
	v_lshl_add_u32 v10, v7, 4, 0
	v_dual_mov_b32 v8, v6 :: v_dual_mov_b32 v11, v3
	s_mov_b32 s9, 0
	s_delay_alu instid0(VALU_DEP_3) | instskip(NEXT) | instid1(VALU_DEP_1)
	v_dual_mov_b32 v9, v4 :: v_dual_lshlrev_b32 v2, 4, v2
	v_add3_u32 v10, v10, v2, 8
	s_set_inst_prefetch_distance 0x1
	s_branch .LBB173_12
	.p2align	6
.LBB173_11:                             ;   in Loop: Header=BB173_12 Depth=2
	s_or_b32 exec_lo, exec_lo, s10
	v_add_nc_u32_e32 v11, 2, v11
	v_add_nc_u32_e32 v9, 32, v9
	;; [unrolled: 1-line block ×3, first 2 shown]
	s_delay_alu instid0(VALU_DEP_3) | instskip(NEXT) | instid1(VALU_DEP_1)
	v_cmp_le_i32_e64 s3, s18, v11
	s_or_b32 s9, s3, s9
	s_delay_alu instid0(SALU_CYCLE_1)
	s_and_not1_b32 exec_lo, exec_lo, s9
	s_cbranch_execz .LBB173_8
.LBB173_12:                             ;   Parent Loop BB173_9 Depth=1
                                        ; =>  This Inner Loop Header: Depth=2
	s_mov_b32 s10, exec_lo
	v_cmpx_eq_u32_e64 v7, v11
	s_cbranch_execz .LBB173_14
; %bb.13:                               ;   in Loop: Header=BB173_12 Depth=2
	v_mov_b32_e32 v2, v1
	ds_store_b64 v10, v[1:2] offset:16
.LBB173_14:                             ;   in Loop: Header=BB173_12 Depth=2
	s_or_b32 exec_lo, exec_lo, s10
	s_delay_alu instid0(SALU_CYCLE_1)
	s_mov_b32 s10, exec_lo
	v_cmpx_lt_u32_e64 v7, v11
	s_cbranch_execz .LBB173_11
; %bb.15:                               ;   in Loop: Header=BB173_12 Depth=2
	ds_load_2addr_b64 v[17:20], v9 offset1:1
	s_waitcnt lgkmcnt(0)
	v_xor_b32_e32 v20, 0x80000000, v20
	ds_store_2addr_b64 v8, v[17:18], v[19:20] offset1:1
	s_branch .LBB173_11
.LBB173_16:
	s_or_b32 exec_lo, exec_lo, s4
	s_cmp_lt_i32 s18, 2
	s_waitcnt lgkmcnt(0)
	s_barrier
	buffer_gl0_inv
	s_cbranch_scc1 .LBB173_67
; %bb.17:
	s_load_b256 s[4:11], s[0:1], 0x38
	v_mbcnt_lo_u32_b32 v1, -1, 0
	s_mul_i32 s3, s18, s18
	s_mov_b32 s12, 0
	s_delay_alu instid0(VALU_DEP_1) | instskip(SKIP_2) | instid1(VALU_DEP_2)
	v_cmp_ne_u32_e32 vcc_lo, 31, v1
	v_add_co_ci_u32_e32 v2, vcc_lo, 0, v1, vcc_lo
	v_cmp_gt_u32_e32 vcc_lo, 30, v1
	v_lshlrev_b32_e32 v17, 2, v2
	v_cndmask_b32_e64 v3, 0, 1, vcc_lo
	v_cmp_gt_u32_e32 vcc_lo, 28, v1
	s_waitcnt lgkmcnt(0)
	s_mul_i32 s1, s15, s7
	s_mul_hi_u32 s7, s15, s6
	s_mul_i32 s14, s13, s6
	s_add_i32 s1, s7, s1
	v_cndmask_b32_e64 v4, 0, 1, vcc_lo
	v_cmp_gt_u32_e32 vcc_lo, 24, v1
	s_mul_i32 s0, s15, s6
	s_add_i32 s1, s1, s14
	s_mul_i32 s6, s15, s11
	s_lshl_b64 s[0:1], s[0:1], 3
	s_mul_hi_u32 s7, s15, s10
	v_cndmask_b32_e64 v6, 0, 1, vcc_lo
	v_cmp_gt_u32_e32 vcc_lo, 16, v1
	s_add_u32 s22, s4, s0
	s_mul_i32 s11, s13, s10
	s_addc_u32 s23, s5, s1
	s_add_i32 s1, s7, s6
	s_mul_i32 s0, s15, s10
	s_add_i32 s1, s1, s11
	v_cndmask_b32_e64 v7, 0, 1, vcc_lo
	s_lshl_b64 s[0:1], s[0:1], 4
	v_lshlrev_b32_e32 v2, 1, v3
	s_add_u32 s24, s8, s0
	s_addc_u32 s25, s9, s1
	s_lshl_b32 s0, s3, 4
	v_lshlrev_b32_e32 v3, 2, v4
	s_lshl_b32 s26, s18, 4
	s_add_i32 s1, s0, 0
	v_lshlrev_b32_e32 v4, 3, v6
	v_lshlrev_b32_e32 v6, 4, v7
	s_add_i32 s34, s1, s26
	s_add_i32 s27, s1, 16
	;; [unrolled: 1-line block ×3, first 2 shown]
	v_add_lshl_u32 v18, v2, v1, 2
	v_and_b32_e32 v2, 31, v0
	v_add_lshl_u32 v19, v3, v1, 2
	v_add_lshl_u32 v20, v4, v1, 2
	;; [unrolled: 1-line block ×3, first 2 shown]
	v_dual_mov_b32 v6, 0 :: v_dual_lshlrev_b32 v1, 4, v0
	s_cmp_eq_u64 s[4:5], 0
	v_cmp_eq_u32_e64 s0, 0, v2
	s_cselect_b32 s29, -1, 0
	s_cmp_lg_u64 s[4:5], 0
	v_lshrrev_b32_e32 v2, 1, v0
	s_cselect_b32 s30, -1, 0
	s_add_i32 s31, s26, 16
	v_add_nc_u32_e32 v3, s1, v1
	v_add_nc_u32_e32 v4, 32, v1
	s_mul_i32 s3, s18, s31
	v_cmp_eq_u32_e64 s1, 0, v0
	s_add_i32 s3, s3, 0
	v_add_nc_u32_e32 v22, 16, v3
	v_add_nc_u32_e32 v23, 0, v4
	;; [unrolled: 1-line block ×3, first 2 shown]
	v_add3_u32 v25, 0, s26, v4
	v_add3_u32 v26, s3, v1, 16
	v_add_nc_u32_e32 v27, s28, v2
	s_add_i32 s33, s18, -2
	s_add_i32 s34, s34, 16
	s_mov_b32 s8, 0
	s_branch .LBB173_19
.LBB173_18:                             ;   in Loop: Header=BB173_19 Depth=1
	s_or_b32 exec_lo, exec_lo, s4
	v_add_nc_u32_e32 v23, s31, v23
	v_add_nc_u32_e32 v25, s31, v25
	s_add_i32 s3, s8, 1
	s_cmp_eq_u32 s8, s33
	s_mov_b32 s8, s3
	s_waitcnt lgkmcnt(0)
	s_barrier
	buffer_gl0_inv
	s_cbranch_scc1 .LBB173_67
.LBB173_19:                             ; =>This Loop Header: Depth=1
                                        ;     Child Loop BB173_21 Depth 2
                                        ;     Child Loop BB173_24 Depth 2
                                        ;     Child Loop BB173_43 Depth 2
                                        ;     Child Loop BB173_46 Depth 2
                                        ;       Child Loop BB173_47 Depth 3
                                        ;     Child Loop BB173_50 Depth 2
                                        ;     Child Loop BB173_53 Depth 2
	;; [unrolled: 1-line block ×4, first 2 shown]
                                        ;       Child Loop BB173_65 Depth 3
	s_not_b32 s35, s8
	s_delay_alu instid0(SALU_CYCLE_1) | instskip(NEXT) | instid1(SALU_CYCLE_1)
	s_add_i32 s35, s35, s18
	v_cmp_gt_i32_e64 s3, s35, v0
	s_delay_alu instid0(VALU_DEP_1)
	s_and_saveexec_b32 s4, s3
	s_cbranch_execz .LBB173_22
; %bb.20:                               ;   in Loop: Header=BB173_19 Depth=1
	v_dual_mov_b32 v1, v23 :: v_dual_mov_b32 v2, v22
	v_mov_b32_e32 v3, v0
	s_mov_b32 s5, 0
.LBB173_21:                             ;   Parent Loop BB173_19 Depth=1
                                        ; =>  This Inner Loop Header: Depth=2
	ds_load_2addr_b64 v[7:10], v1 offset1:1
	v_add_nc_u32_e32 v3, 0x100, v3
	v_add_nc_u32_e32 v1, 0x1000, v1
	s_delay_alu instid0(VALU_DEP_2)
	v_cmp_le_i32_e32 vcc_lo, s35, v3
	s_or_b32 s5, vcc_lo, s5
	s_waitcnt lgkmcnt(0)
	ds_store_2addr_b64 v2, v[7:8], v[9:10] offset1:1
	v_add_nc_u32_e32 v2, 0x1000, v2
	s_and_not1_b32 exec_lo, exec_lo, s5
	s_cbranch_execnz .LBB173_21
.LBB173_22:                             ;   in Loop: Header=BB173_19 Depth=1
	s_or_b32 exec_lo, exec_lo, s4
	v_mov_b32_e32 v1, 0
	v_mov_b32_e32 v2, 0
	s_add_i32 s36, s35, -1
	s_waitcnt lgkmcnt(0)
	v_cmp_gt_i32_e64 s4, s36, v0
	s_barrier
	v_dual_mov_b32 v4, v2 :: v_dual_mov_b32 v3, v1
	buffer_gl0_inv
	s_and_saveexec_b32 s5, s4
	s_cbranch_execz .LBB173_26
; %bb.23:                               ;   in Loop: Header=BB173_19 Depth=1
	v_dual_mov_b32 v1, 0 :: v_dual_mov_b32 v8, v0
	v_dual_mov_b32 v2, 0 :: v_dual_mov_b32 v7, v24
	s_mov_b32 s6, 0
	s_delay_alu instid0(VALU_DEP_1)
	v_dual_mov_b32 v4, v2 :: v_dual_mov_b32 v3, v1
	.p2align	6
.LBB173_24:                             ;   Parent Loop BB173_19 Depth=1
                                        ; =>  This Inner Loop Header: Depth=2
	ds_load_2addr_b64 v[9:12], v7 offset1:1
	v_add_nc_u32_e32 v8, 0x100, v8
	v_add_nc_u32_e32 v7, 0x1000, v7
	s_delay_alu instid0(VALU_DEP_2) | instskip(SKIP_4) | instid1(VALU_DEP_2)
	v_cmp_le_i32_e32 vcc_lo, s36, v8
	s_or_b32 s6, vcc_lo, s6
	s_waitcnt lgkmcnt(0)
	v_mul_f64 v[13:14], v[11:12], v[11:12]
	v_mul_f64 v[28:29], v[9:10], v[11:12]
	v_fma_f64 v[13:14], v[9:10], v[9:10], v[13:14]
	s_delay_alu instid0(VALU_DEP_2) | instskip(NEXT) | instid1(VALU_DEP_2)
	v_fma_f64 v[9:10], v[9:10], v[11:12], -v[28:29]
	v_add_f64 v[3:4], v[3:4], v[13:14]
	s_delay_alu instid0(VALU_DEP_2)
	v_add_f64 v[1:2], v[1:2], v[9:10]
	s_and_not1_b32 exec_lo, exec_lo, s6
	s_cbranch_execnz .LBB173_24
; %bb.25:                               ;   in Loop: Header=BB173_19 Depth=1
	s_or_b32 exec_lo, exec_lo, s6
.LBB173_26:                             ;   in Loop: Header=BB173_19 Depth=1
	s_delay_alu instid0(SALU_CYCLE_1)
	s_or_b32 exec_lo, exec_lo, s5
	ds_bpermute_b32 v7, v17, v3
	ds_bpermute_b32 v8, v17, v4
	s_waitcnt lgkmcnt(0)
	v_add_f64 v[3:4], v[3:4], v[7:8]
	ds_bpermute_b32 v7, v17, v1
	ds_bpermute_b32 v8, v17, v2
	s_waitcnt lgkmcnt(0)
	v_add_f64 v[1:2], v[1:2], v[7:8]
	ds_bpermute_b32 v7, v18, v3
	ds_bpermute_b32 v8, v18, v4
	s_waitcnt lgkmcnt(0)
	v_add_f64 v[3:4], v[3:4], v[7:8]
	ds_bpermute_b32 v7, v18, v1
	ds_bpermute_b32 v8, v18, v2
	s_waitcnt lgkmcnt(0)
	v_add_f64 v[1:2], v[1:2], v[7:8]
	ds_bpermute_b32 v7, v19, v3
	ds_bpermute_b32 v8, v19, v4
	s_waitcnt lgkmcnt(0)
	v_add_f64 v[3:4], v[3:4], v[7:8]
	ds_bpermute_b32 v7, v19, v1
	ds_bpermute_b32 v8, v19, v2
	s_waitcnt lgkmcnt(0)
	v_add_f64 v[1:2], v[1:2], v[7:8]
	ds_bpermute_b32 v7, v20, v3
	ds_bpermute_b32 v8, v20, v4
	s_waitcnt lgkmcnt(0)
	v_add_f64 v[7:8], v[3:4], v[7:8]
	ds_bpermute_b32 v3, v20, v1
	ds_bpermute_b32 v4, v20, v2
	s_waitcnt lgkmcnt(0)
	v_add_f64 v[3:4], v[1:2], v[3:4]
	ds_bpermute_b32 v1, v21, v7
	ds_bpermute_b32 v2, v21, v8
	s_waitcnt lgkmcnt(0)
	v_add_f64 v[1:2], v[7:8], v[1:2]
	ds_bpermute_b32 v7, v21, v3
	ds_bpermute_b32 v8, v21, v4
	s_and_saveexec_b32 s5, s0
	s_cbranch_execz .LBB173_28
; %bb.27:                               ;   in Loop: Header=BB173_19 Depth=1
	s_waitcnt lgkmcnt(0)
	v_add_f64 v[3:4], v[3:4], v[7:8]
	ds_store_2addr_b64 v27, v[1:2], v[3:4] offset0:2 offset1:3
.LBB173_28:                             ;   in Loop: Header=BB173_19 Depth=1
	s_or_b32 exec_lo, exec_lo, s5
	s_waitcnt lgkmcnt(0)
	s_barrier
	buffer_gl0_inv
	s_and_saveexec_b32 s37, s1
	s_cbranch_execz .LBB173_41
; %bb.29:                               ;   in Loop: Header=BB173_19 Depth=1
	v_mov_b32_e32 v11, s28
	s_mov_b32 s9, 0
	s_mov_b32 s5, exec_lo
	s_mov_b32 s13, s9
                                        ; implicit-def: $sgpr10_sgpr11
                                        ; implicit-def: $sgpr14_sgpr15
                                        ; implicit-def: $sgpr6_sgpr7
                                        ; implicit-def: $sgpr16_sgpr17
	ds_load_2addr_b64 v[7:10], v11 offset0:4 offset1:6
	s_waitcnt lgkmcnt(0)
	v_add_f64 v[1:2], v[1:2], v[7:8]
	s_delay_alu instid0(VALU_DEP_1) | instskip(SKIP_3) | instid1(VALU_DEP_1)
	v_add_f64 v[7:8], v[1:2], v[9:10]
	ds_load_2addr_b64 v[1:4], v11 offset0:8 offset1:10
	s_waitcnt lgkmcnt(0)
	v_add_f64 v[1:2], v[7:8], v[1:2]
	v_add_f64 v[7:8], v[1:2], v[3:4]
	ds_load_2addr_b64 v[1:4], v11 offset0:12 offset1:14
	s_waitcnt lgkmcnt(0)
	v_add_f64 v[1:2], v[7:8], v[1:2]
	v_mov_b32_e32 v7, s27
	s_delay_alu instid0(VALU_DEP_2)
	v_add_f64 v[1:2], v[1:2], v[3:4]
	ds_load_b64 v[3:4], v11 offset:128
	ds_load_b64 v[7:8], v7 offset:8
	s_waitcnt lgkmcnt(0)
	v_mul_f64 v[11:12], v[7:8], v[7:8]
	v_add_f64 v[13:14], v[1:2], v[3:4]
	s_delay_alu instid0(VALU_DEP_1) | instskip(NEXT) | instid1(VALU_DEP_1)
	v_max_f64 v[1:2], v[13:14], v[11:12]
	v_cmpx_nlt_f64_e32 0, v[1:2]
	s_xor_b32 s5, exec_lo, s5
                                        ; implicit-def: $vgpr1_vgpr2_vgpr3_vgpr4
	s_cbranch_execz .LBB173_34
; %bb.30:                               ;   in Loop: Header=BB173_19 Depth=1
	s_mov_b32 s13, s12
	s_mov_b32 s6, s12
	s_mov_b32 s7, s12
	v_dual_mov_b32 v1, s12 :: v_dual_mov_b32 v2, s13
	v_dual_mov_b32 v3, s6 :: v_dual_mov_b32 v4, s7
	s_and_b32 vcc_lo, exec_lo, s30
	ds_store_2addr_b64 v6, v[1:2], v[3:4] offset1:1
	s_cbranch_vccz .LBB173_32
; %bb.31:                               ;   in Loop: Header=BB173_19 Depth=1
	v_mov_b32_e32 v1, s27
	s_mov_b32 s13, -1
	s_mov_b64 s[16:17], 1.0
	s_mov_b64 s[6:7], 0
	ds_load_b64 v[1:2], v1
	s_branch .LBB173_33
.LBB173_32:                             ;   in Loop: Header=BB173_19 Depth=1
	s_mov_b32 s13, 0
                                        ; implicit-def: $sgpr6_sgpr7
                                        ; implicit-def: $sgpr16_sgpr17
                                        ; implicit-def: $vgpr1_vgpr2_vgpr3_vgpr4
.LBB173_33:                             ;   in Loop: Header=BB173_19 Depth=1
	s_mov_b64 s[14:15], 1.0
	s_mov_b64 s[10:11], 0
	s_and_b32 s13, s13, exec_lo
                                        ; implicit-def: $vgpr11_vgpr12
                                        ; implicit-def: $vgpr13_vgpr14
                                        ; implicit-def: $vgpr7_vgpr8
.LBB173_34:                             ;   in Loop: Header=BB173_19 Depth=1
	s_or_saveexec_b32 s38, s5
	v_dual_mov_b32 v10, s7 :: v_dual_mov_b32 v9, s6
	v_dual_mov_b32 v3, s16 :: v_dual_mov_b32 v4, s17
	s_mov_b32 s5, 0
	s_xor_b32 exec_lo, exec_lo, s38
	s_cbranch_execz .LBB173_36
; %bb.35:                               ;   in Loop: Header=BB173_19 Depth=1
	s_waitcnt lgkmcnt(0)
	v_mov_b32_e32 v1, s27
	ds_load_b64 v[3:4], v1
	s_waitcnt lgkmcnt(0)
	v_fma_f64 v[1:2], v[3:4], v[3:4], v[11:12]
	s_delay_alu instid0(VALU_DEP_1) | instskip(NEXT) | instid1(VALU_DEP_1)
	v_add_f64 v[1:2], v[13:14], v[1:2]
	v_cmp_gt_f64_e32 vcc_lo, 0x10000000, v[1:2]
	v_cndmask_b32_e64 v9, 0, 1, vcc_lo
	s_delay_alu instid0(VALU_DEP_1) | instskip(NEXT) | instid1(VALU_DEP_1)
	v_lshlrev_b32_e32 v9, 8, v9
	v_ldexp_f64 v[1:2], v[1:2], v9
	s_delay_alu instid0(VALU_DEP_1) | instskip(SKIP_3) | instid1(VALU_DEP_1)
	v_rsq_f64_e32 v[9:10], v[1:2]
	s_waitcnt_depctr 0xfff
	v_mul_f64 v[13:14], v[1:2], v[9:10]
	v_mul_f64 v[9:10], v[9:10], 0.5
	v_fma_f64 v[28:29], -v[9:10], v[13:14], 0.5
	s_delay_alu instid0(VALU_DEP_1) | instskip(SKIP_1) | instid1(VALU_DEP_2)
	v_fma_f64 v[13:14], v[13:14], v[28:29], v[13:14]
	v_fma_f64 v[9:10], v[9:10], v[28:29], v[9:10]
	v_fma_f64 v[28:29], -v[13:14], v[13:14], v[1:2]
	s_delay_alu instid0(VALU_DEP_1) | instskip(NEXT) | instid1(VALU_DEP_1)
	v_fma_f64 v[13:14], v[28:29], v[9:10], v[13:14]
	v_fma_f64 v[28:29], -v[13:14], v[13:14], v[1:2]
	s_delay_alu instid0(VALU_DEP_1) | instskip(SKIP_2) | instid1(VALU_DEP_2)
	v_fma_f64 v[9:10], v[28:29], v[9:10], v[13:14]
	v_cndmask_b32_e64 v13, 0, 0xffffff80, vcc_lo
	v_cmp_class_f64_e64 vcc_lo, v[1:2], 0x260
	v_ldexp_f64 v[9:10], v[9:10], v13
	s_delay_alu instid0(VALU_DEP_1) | instskip(SKIP_1) | instid1(VALU_DEP_2)
	v_dual_cndmask_b32 v2, v10, v2 :: v_dual_cndmask_b32 v1, v9, v1
	v_cmp_le_f64_e32 vcc_lo, 0, v[3:4]
	v_xor_b32_e32 v9, 0x80000000, v2
	s_delay_alu instid0(VALU_DEP_1) | instskip(NEXT) | instid1(VALU_DEP_1)
	v_cndmask_b32_e32 v2, v2, v9, vcc_lo
	v_add_f64 v[9:10], v[3:4], -v[1:2]
	v_add_f64 v[13:14], v[1:2], -v[3:4]
	v_div_scale_f64 v[32:33], null, v[1:2], v[1:2], -v[7:8]
	s_delay_alu instid0(VALU_DEP_3) | instskip(NEXT) | instid1(VALU_DEP_3)
	v_fma_f64 v[11:12], v[9:10], v[9:10], v[11:12]
	v_div_scale_f64 v[30:31], null, v[1:2], v[1:2], v[13:14]
	s_delay_alu instid0(VALU_DEP_3) | instskip(NEXT) | instid1(VALU_DEP_2)
	v_rcp_f64_e32 v[40:41], v[32:33]
	v_div_scale_f64 v[3:4], null, v[11:12], v[11:12], v[9:10]
	v_div_scale_f64 v[28:29], null, v[11:12], v[11:12], -v[7:8]
	s_delay_alu instid0(VALU_DEP_3)
	v_rcp_f64_e32 v[38:39], v[30:31]
	s_waitcnt_depctr 0xfff
	v_fma_f64 v[48:49], -v[32:33], v[40:41], 1.0
	v_div_scale_f64 v[50:51], vcc_lo, v[9:10], v[11:12], v[9:10]
	v_rcp_f64_e32 v[34:35], v[3:4]
	v_rcp_f64_e32 v[36:37], v[28:29]
	s_delay_alu instid0(VALU_DEP_2)
	v_fma_f64 v[40:41], v[40:41], v[48:49], v[40:41]
	v_fma_f64 v[46:47], -v[30:31], v[38:39], 1.0
	s_waitcnt_depctr 0xfff
	v_fma_f64 v[42:43], -v[3:4], v[34:35], 1.0
	v_fma_f64 v[44:45], -v[28:29], v[36:37], 1.0
	;; [unrolled: 1-line block ×3, first 2 shown]
	v_fma_f64 v[38:39], v[38:39], v[46:47], v[38:39]
	s_delay_alu instid0(VALU_DEP_4) | instskip(NEXT) | instid1(VALU_DEP_4)
	v_fma_f64 v[34:35], v[34:35], v[42:43], v[34:35]
	v_fma_f64 v[36:37], v[36:37], v[44:45], v[36:37]
	s_delay_alu instid0(VALU_DEP_4) | instskip(NEXT) | instid1(VALU_DEP_4)
	v_fma_f64 v[40:41], v[40:41], v[48:49], v[40:41]
	v_fma_f64 v[46:47], -v[30:31], v[38:39], 1.0
	s_delay_alu instid0(VALU_DEP_4) | instskip(NEXT) | instid1(VALU_DEP_4)
	v_fma_f64 v[42:43], -v[3:4], v[34:35], 1.0
	v_fma_f64 v[44:45], -v[28:29], v[36:37], 1.0
	s_delay_alu instid0(VALU_DEP_3) | instskip(SKIP_1) | instid1(VALU_DEP_4)
	v_fma_f64 v[38:39], v[38:39], v[46:47], v[38:39]
	v_div_scale_f64 v[46:47], s7, -v[7:8], v[1:2], -v[7:8]
	v_fma_f64 v[34:35], v[34:35], v[42:43], v[34:35]
	v_div_scale_f64 v[42:43], s5, -v[7:8], v[11:12], -v[7:8]
	v_fma_f64 v[36:37], v[36:37], v[44:45], v[36:37]
	v_div_scale_f64 v[44:45], s6, v[13:14], v[1:2], v[13:14]
	v_mul_f64 v[56:57], v[46:47], v[40:41]
	v_mul_f64 v[48:49], v[50:51], v[34:35]
	s_delay_alu instid0(VALU_DEP_4) | instskip(NEXT) | instid1(VALU_DEP_4)
	v_mul_f64 v[52:53], v[42:43], v[36:37]
	v_mul_f64 v[54:55], v[44:45], v[38:39]
	s_delay_alu instid0(VALU_DEP_4) | instskip(NEXT) | instid1(VALU_DEP_4)
	v_fma_f64 v[32:33], -v[32:33], v[56:57], v[46:47]
	v_fma_f64 v[3:4], -v[3:4], v[48:49], v[50:51]
	s_delay_alu instid0(VALU_DEP_4) | instskip(NEXT) | instid1(VALU_DEP_4)
	v_fma_f64 v[28:29], -v[28:29], v[52:53], v[42:43]
	v_fma_f64 v[30:31], -v[30:31], v[54:55], v[44:45]
	s_delay_alu instid0(VALU_DEP_3) | instskip(SKIP_2) | instid1(VALU_DEP_3)
	v_div_fmas_f64 v[3:4], v[3:4], v[34:35], v[48:49]
	s_mov_b32 vcc_lo, s5
	s_and_b32 s5, s29, exec_lo
	v_div_fmas_f64 v[28:29], v[28:29], v[36:37], v[52:53]
	s_mov_b32 vcc_lo, s6
	s_and_not1_b32 s6, s13, exec_lo
	s_delay_alu instid0(VALU_DEP_3) | instskip(SKIP_4) | instid1(VALU_DEP_4)
	v_div_fmas_f64 v[30:31], v[30:31], v[38:39], v[54:55]
	s_mov_b32 vcc_lo, s7
	s_and_b32 s7, s30, exec_lo
	v_div_fmas_f64 v[32:33], v[32:33], v[40:41], v[56:57]
	s_or_b32 s13, s6, s7
	v_div_fixup_f64 v[3:4], v[3:4], v[11:12], v[9:10]
	s_delay_alu instid0(VALU_DEP_4) | instskip(NEXT) | instid1(VALU_DEP_4)
	v_div_fixup_f64 v[9:10], v[28:29], v[11:12], -v[7:8]
	v_div_fixup_f64 v[13:14], v[30:31], v[1:2], v[13:14]
	s_delay_alu instid0(VALU_DEP_4)
	v_div_fixup_f64 v[30:31], v[32:33], v[1:2], -v[7:8]
	ds_store_2addr_b64 v6, v[13:14], v[30:31] offset1:1
.LBB173_36:                             ;   in Loop: Header=BB173_19 Depth=1
	s_or_b32 exec_lo, exec_lo, s38
	s_and_saveexec_b32 s6, s13
	s_cbranch_execz .LBB173_38
; %bb.37:                               ;   in Loop: Header=BB173_19 Depth=1
	s_lshl_b64 s[16:17], s[8:9], 3
	s_delay_alu instid0(SALU_CYCLE_1)
	s_add_u32 s16, s22, s16
	s_addc_u32 s17, s23, s17
	s_or_b32 s5, s5, exec_lo
	s_waitcnt lgkmcnt(0)
	global_store_b64 v6, v[1:2], s[16:17]
	v_mov_b32_e32 v1, 0
	v_mov_b32_e32 v2, 0x3ff00000
.LBB173_38:                             ;   in Loop: Header=BB173_19 Depth=1
	s_or_b32 exec_lo, exec_lo, s6
	v_dual_mov_b32 v11, s14 :: v_dual_mov_b32 v12, s15
	v_dual_mov_b32 v14, s11 :: v_dual_mov_b32 v13, s10
	s_and_saveexec_b32 s6, s5
	s_cbranch_execz .LBB173_40
; %bb.39:                               ;   in Loop: Header=BB173_19 Depth=1
	v_dual_mov_b32 v7, v6 :: v_dual_mov_b32 v8, s27
	v_dual_mov_b32 v12, v4 :: v_dual_mov_b32 v11, v3
	;; [unrolled: 1-line block ×3, first 2 shown]
	s_waitcnt lgkmcnt(0)
	ds_store_2addr_b64 v8, v[1:2], v[6:7] offset1:1
.LBB173_40:                             ;   in Loop: Header=BB173_19 Depth=1
	s_or_b32 exec_lo, exec_lo, s6
	s_waitcnt lgkmcnt(0)
	ds_load_2addr_b64 v[1:4], v6 offset1:1
	s_lshl_b64 s[6:7], s[8:9], 4
	v_mov_b32_e32 v7, s28
	s_add_u32 s6, s24, s6
	s_addc_u32 s7, s25, s7
	ds_store_2addr_b64 v7, v[11:12], v[13:14] offset0:2 offset1:3
	s_waitcnt lgkmcnt(1)
	global_store_b128 v6, v[1:4], s[6:7]
.LBB173_41:                             ;   in Loop: Header=BB173_19 Depth=1
	s_or_b32 exec_lo, exec_lo, s37
	s_waitcnt lgkmcnt(0)
	s_waitcnt_vscnt null, 0x0
	s_barrier
	buffer_gl0_inv
	s_and_saveexec_b32 s5, s4
	s_cbranch_execz .LBB173_44
; %bb.42:                               ;   in Loop: Header=BB173_19 Depth=1
	v_mov_b32_e32 v1, v24
	v_mov_b32_e32 v2, v0
	s_mov_b32 s4, 0
	.p2align	6
.LBB173_43:                             ;   Parent Loop BB173_19 Depth=1
                                        ; =>  This Inner Loop Header: Depth=2
	s_delay_alu instid0(VALU_DEP_1)
	v_dual_mov_b32 v3, s28 :: v_dual_add_nc_u32 v2, 0x100, v2
	ds_load_2addr_b64 v[7:10], v1 offset1:1
	ds_load_2addr_b64 v[11:14], v3 offset0:2 offset1:3
	v_cmp_le_i32_e32 vcc_lo, s36, v2
	s_or_b32 s4, vcc_lo, s4
	s_waitcnt lgkmcnt(0)
	v_mul_f64 v[3:4], v[13:14], v[9:10]
	v_mul_f64 v[9:10], v[11:12], v[9:10]
	s_delay_alu instid0(VALU_DEP_2) | instskip(NEXT) | instid1(VALU_DEP_2)
	v_fma_f64 v[3:4], v[11:12], v[7:8], -v[3:4]
	v_fma_f64 v[7:8], v[13:14], v[7:8], v[9:10]
	ds_store_2addr_b64 v1, v[3:4], v[7:8] offset1:1
	v_add_nc_u32_e32 v1, 0x1000, v1
	s_and_not1_b32 exec_lo, exec_lo, s4
	s_cbranch_execnz .LBB173_43
.LBB173_44:                             ;   in Loop: Header=BB173_19 Depth=1
	s_or_b32 exec_lo, exec_lo, s5
	s_waitcnt lgkmcnt(0)
	s_barrier
	buffer_gl0_inv
	s_and_saveexec_b32 s4, s3
	s_cbranch_execz .LBB173_51
; %bb.45:                               ;   in Loop: Header=BB173_19 Depth=1
	v_dual_mov_b32 v7, v25 :: v_dual_mov_b32 v8, v0
	s_mov_b32 s5, 0
.LBB173_46:                             ;   Parent Loop BB173_19 Depth=1
                                        ; =>  This Loop Header: Depth=2
                                        ;       Child Loop BB173_47 Depth 3
	v_mov_b32_e32 v1, 0
	s_delay_alu instid0(VALU_DEP_2) | instskip(SKIP_2) | instid1(VALU_DEP_1)
	v_dual_mov_b32 v2, 0 :: v_dual_mov_b32 v9, v7
	s_mov_b32 s6, s27
	s_mov_b32 s7, 0
	v_dual_mov_b32 v4, v2 :: v_dual_mov_b32 v3, v1
	.p2align	6
.LBB173_47:                             ;   Parent Loop BB173_19 Depth=1
                                        ;     Parent Loop BB173_46 Depth=2
                                        ; =>    This Inner Loop Header: Depth=3
	v_mov_b32_e32 v14, s6
	s_add_i32 s7, s7, 1
	s_add_i32 s6, s6, 16
	s_cmp_ge_i32 s7, s35
	ds_load_2addr_b64 v[10:13], v9 offset1:1
	ds_load_2addr_b64 v[28:31], v14 offset1:1
	v_add_nc_u32_e32 v9, s26, v9
	s_waitcnt lgkmcnt(0)
	v_mul_f64 v[32:33], v[30:31], v[12:13]
	v_mul_f64 v[12:13], v[28:29], v[12:13]
	s_delay_alu instid0(VALU_DEP_2) | instskip(NEXT) | instid1(VALU_DEP_2)
	v_fma_f64 v[28:29], v[28:29], v[10:11], -v[32:33]
	v_fma_f64 v[10:11], v[30:31], v[10:11], v[12:13]
	s_delay_alu instid0(VALU_DEP_2) | instskip(NEXT) | instid1(VALU_DEP_2)
	v_add_f64 v[3:4], v[3:4], v[28:29]
	v_add_f64 v[1:2], v[1:2], v[10:11]
	s_cbranch_scc0 .LBB173_47
; %bb.48:                               ;   in Loop: Header=BB173_46 Depth=2
	ds_load_2addr_b64 v[9:12], v6 offset1:1
	v_add_nc_u32_e32 v7, 0x1000, v7
	s_waitcnt lgkmcnt(0)
	v_mul_f64 v[13:14], v[1:2], v[11:12]
	v_mul_f64 v[11:12], v[3:4], v[11:12]
	s_delay_alu instid0(VALU_DEP_2) | instskip(NEXT) | instid1(VALU_DEP_2)
	v_fma_f64 v[3:4], v[3:4], v[9:10], -v[13:14]
	v_fma_f64 v[1:2], v[1:2], v[9:10], v[11:12]
	v_lshl_add_u32 v9, v8, 4, s34
	v_add_nc_u32_e32 v8, 0x100, v8
	s_delay_alu instid0(VALU_DEP_1)
	v_cmp_le_i32_e32 vcc_lo, s35, v8
	s_or_b32 s5, vcc_lo, s5
	ds_store_2addr_b64 v9, v[3:4], v[1:2] offset1:1
	s_and_not1_b32 exec_lo, exec_lo, s5
	s_cbranch_execnz .LBB173_46
; %bb.49:                               ;   in Loop: Header=BB173_19 Depth=1
	s_or_b32 exec_lo, exec_lo, s5
	v_mov_b32_e32 v1, v0
	s_mov_b32 s5, 0
	s_mov_b32 s6, 0
.LBB173_50:                             ;   Parent Loop BB173_19 Depth=1
                                        ; =>  This Inner Loop Header: Depth=2
	s_delay_alu instid0(SALU_CYCLE_1) | instskip(NEXT) | instid1(VALU_DEP_2)
	v_add_nc_u32_e32 v2, s6, v22
	v_add_nc_u32_e32 v1, 0x100, v1
	ds_load_2addr_b64 v[7:10], v2 offset1:1
	v_cmp_le_i32_e32 vcc_lo, s35, v1
	v_add_nc_u32_e32 v2, s6, v23
	s_addk_i32 s6, 0x1000
	s_or_b32 s5, vcc_lo, s5
	s_waitcnt lgkmcnt(0)
	ds_store_2addr_b64 v2, v[7:8], v[9:10] offset1:1
	s_and_not1_b32 exec_lo, exec_lo, s5
	s_cbranch_execnz .LBB173_50
.LBB173_51:                             ;   in Loop: Header=BB173_19 Depth=1
	s_or_b32 exec_lo, exec_lo, s4
	v_mov_b32_e32 v1, 0
	v_mov_b32_e32 v2, 0
	s_waitcnt lgkmcnt(0)
	s_barrier
	buffer_gl0_inv
	v_dual_mov_b32 v4, v2 :: v_dual_mov_b32 v3, v1
	s_and_saveexec_b32 s4, s3
	s_cbranch_execz .LBB173_55
; %bb.52:                               ;   in Loop: Header=BB173_19 Depth=1
	v_dual_mov_b32 v1, 0 :: v_dual_mov_b32 v8, v26
	v_dual_mov_b32 v2, 0 :: v_dual_mov_b32 v7, v22
	v_mov_b32_e32 v9, v0
	s_mov_b32 s5, 0
	s_delay_alu instid0(VALU_DEP_2)
	v_dual_mov_b32 v4, v2 :: v_dual_mov_b32 v3, v1
	.p2align	6
.LBB173_53:                             ;   Parent Loop BB173_19 Depth=1
                                        ; =>  This Inner Loop Header: Depth=2
	ds_load_2addr_b64 v[10:13], v8 offset1:1
	ds_load_2addr_b64 v[28:31], v7 offset1:1
	v_add_nc_u32_e32 v9, 0x100, v9
	v_add_nc_u32_e32 v8, 0x1000, v8
	;; [unrolled: 1-line block ×3, first 2 shown]
	s_delay_alu instid0(VALU_DEP_3) | instskip(SKIP_4) | instid1(VALU_DEP_2)
	v_cmp_le_i32_e32 vcc_lo, s35, v9
	s_or_b32 s5, vcc_lo, s5
	s_waitcnt lgkmcnt(0)
	v_mul_f64 v[32:33], v[12:13], v[30:31]
	v_mul_f64 v[12:13], v[12:13], v[28:29]
	v_fma_f64 v[28:29], v[10:11], v[28:29], v[32:33]
	s_delay_alu instid0(VALU_DEP_2) | instskip(NEXT) | instid1(VALU_DEP_2)
	v_fma_f64 v[10:11], v[10:11], v[30:31], -v[12:13]
	v_add_f64 v[3:4], v[3:4], v[28:29]
	s_delay_alu instid0(VALU_DEP_2)
	v_add_f64 v[1:2], v[1:2], v[10:11]
	s_and_not1_b32 exec_lo, exec_lo, s5
	s_cbranch_execnz .LBB173_53
; %bb.54:                               ;   in Loop: Header=BB173_19 Depth=1
	s_or_b32 exec_lo, exec_lo, s5
.LBB173_55:                             ;   in Loop: Header=BB173_19 Depth=1
	s_delay_alu instid0(SALU_CYCLE_1)
	s_or_b32 exec_lo, exec_lo, s4
	ds_bpermute_b32 v7, v17, v3
	ds_bpermute_b32 v8, v17, v4
	ds_bpermute_b32 v9, v17, v1
	ds_bpermute_b32 v10, v17, v2
	s_waitcnt lgkmcnt(2)
	v_add_f64 v[3:4], v[3:4], v[7:8]
	s_waitcnt lgkmcnt(0)
	v_add_f64 v[1:2], v[1:2], v[9:10]
	ds_bpermute_b32 v7, v18, v3
	ds_bpermute_b32 v8, v18, v4
	ds_bpermute_b32 v9, v18, v1
	ds_bpermute_b32 v10, v18, v2
	s_waitcnt lgkmcnt(2)
	v_add_f64 v[3:4], v[3:4], v[7:8]
	s_waitcnt lgkmcnt(0)
	v_add_f64 v[1:2], v[1:2], v[9:10]
	;; [unrolled: 8-line block ×5, first 2 shown]
	s_and_saveexec_b32 s4, s0
	s_cbranch_execz .LBB173_57
; %bb.56:                               ;   in Loop: Header=BB173_19 Depth=1
	ds_store_2addr_b64 v27, v[1:2], v[3:4] offset0:2 offset1:3
.LBB173_57:                             ;   in Loop: Header=BB173_19 Depth=1
	s_or_b32 exec_lo, exec_lo, s4
	s_waitcnt lgkmcnt(0)
	s_barrier
	buffer_gl0_inv
	s_and_saveexec_b32 s4, s1
	s_cbranch_execz .LBB173_59
; %bb.58:                               ;   in Loop: Header=BB173_19 Depth=1
	v_mov_b32_e32 v28, s28
	ds_load_2addr_b64 v[7:10], v28 offset0:4 offset1:5
	ds_load_2addr_b64 v[11:14], v28 offset0:6 offset1:7
	s_waitcnt lgkmcnt(1)
	v_add_f64 v[3:4], v[3:4], v[9:10]
	v_add_f64 v[1:2], v[1:2], v[7:8]
	s_waitcnt lgkmcnt(0)
	s_delay_alu instid0(VALU_DEP_2) | instskip(NEXT) | instid1(VALU_DEP_2)
	v_add_f64 v[13:14], v[3:4], v[13:14]
	v_add_f64 v[11:12], v[1:2], v[11:12]
	ds_load_2addr_b64 v[1:4], v28 offset0:8 offset1:9
	ds_load_2addr_b64 v[7:10], v28 offset0:10 offset1:11
	s_waitcnt lgkmcnt(1)
	v_add_f64 v[3:4], v[13:14], v[3:4]
	v_add_f64 v[1:2], v[11:12], v[1:2]
	s_waitcnt lgkmcnt(0)
	s_delay_alu instid0(VALU_DEP_2) | instskip(NEXT) | instid1(VALU_DEP_2)
	v_add_f64 v[11:12], v[3:4], v[9:10]
	v_add_f64 v[13:14], v[1:2], v[7:8]
	;; [unrolled: 9-line block ×3, first 2 shown]
	ds_load_2addr_b64 v[1:4], v6 offset1:1
	ds_load_2addr_b64 v[7:10], v28 offset0:16 offset1:17
	s_waitcnt lgkmcnt(1)
	v_mul_f64 v[3:4], v[3:4], -0.5
	v_mul_f64 v[1:2], v[1:2], -0.5
	s_waitcnt lgkmcnt(0)
	v_add_f64 v[9:10], v[11:12], v[9:10]
	v_add_f64 v[7:8], v[13:14], v[7:8]
	s_delay_alu instid0(VALU_DEP_2) | instskip(NEXT) | instid1(VALU_DEP_2)
	v_mul_f64 v[11:12], v[9:10], v[3:4]
	v_mul_f64 v[3:4], v[7:8], v[3:4]
	s_delay_alu instid0(VALU_DEP_2) | instskip(NEXT) | instid1(VALU_DEP_2)
	v_fma_f64 v[7:8], v[7:8], v[1:2], -v[11:12]
	v_fma_f64 v[1:2], v[9:10], v[1:2], v[3:4]
	ds_store_2addr_b64 v28, v[7:8], v[1:2] offset0:2 offset1:3
.LBB173_59:                             ;   in Loop: Header=BB173_19 Depth=1
	s_or_b32 exec_lo, exec_lo, s4
	s_waitcnt lgkmcnt(0)
	s_barrier
	buffer_gl0_inv
	s_and_saveexec_b32 s4, s3
	s_cbranch_execz .LBB173_62
; %bb.60:                               ;   in Loop: Header=BB173_19 Depth=1
	v_mov_b32_e32 v1, v22
	v_dual_mov_b32 v2, v26 :: v_dual_mov_b32 v3, v0
	s_mov_b32 s5, 0
	.p2align	6
.LBB173_61:                             ;   Parent Loop BB173_19 Depth=1
                                        ; =>  This Inner Loop Header: Depth=2
	s_delay_alu instid0(VALU_DEP_1)
	v_dual_mov_b32 v4, s28 :: v_dual_add_nc_u32 v3, 0x100, v3
	ds_load_2addr_b64 v[7:10], v1 offset1:1
	ds_load_2addr_b64 v[11:14], v4 offset0:2 offset1:3
	v_add_nc_u32_e32 v1, 0x1000, v1
	v_cmp_le_i32_e32 vcc_lo, s35, v3
	s_or_b32 s5, vcc_lo, s5
	s_waitcnt lgkmcnt(0)
	v_mul_f64 v[28:29], v[9:10], v[13:14]
	v_mul_f64 v[13:14], v[7:8], v[13:14]
	s_delay_alu instid0(VALU_DEP_2) | instskip(NEXT) | instid1(VALU_DEP_2)
	v_fma_f64 v[28:29], v[7:8], v[11:12], -v[28:29]
	v_fma_f64 v[11:12], v[9:10], v[11:12], v[13:14]
	ds_load_2addr_b64 v[7:10], v2 offset1:1
	s_waitcnt lgkmcnt(0)
	v_add_f64 v[7:8], v[7:8], v[28:29]
	v_add_f64 v[9:10], v[9:10], v[11:12]
	ds_store_2addr_b64 v2, v[7:8], v[9:10] offset1:1
	v_add_nc_u32_e32 v2, 0x1000, v2
	s_and_not1_b32 exec_lo, exec_lo, s5
	s_cbranch_execnz .LBB173_61
.LBB173_62:                             ;   in Loop: Header=BB173_19 Depth=1
	s_or_b32 exec_lo, exec_lo, s4
	s_waitcnt lgkmcnt(0)
	s_barrier
	buffer_gl0_inv
	s_and_saveexec_b32 s4, s3
	s_cbranch_execz .LBB173_18
; %bb.63:                               ;   in Loop: Header=BB173_19 Depth=1
	v_dual_mov_b32 v1, v25 :: v_dual_mov_b32 v2, v0
	s_mov_b32 s3, 0
.LBB173_64:                             ;   Parent Loop BB173_19 Depth=1
                                        ; =>  This Loop Header: Depth=2
                                        ;       Child Loop BB173_65 Depth 3
	s_delay_alu instid0(VALU_DEP_1) | instskip(SKIP_3) | instid1(VALU_DEP_1)
	v_dual_mov_b32 v7, v1 :: v_dual_lshlrev_b32 v4, 4, v2
	s_mov_b32 s5, s34
	s_mov_b32 s6, s27
	;; [unrolled: 1-line block ×3, first 2 shown]
	v_add_nc_u32_e32 v3, s27, v4
	v_add_nc_u32_e32 v4, s34, v4
	s_set_inst_prefetch_distance 0x1
	.p2align	6
.LBB173_65:                             ;   Parent Loop BB173_19 Depth=1
                                        ;     Parent Loop BB173_64 Depth=2
                                        ; =>    This Inner Loop Header: Depth=3
	v_mov_b32_e32 v12, s5
	v_mov_b32_e32 v14, s6
	s_add_i32 s7, s7, 1
	s_add_i32 s6, s6, 16
	ds_load_2addr_b64 v[8:11], v3 offset1:1
	ds_load_2addr_b64 v[28:31], v12 offset1:1
	;; [unrolled: 1-line block ×3, first 2 shown]
	s_add_i32 s5, s5, 16
	ds_load_2addr_b64 v[36:39], v14 offset1:1
	s_cmp_ge_i32 s7, s35
	s_waitcnt lgkmcnt(2)
	v_mul_f64 v[12:13], v[30:31], v[10:11]
	v_mul_f64 v[30:31], v[30:31], v[8:9]
	s_waitcnt lgkmcnt(0)
	v_mul_f64 v[40:41], v[38:39], v[34:35]
	v_mul_f64 v[38:39], v[38:39], v[32:33]
	s_delay_alu instid0(VALU_DEP_4) | instskip(NEXT) | instid1(VALU_DEP_4)
	v_fma_f64 v[12:13], v[28:29], v[8:9], v[12:13]
	v_fma_f64 v[28:29], v[28:29], v[10:11], -v[30:31]
	ds_load_2addr_b64 v[8:11], v7 offset1:1
	v_fma_f64 v[30:31], v[36:37], v[32:33], v[40:41]
	v_fma_f64 v[32:33], v[36:37], v[34:35], -v[38:39]
	s_waitcnt lgkmcnt(0)
	v_add_f64 v[8:9], v[8:9], -v[12:13]
	v_add_f64 v[10:11], v[10:11], -v[28:29]
	s_delay_alu instid0(VALU_DEP_2) | instskip(NEXT) | instid1(VALU_DEP_2)
	v_add_f64 v[8:9], v[8:9], -v[30:31]
	v_add_f64 v[10:11], v[10:11], -v[32:33]
	ds_store_2addr_b64 v7, v[8:9], v[10:11] offset1:1
	v_add_nc_u32_e32 v7, s26, v7
	s_cbranch_scc0 .LBB173_65
; %bb.66:                               ;   in Loop: Header=BB173_64 Depth=2
	s_set_inst_prefetch_distance 0x2
	v_add_nc_u32_e32 v2, 0x100, v2
	v_add_nc_u32_e32 v1, 0x1000, v1
	s_delay_alu instid0(VALU_DEP_2) | instskip(SKIP_1) | instid1(SALU_CYCLE_1)
	v_cmp_le_i32_e32 vcc_lo, s35, v2
	s_or_b32 s3, vcc_lo, s3
	s_and_not1_b32 exec_lo, exec_lo, s3
	s_cbranch_execnz .LBB173_64
	s_branch .LBB173_18
.LBB173_67:
	s_and_saveexec_b32 s0, s2
	s_cbranch_execz .LBB173_75
; %bb.68:
	v_mul_lo_u32 v0, s18, v15
	v_cmp_gt_u32_e32 vcc_lo, s18, v15
	s_lshl_b32 s1, s21, 1
	s_mov_b32 s2, 0
	s_lshl_b32 s3, s18, 5
	s_delay_alu instid0(VALU_DEP_2) | instskip(SKIP_1) | instid1(VALU_DEP_2)
	v_lshl_add_u32 v2, v0, 4, v16
	v_mad_u64_u32 v[0:1], null, s21, v15, v[5:6]
	v_add3_u32 v3, v2, 0, 16
	s_set_inst_prefetch_distance 0x1
	s_branch .LBB173_70
	.p2align	6
.LBB173_69:                             ;   in Loop: Header=BB173_70 Depth=1
	s_or_b32 exec_lo, exec_lo, s4
	v_add_nc_u32_e32 v5, 0x80, v5
	v_add_nc_u32_e32 v0, 0x80, v0
	;; [unrolled: 1-line block ×3, first 2 shown]
	s_delay_alu instid0(VALU_DEP_3) | instskip(NEXT) | instid1(VALU_DEP_1)
	v_cmp_le_i32_e64 s0, s18, v5
	s_or_b32 s2, s0, s2
	s_delay_alu instid0(SALU_CYCLE_1)
	s_and_not1_b32 exec_lo, exec_lo, s2
	s_cbranch_execz .LBB173_75
.LBB173_70:                             ; =>This Loop Header: Depth=1
                                        ;     Child Loop BB173_73 Depth 2
	s_and_saveexec_b32 s4, vcc_lo
	s_cbranch_execz .LBB173_69
; %bb.71:                               ;   in Loop: Header=BB173_70 Depth=1
	s_delay_alu instid0(VALU_DEP_2)
	v_dual_mov_b32 v4, v3 :: v_dual_mov_b32 v1, v0
	v_mov_b32_e32 v6, v15
	s_mov_b32 s5, 0
	s_branch .LBB173_73
	.p2align	6
.LBB173_72:                             ;   in Loop: Header=BB173_73 Depth=2
	s_or_b32 exec_lo, exec_lo, s6
	v_add_nc_u32_e32 v6, 2, v6
	v_add_nc_u32_e32 v1, s1, v1
	v_add_nc_u32_e32 v4, s3, v4
	s_delay_alu instid0(VALU_DEP_3) | instskip(NEXT) | instid1(VALU_DEP_1)
	v_cmp_le_i32_e64 s0, s18, v6
	s_or_b32 s5, s0, s5
	s_delay_alu instid0(SALU_CYCLE_1)
	s_and_not1_b32 exec_lo, exec_lo, s5
	s_cbranch_execz .LBB173_69
.LBB173_73:                             ;   Parent Loop BB173_70 Depth=1
                                        ; =>  This Inner Loop Header: Depth=2
	s_mov_b32 s6, exec_lo
	s_delay_alu instid0(VALU_DEP_1)
	v_cmpx_ge_u32_e64 v5, v6
	s_cbranch_execz .LBB173_72
; %bb.74:                               ;   in Loop: Header=BB173_73 Depth=2
	ds_load_2addr_b64 v[7:10], v4 offset1:1
	v_ashrrev_i32_e32 v2, 31, v1
	s_delay_alu instid0(VALU_DEP_1) | instskip(NEXT) | instid1(VALU_DEP_1)
	v_lshlrev_b64 v[11:12], 4, v[1:2]
	v_add_co_u32 v11, s0, s19, v11
	s_delay_alu instid0(VALU_DEP_1)
	v_add_co_ci_u32_e64 v12, s0, s20, v12, s0
	s_waitcnt lgkmcnt(0)
	global_store_b128 v[11:12], v[7:10], off
	s_branch .LBB173_72
.LBB173_75:
	s_set_inst_prefetch_distance 0x2
	s_nop 0
	s_sendmsg sendmsg(MSG_DEALLOC_VGPRS)
	s_endpgm
	.section	.rodata,"a",@progbits
	.p2align	6, 0x0
	.amdhsa_kernel _ZN9rocsolver6v33100L24sytd2_lower_kernel_smallILi256E19rocblas_complex_numIdEidPS3_EEvT1_T3_lS5_lPT2_lS8_lPT0_l
		.amdhsa_group_segment_fixed_size 0
		.amdhsa_private_segment_fixed_size 0
		.amdhsa_kernarg_size 88
		.amdhsa_user_sgpr_count 14
		.amdhsa_user_sgpr_dispatch_ptr 0
		.amdhsa_user_sgpr_queue_ptr 0
		.amdhsa_user_sgpr_kernarg_segment_ptr 1
		.amdhsa_user_sgpr_dispatch_id 0
		.amdhsa_user_sgpr_private_segment_size 0
		.amdhsa_wavefront_size32 1
		.amdhsa_uses_dynamic_stack 0
		.amdhsa_enable_private_segment 0
		.amdhsa_system_sgpr_workgroup_id_x 1
		.amdhsa_system_sgpr_workgroup_id_y 0
		.amdhsa_system_sgpr_workgroup_id_z 1
		.amdhsa_system_sgpr_workgroup_info 0
		.amdhsa_system_vgpr_workitem_id 0
		.amdhsa_next_free_vgpr 58
		.amdhsa_next_free_sgpr 39
		.amdhsa_reserve_vcc 1
		.amdhsa_float_round_mode_32 0
		.amdhsa_float_round_mode_16_64 0
		.amdhsa_float_denorm_mode_32 3
		.amdhsa_float_denorm_mode_16_64 3
		.amdhsa_dx10_clamp 1
		.amdhsa_ieee_mode 1
		.amdhsa_fp16_overflow 0
		.amdhsa_workgroup_processor_mode 1
		.amdhsa_memory_ordered 1
		.amdhsa_forward_progress 0
		.amdhsa_shared_vgpr_count 0
		.amdhsa_exception_fp_ieee_invalid_op 0
		.amdhsa_exception_fp_denorm_src 0
		.amdhsa_exception_fp_ieee_div_zero 0
		.amdhsa_exception_fp_ieee_overflow 0
		.amdhsa_exception_fp_ieee_underflow 0
		.amdhsa_exception_fp_ieee_inexact 0
		.amdhsa_exception_int_div_zero 0
	.end_amdhsa_kernel
	.section	.text._ZN9rocsolver6v33100L24sytd2_lower_kernel_smallILi256E19rocblas_complex_numIdEidPS3_EEvT1_T3_lS5_lPT2_lS8_lPT0_l,"axG",@progbits,_ZN9rocsolver6v33100L24sytd2_lower_kernel_smallILi256E19rocblas_complex_numIdEidPS3_EEvT1_T3_lS5_lPT2_lS8_lPT0_l,comdat
.Lfunc_end173:
	.size	_ZN9rocsolver6v33100L24sytd2_lower_kernel_smallILi256E19rocblas_complex_numIdEidPS3_EEvT1_T3_lS5_lPT2_lS8_lPT0_l, .Lfunc_end173-_ZN9rocsolver6v33100L24sytd2_lower_kernel_smallILi256E19rocblas_complex_numIdEidPS3_EEvT1_T3_lS5_lPT2_lS8_lPT0_l
                                        ; -- End function
	.section	.AMDGPU.csdata,"",@progbits
; Kernel info:
; codeLenInByte = 5092
; NumSgprs: 41
; NumVgprs: 58
; ScratchSize: 0
; MemoryBound: 0
; FloatMode: 240
; IeeeMode: 1
; LDSByteSize: 0 bytes/workgroup (compile time only)
; SGPRBlocks: 5
; VGPRBlocks: 7
; NumSGPRsForWavesPerEU: 41
; NumVGPRsForWavesPerEU: 58
; Occupancy: 16
; WaveLimiterHint : 0
; COMPUTE_PGM_RSRC2:SCRATCH_EN: 0
; COMPUTE_PGM_RSRC2:USER_SGPR: 14
; COMPUTE_PGM_RSRC2:TRAP_HANDLER: 0
; COMPUTE_PGM_RSRC2:TGID_X_EN: 1
; COMPUTE_PGM_RSRC2:TGID_Y_EN: 0
; COMPUTE_PGM_RSRC2:TGID_Z_EN: 1
; COMPUTE_PGM_RSRC2:TIDIG_COMP_CNT: 0
	.section	.text._ZN9rocsolver6v33100L16reset_batch_infoI19rocblas_complex_numIdEiiPS3_EEvT2_lT0_T1_,"axG",@progbits,_ZN9rocsolver6v33100L16reset_batch_infoI19rocblas_complex_numIdEiiPS3_EEvT2_lT0_T1_,comdat
	.globl	_ZN9rocsolver6v33100L16reset_batch_infoI19rocblas_complex_numIdEiiPS3_EEvT2_lT0_T1_ ; -- Begin function _ZN9rocsolver6v33100L16reset_batch_infoI19rocblas_complex_numIdEiiPS3_EEvT2_lT0_T1_
	.p2align	8
	.type	_ZN9rocsolver6v33100L16reset_batch_infoI19rocblas_complex_numIdEiiPS3_EEvT2_lT0_T1_,@function
_ZN9rocsolver6v33100L16reset_batch_infoI19rocblas_complex_numIdEiiPS3_EEvT2_lT0_T1_: ; @_ZN9rocsolver6v33100L16reset_batch_infoI19rocblas_complex_numIdEiiPS3_EEvT2_lT0_T1_
; %bb.0:
	s_clause 0x1
	s_load_b32 s4, s[0:1], 0x24
	s_load_b64 s[2:3], s[0:1], 0x10
	s_waitcnt lgkmcnt(0)
	s_and_b32 s4, s4, 0xffff
	s_delay_alu instid0(SALU_CYCLE_1) | instskip(NEXT) | instid1(VALU_DEP_1)
	v_mad_u64_u32 v[1:2], null, s14, s4, v[0:1]
	v_cmp_gt_i32_e32 vcc_lo, s2, v1
	s_and_saveexec_b32 s2, vcc_lo
	s_cbranch_execz .LBB174_2
; %bb.1:
	v_cvt_f64_i32_e32 v[3:4], s3
	s_load_b128 s[4:7], s[0:1], 0x0
	v_ashrrev_i32_e32 v2, 31, v1
	s_ashr_i32 s0, s15, 31
	v_mov_b32_e32 v5, 0
	s_delay_alu instid0(VALU_DEP_2) | instskip(NEXT) | instid1(VALU_DEP_2)
	v_lshlrev_b64 v[0:1], 4, v[1:2]
	v_mov_b32_e32 v6, v5
	s_waitcnt lgkmcnt(0)
	s_mul_i32 s1, s15, s7
	s_mul_hi_u32 s2, s15, s6
	s_mul_i32 s3, s0, s6
	s_add_i32 s1, s2, s1
	s_mul_i32 s0, s15, s6
	s_add_i32 s1, s1, s3
	s_delay_alu instid0(SALU_CYCLE_1) | instskip(NEXT) | instid1(SALU_CYCLE_1)
	s_lshl_b64 s[0:1], s[0:1], 4
	s_add_u32 s0, s4, s0
	s_addc_u32 s1, s5, s1
	v_add_co_u32 v0, vcc_lo, s0, v0
	v_add_co_ci_u32_e32 v1, vcc_lo, s1, v1, vcc_lo
	global_store_b128 v[0:1], v[3:6], off
.LBB174_2:
	s_nop 0
	s_sendmsg sendmsg(MSG_DEALLOC_VGPRS)
	s_endpgm
	.section	.rodata,"a",@progbits
	.p2align	6, 0x0
	.amdhsa_kernel _ZN9rocsolver6v33100L16reset_batch_infoI19rocblas_complex_numIdEiiPS3_EEvT2_lT0_T1_
		.amdhsa_group_segment_fixed_size 0
		.amdhsa_private_segment_fixed_size 0
		.amdhsa_kernarg_size 280
		.amdhsa_user_sgpr_count 14
		.amdhsa_user_sgpr_dispatch_ptr 0
		.amdhsa_user_sgpr_queue_ptr 0
		.amdhsa_user_sgpr_kernarg_segment_ptr 1
		.amdhsa_user_sgpr_dispatch_id 0
		.amdhsa_user_sgpr_private_segment_size 0
		.amdhsa_wavefront_size32 1
		.amdhsa_uses_dynamic_stack 0
		.amdhsa_enable_private_segment 0
		.amdhsa_system_sgpr_workgroup_id_x 1
		.amdhsa_system_sgpr_workgroup_id_y 1
		.amdhsa_system_sgpr_workgroup_id_z 0
		.amdhsa_system_sgpr_workgroup_info 0
		.amdhsa_system_vgpr_workitem_id 0
		.amdhsa_next_free_vgpr 7
		.amdhsa_next_free_sgpr 16
		.amdhsa_reserve_vcc 1
		.amdhsa_float_round_mode_32 0
		.amdhsa_float_round_mode_16_64 0
		.amdhsa_float_denorm_mode_32 3
		.amdhsa_float_denorm_mode_16_64 3
		.amdhsa_dx10_clamp 1
		.amdhsa_ieee_mode 1
		.amdhsa_fp16_overflow 0
		.amdhsa_workgroup_processor_mode 1
		.amdhsa_memory_ordered 1
		.amdhsa_forward_progress 0
		.amdhsa_shared_vgpr_count 0
		.amdhsa_exception_fp_ieee_invalid_op 0
		.amdhsa_exception_fp_denorm_src 0
		.amdhsa_exception_fp_ieee_div_zero 0
		.amdhsa_exception_fp_ieee_overflow 0
		.amdhsa_exception_fp_ieee_underflow 0
		.amdhsa_exception_fp_ieee_inexact 0
		.amdhsa_exception_int_div_zero 0
	.end_amdhsa_kernel
	.section	.text._ZN9rocsolver6v33100L16reset_batch_infoI19rocblas_complex_numIdEiiPS3_EEvT2_lT0_T1_,"axG",@progbits,_ZN9rocsolver6v33100L16reset_batch_infoI19rocblas_complex_numIdEiiPS3_EEvT2_lT0_T1_,comdat
.Lfunc_end174:
	.size	_ZN9rocsolver6v33100L16reset_batch_infoI19rocblas_complex_numIdEiiPS3_EEvT2_lT0_T1_, .Lfunc_end174-_ZN9rocsolver6v33100L16reset_batch_infoI19rocblas_complex_numIdEiiPS3_EEvT2_lT0_T1_
                                        ; -- End function
	.section	.AMDGPU.csdata,"",@progbits
; Kernel info:
; codeLenInByte = 172
; NumSgprs: 18
; NumVgprs: 7
; ScratchSize: 0
; MemoryBound: 0
; FloatMode: 240
; IeeeMode: 1
; LDSByteSize: 0 bytes/workgroup (compile time only)
; SGPRBlocks: 2
; VGPRBlocks: 0
; NumSGPRsForWavesPerEU: 18
; NumVGPRsForWavesPerEU: 7
; Occupancy: 16
; WaveLimiterHint : 0
; COMPUTE_PGM_RSRC2:SCRATCH_EN: 0
; COMPUTE_PGM_RSRC2:USER_SGPR: 14
; COMPUTE_PGM_RSRC2:TRAP_HANDLER: 0
; COMPUTE_PGM_RSRC2:TGID_X_EN: 1
; COMPUTE_PGM_RSRC2:TGID_Y_EN: 1
; COMPUTE_PGM_RSRC2:TGID_Z_EN: 0
; COMPUTE_PGM_RSRC2:TIDIG_COMP_CNT: 0
	.section	.text._ZN9rocsolver6v33100L8set_diagI19rocblas_complex_numIdEidPS3_TnNSt9enable_ifIXaa18rocblas_is_complexIT_Ent18rocblas_is_complexIT1_EEiE4typeELi0EEEvPS7_llT2_lT0_lSC_b,"axG",@progbits,_ZN9rocsolver6v33100L8set_diagI19rocblas_complex_numIdEidPS3_TnNSt9enable_ifIXaa18rocblas_is_complexIT_Ent18rocblas_is_complexIT1_EEiE4typeELi0EEEvPS7_llT2_lT0_lSC_b,comdat
	.globl	_ZN9rocsolver6v33100L8set_diagI19rocblas_complex_numIdEidPS3_TnNSt9enable_ifIXaa18rocblas_is_complexIT_Ent18rocblas_is_complexIT1_EEiE4typeELi0EEEvPS7_llT2_lT0_lSC_b ; -- Begin function _ZN9rocsolver6v33100L8set_diagI19rocblas_complex_numIdEidPS3_TnNSt9enable_ifIXaa18rocblas_is_complexIT_Ent18rocblas_is_complexIT1_EEiE4typeELi0EEEvPS7_llT2_lT0_lSC_b
	.p2align	8
	.type	_ZN9rocsolver6v33100L8set_diagI19rocblas_complex_numIdEidPS3_TnNSt9enable_ifIXaa18rocblas_is_complexIT_Ent18rocblas_is_complexIT1_EEiE4typeELi0EEEvPS7_llT2_lT0_lSC_b,@function
_ZN9rocsolver6v33100L8set_diagI19rocblas_complex_numIdEidPS3_TnNSt9enable_ifIXaa18rocblas_is_complexIT_Ent18rocblas_is_complexIT1_EEiE4typeELi0EEEvPS7_llT2_lT0_lSC_b: ; @_ZN9rocsolver6v33100L8set_diagI19rocblas_complex_numIdEidPS3_TnNSt9enable_ifIXaa18rocblas_is_complexIT_Ent18rocblas_is_complexIT1_EEiE4typeELi0EEEvPS7_llT2_lT0_lSC_b
; %bb.0:
	s_clause 0x1
	s_load_b32 s4, s[0:1], 0x4c
	s_load_b64 s[2:3], s[0:1], 0x38
	v_bfe_u32 v0, v0, 10, 10
	s_waitcnt lgkmcnt(0)
	s_lshr_b32 s4, s4, 16
	s_delay_alu instid0(VALU_DEP_1) | instid1(SALU_CYCLE_1)
	v_mad_u64_u32 v[2:3], null, s15, s4, v[0:1]
	s_delay_alu instid0(VALU_DEP_1)
	v_cmp_gt_i32_e32 vcc_lo, s2, v2
	s_and_saveexec_b32 s2, vcc_lo
	s_cbranch_execz .LBB175_5
; %bb.1:
	s_clause 0x3
	s_load_b32 s2, s[0:1], 0x28
	s_load_b64 s[12:13], s[0:1], 0x30
	s_load_b256 s[4:11], s[0:1], 0x0
	s_load_b64 s[0:1], s[0:1], 0x20
	s_bitcmp1_b32 s3, 0
	s_cselect_b32 s15, -1, 0
	s_ashr_i32 s16, s14, 31
	s_waitcnt lgkmcnt(0)
	v_mad_u64_u32 v[0:1], null, v2, s2, v[2:3]
	s_mul_i32 s2, s14, s13
	s_mul_hi_u32 s3, s14, s12
	s_mul_i32 s13, s16, s12
	s_add_i32 s3, s3, s2
	s_mul_i32 s2, s14, s12
	s_add_i32 s3, s3, s13
	s_delay_alu instid0(VALU_DEP_1)
	v_ashrrev_i32_e32 v1, 31, v0
	s_lshl_b64 s[2:3], s[2:3], 4
	s_mul_i32 s16, s16, s8
	s_add_u32 s2, s10, s2
	s_addc_u32 s3, s11, s3
	v_lshlrev_b64 v[0:1], 4, v[0:1]
	s_lshl_b64 s[0:1], s[0:1], 4
	v_ashrrev_i32_e32 v3, 31, v2
	s_add_u32 s0, s2, s0
	s_addc_u32 s1, s3, s1
	s_delay_alu instid0(VALU_DEP_2)
	v_add_co_u32 v4, vcc_lo, s0, v0
	v_add_co_ci_u32_e32 v5, vcc_lo, s1, v1, vcc_lo
	s_mul_i32 s0, s14, s9
	s_mul_hi_u32 s1, s14, s8
	v_lshlrev_b64 v[2:3], 3, v[2:3]
	global_load_b64 v[0:1], v[4:5], off
	s_add_i32 s1, s1, s0
	s_mul_i32 s0, s14, s8
	s_add_i32 s1, s1, s16
	s_delay_alu instid0(SALU_CYCLE_1) | instskip(NEXT) | instid1(SALU_CYCLE_1)
	s_lshl_b64 s[0:1], s[0:1], 3
	s_add_u32 s2, s4, s0
	s_addc_u32 s3, s5, s1
	s_lshl_b64 s[0:1], s[6:7], 3
	s_delay_alu instid0(SALU_CYCLE_1)
	s_add_u32 s0, s2, s0
	s_addc_u32 s1, s3, s1
	v_add_co_u32 v2, vcc_lo, s0, v2
	v_add_co_ci_u32_e32 v3, vcc_lo, s1, v3, vcc_lo
	s_and_b32 vcc_lo, exec_lo, s15
	s_waitcnt vmcnt(0)
	global_store_b64 v[2:3], v[0:1], off
	s_cbranch_vccnz .LBB175_3
; %bb.2:
	global_load_b64 v[2:3], v[4:5], off offset:8
	s_branch .LBB175_4
.LBB175_3:
	v_mov_b32_e32 v2, 0
	v_dual_mov_b32 v3, 0 :: v_dual_mov_b32 v0, 0
	v_mov_b32_e32 v1, 0x3ff00000
.LBB175_4:
	s_waitcnt vmcnt(0)
	global_store_b128 v[4:5], v[0:3], off
.LBB175_5:
	s_nop 0
	s_sendmsg sendmsg(MSG_DEALLOC_VGPRS)
	s_endpgm
	.section	.rodata,"a",@progbits
	.p2align	6, 0x0
	.amdhsa_kernel _ZN9rocsolver6v33100L8set_diagI19rocblas_complex_numIdEidPS3_TnNSt9enable_ifIXaa18rocblas_is_complexIT_Ent18rocblas_is_complexIT1_EEiE4typeELi0EEEvPS7_llT2_lT0_lSC_b
		.amdhsa_group_segment_fixed_size 0
		.amdhsa_private_segment_fixed_size 0
		.amdhsa_kernarg_size 320
		.amdhsa_user_sgpr_count 14
		.amdhsa_user_sgpr_dispatch_ptr 0
		.amdhsa_user_sgpr_queue_ptr 0
		.amdhsa_user_sgpr_kernarg_segment_ptr 1
		.amdhsa_user_sgpr_dispatch_id 0
		.amdhsa_user_sgpr_private_segment_size 0
		.amdhsa_wavefront_size32 1
		.amdhsa_uses_dynamic_stack 0
		.amdhsa_enable_private_segment 0
		.amdhsa_system_sgpr_workgroup_id_x 1
		.amdhsa_system_sgpr_workgroup_id_y 1
		.amdhsa_system_sgpr_workgroup_id_z 0
		.amdhsa_system_sgpr_workgroup_info 0
		.amdhsa_system_vgpr_workitem_id 1
		.amdhsa_next_free_vgpr 6
		.amdhsa_next_free_sgpr 17
		.amdhsa_reserve_vcc 1
		.amdhsa_float_round_mode_32 0
		.amdhsa_float_round_mode_16_64 0
		.amdhsa_float_denorm_mode_32 3
		.amdhsa_float_denorm_mode_16_64 3
		.amdhsa_dx10_clamp 1
		.amdhsa_ieee_mode 1
		.amdhsa_fp16_overflow 0
		.amdhsa_workgroup_processor_mode 1
		.amdhsa_memory_ordered 1
		.amdhsa_forward_progress 0
		.amdhsa_shared_vgpr_count 0
		.amdhsa_exception_fp_ieee_invalid_op 0
		.amdhsa_exception_fp_denorm_src 0
		.amdhsa_exception_fp_ieee_div_zero 0
		.amdhsa_exception_fp_ieee_overflow 0
		.amdhsa_exception_fp_ieee_underflow 0
		.amdhsa_exception_fp_ieee_inexact 0
		.amdhsa_exception_int_div_zero 0
	.end_amdhsa_kernel
	.section	.text._ZN9rocsolver6v33100L8set_diagI19rocblas_complex_numIdEidPS3_TnNSt9enable_ifIXaa18rocblas_is_complexIT_Ent18rocblas_is_complexIT1_EEiE4typeELi0EEEvPS7_llT2_lT0_lSC_b,"axG",@progbits,_ZN9rocsolver6v33100L8set_diagI19rocblas_complex_numIdEidPS3_TnNSt9enable_ifIXaa18rocblas_is_complexIT_Ent18rocblas_is_complexIT1_EEiE4typeELi0EEEvPS7_llT2_lT0_lSC_b,comdat
.Lfunc_end175:
	.size	_ZN9rocsolver6v33100L8set_diagI19rocblas_complex_numIdEidPS3_TnNSt9enable_ifIXaa18rocblas_is_complexIT_Ent18rocblas_is_complexIT1_EEiE4typeELi0EEEvPS7_llT2_lT0_lSC_b, .Lfunc_end175-_ZN9rocsolver6v33100L8set_diagI19rocblas_complex_numIdEidPS3_TnNSt9enable_ifIXaa18rocblas_is_complexIT_Ent18rocblas_is_complexIT1_EEiE4typeELi0EEEvPS7_llT2_lT0_lSC_b
                                        ; -- End function
	.section	.AMDGPU.csdata,"",@progbits
; Kernel info:
; codeLenInByte = 368
; NumSgprs: 19
; NumVgprs: 6
; ScratchSize: 0
; MemoryBound: 0
; FloatMode: 240
; IeeeMode: 1
; LDSByteSize: 0 bytes/workgroup (compile time only)
; SGPRBlocks: 2
; VGPRBlocks: 0
; NumSGPRsForWavesPerEU: 19
; NumVGPRsForWavesPerEU: 6
; Occupancy: 16
; WaveLimiterHint : 0
; COMPUTE_PGM_RSRC2:SCRATCH_EN: 0
; COMPUTE_PGM_RSRC2:USER_SGPR: 14
; COMPUTE_PGM_RSRC2:TRAP_HANDLER: 0
; COMPUTE_PGM_RSRC2:TGID_X_EN: 1
; COMPUTE_PGM_RSRC2:TGID_Y_EN: 1
; COMPUTE_PGM_RSRC2:TGID_Z_EN: 0
; COMPUTE_PGM_RSRC2:TIDIG_COMP_CNT: 1
	.section	.text._ZN9rocsolver6v33100L11set_taubetaI19rocblas_complex_numIdEidPS3_EEvPT_lS6_T2_llPT1_ll,"axG",@progbits,_ZN9rocsolver6v33100L11set_taubetaI19rocblas_complex_numIdEidPS3_EEvPT_lS6_T2_llPT1_ll,comdat
	.globl	_ZN9rocsolver6v33100L11set_taubetaI19rocblas_complex_numIdEidPS3_EEvPT_lS6_T2_llPT1_ll ; -- Begin function _ZN9rocsolver6v33100L11set_taubetaI19rocblas_complex_numIdEidPS3_EEvPT_lS6_T2_llPT1_ll
	.p2align	8
	.type	_ZN9rocsolver6v33100L11set_taubetaI19rocblas_complex_numIdEidPS3_EEvPT_lS6_T2_llPT1_ll,@function
_ZN9rocsolver6v33100L11set_taubetaI19rocblas_complex_numIdEidPS3_EEvPT_lS6_T2_llPT1_ll: ; @_ZN9rocsolver6v33100L11set_taubetaI19rocblas_complex_numIdEidPS3_EEvPT_lS6_T2_llPT1_ll
; %bb.0:
	s_mov_b32 s2, s15
	s_load_b512 s[4:19], s[0:1], 0x0
	s_ashr_i32 s3, s2, 31
	s_mov_b64 s[20:21], 0
	s_waitcnt lgkmcnt(0)
	s_cmp_eq_u64 s[16:17], 0
	s_cbranch_scc1 .LBB176_2
; %bb.1:
	s_load_b64 s[0:1], s[0:1], 0x40
	s_waitcnt lgkmcnt(0)
	s_mul_i32 s1, s2, s1
	s_mul_hi_u32 s20, s2, s0
	s_mul_i32 s21, s3, s0
	s_add_i32 s1, s20, s1
	s_mul_i32 s0, s2, s0
	s_add_i32 s1, s1, s21
	s_delay_alu instid0(SALU_CYCLE_1) | instskip(NEXT) | instid1(SALU_CYCLE_1)
	s_lshl_b64 s[0:1], s[0:1], 3
	s_add_u32 s16, s16, s0
	s_addc_u32 s17, s17, s1
	s_lshl_b64 s[0:1], s[18:19], 3
	s_delay_alu instid0(SALU_CYCLE_1)
	s_add_u32 s20, s16, s0
	s_addc_u32 s21, s17, s1
.LBB176_2:
	s_mul_i32 s0, s2, s15
	s_mul_hi_u32 s1, s2, s14
	s_mul_i32 s15, s3, s14
	s_add_i32 s1, s1, s0
	s_mul_i32 s0, s2, s14
	s_add_i32 s1, s1, s15
	s_mul_i32 s7, s2, s7
	s_lshl_b64 s[0:1], s[0:1], 4
	s_delay_alu instid0(SALU_CYCLE_1) | instskip(SKIP_2) | instid1(SALU_CYCLE_1)
	s_add_u32 s10, s10, s0
	s_addc_u32 s11, s11, s1
	s_lshl_b64 s[0:1], s[12:13], 4
	s_add_u32 s10, s10, s0
	s_mul_hi_u32 s0, s2, s6
	s_addc_u32 s11, s11, s1
	s_add_i32 s0, s0, s7
	s_mul_i32 s1, s3, s6
	s_delay_alu instid0(SALU_CYCLE_1) | instskip(SKIP_1) | instid1(SALU_CYCLE_1)
	s_add_i32 s1, s0, s1
	s_mul_i32 s0, s2, s6
	s_lshl_b64 s[0:1], s[0:1], 4
	s_delay_alu instid0(SALU_CYCLE_1)
	s_add_u32 s4, s4, s0
	s_addc_u32 s5, s5, s1
	s_lshl_b64 s[0:1], s[2:3], 4
	s_mov_b32 s2, 0
	s_add_u32 s6, s8, s0
	s_addc_u32 s7, s9, s1
	s_load_b64 s[8:9], s[10:11], 0x8
	s_load_b64 s[0:1], s[6:7], 0x0
	s_cmp_eq_u64 s[20:21], 0
	s_cselect_b32 s3, -1, 0
	s_cmp_lg_u64 s[20:21], 0
	s_cselect_b32 s12, -1, 0
	s_waitcnt lgkmcnt(0)
	v_mul_f64 v[4:5], s[8:9], s[8:9]
	v_max_f64 v[0:1], s[0:1], s[0:1]
	s_delay_alu instid0(VALU_DEP_1) | instskip(NEXT) | instid1(VALU_DEP_1)
	v_max_f64 v[0:1], v[0:1], v[4:5]
	v_cmp_nlt_f64_e32 vcc_lo, 0, v[0:1]
	s_cbranch_vccz .LBB176_5
; %bb.3:
	v_dual_mov_b32 v0, 0 :: v_dual_mov_b32 v1, 0x3ff00000
	s_mov_b32 s14, 0
	s_and_b32 vcc_lo, exec_lo, s12
	s_delay_alu instid0(VALU_DEP_1)
	v_mov_b32_e32 v2, v0
	v_mov_b32_e32 v3, v0
	global_store_b128 v0, v[0:3], s[6:7]
	v_mov_b32_e32 v1, v0
	global_store_b128 v0, v[0:3], s[4:5]
	s_cbranch_vccz .LBB176_6
; %bb.4:
	global_load_b64 v[0:1], v0, s[10:11]
	s_mov_b32 s13, -1
	s_and_b32 vcc_lo, exec_lo, s14
	s_cbranch_vccnz .LBB176_7
	s_branch .LBB176_8
.LBB176_5:
	s_mov_b32 s14, -1
.LBB176_6:
	s_mov_b32 s13, 0
                                        ; implicit-def: $vgpr0_vgpr1
	s_and_b32 vcc_lo, exec_lo, s14
	s_cbranch_vccz .LBB176_8
.LBB176_7:
	s_load_b64 s[14:15], s[10:11], 0x0
	s_mov_b32 s13, s12
	s_waitcnt vmcnt(0) lgkmcnt(0)
	v_fma_f64 v[0:1], s[14:15], s[14:15], v[4:5]
	s_delay_alu instid0(VALU_DEP_1) | instskip(NEXT) | instid1(VALU_DEP_1)
	v_add_f64 v[0:1], s[0:1], v[0:1]
	v_cmp_gt_f64_e32 vcc_lo, 0x10000000, v[0:1]
	v_cndmask_b32_e64 v2, 0, 1, vcc_lo
	s_and_b32 s0, vcc_lo, exec_lo
	s_cselect_b32 s0, 0xffffff80, 0
	s_delay_alu instid0(VALU_DEP_1) | instskip(NEXT) | instid1(VALU_DEP_1)
	v_lshlrev_b32_e32 v2, 8, v2
	v_ldexp_f64 v[0:1], v[0:1], v2
	s_delay_alu instid0(VALU_DEP_1) | instskip(SKIP_4) | instid1(VALU_DEP_1)
	v_rsq_f64_e32 v[2:3], v[0:1]
	v_cmp_class_f64_e64 vcc_lo, v[0:1], 0x260
	s_waitcnt_depctr 0xfff
	v_mul_f64 v[6:7], v[0:1], v[2:3]
	v_mul_f64 v[2:3], v[2:3], 0.5
	v_fma_f64 v[8:9], -v[2:3], v[6:7], 0.5
	s_delay_alu instid0(VALU_DEP_1) | instskip(SKIP_1) | instid1(VALU_DEP_2)
	v_fma_f64 v[6:7], v[6:7], v[8:9], v[6:7]
	v_fma_f64 v[2:3], v[2:3], v[8:9], v[2:3]
	v_fma_f64 v[8:9], -v[6:7], v[6:7], v[0:1]
	s_delay_alu instid0(VALU_DEP_1) | instskip(NEXT) | instid1(VALU_DEP_1)
	v_fma_f64 v[6:7], v[8:9], v[2:3], v[6:7]
	v_fma_f64 v[8:9], -v[6:7], v[6:7], v[0:1]
	s_delay_alu instid0(VALU_DEP_1) | instskip(NEXT) | instid1(VALU_DEP_1)
	v_fma_f64 v[2:3], v[8:9], v[2:3], v[6:7]
	v_ldexp_f64 v[2:3], v[2:3], s0
	s_delay_alu instid0(VALU_DEP_1) | instskip(SKIP_1) | instid1(VALU_DEP_2)
	v_dual_cndmask_b32 v1, v3, v1 :: v_dual_cndmask_b32 v0, v2, v0
	v_cmp_ge_f64_e64 vcc_lo, s[14:15], 0
	v_xor_b32_e32 v2, 0x80000000, v1
	s_delay_alu instid0(VALU_DEP_1) | instskip(NEXT) | instid1(VALU_DEP_1)
	v_cndmask_b32_e32 v1, v1, v2, vcc_lo
	v_add_f64 v[2:3], s[14:15], -v[0:1]
	v_add_f64 v[6:7], v[0:1], -s[14:15]
	v_div_scale_f64 v[14:15], null, v[0:1], v[0:1], -s[8:9]
	s_delay_alu instid0(VALU_DEP_3) | instskip(NEXT) | instid1(VALU_DEP_3)
	v_fma_f64 v[4:5], v[2:3], v[2:3], v[4:5]
	v_div_scale_f64 v[12:13], null, v[0:1], v[0:1], v[6:7]
	s_delay_alu instid0(VALU_DEP_3) | instskip(NEXT) | instid1(VALU_DEP_2)
	v_rcp_f64_e32 v[22:23], v[14:15]
	v_div_scale_f64 v[8:9], null, v[4:5], v[4:5], v[2:3]
	v_div_scale_f64 v[10:11], null, v[4:5], v[4:5], -s[8:9]
	s_delay_alu instid0(VALU_DEP_3)
	v_rcp_f64_e32 v[20:21], v[12:13]
	s_waitcnt_depctr 0xfff
	v_fma_f64 v[30:31], -v[14:15], v[22:23], 1.0
	v_div_scale_f64 v[32:33], vcc_lo, v[2:3], v[4:5], v[2:3]
	v_rcp_f64_e32 v[16:17], v[8:9]
	v_rcp_f64_e32 v[18:19], v[10:11]
	s_delay_alu instid0(VALU_DEP_2)
	v_fma_f64 v[22:23], v[22:23], v[30:31], v[22:23]
	v_fma_f64 v[28:29], -v[12:13], v[20:21], 1.0
	s_waitcnt_depctr 0xfff
	v_fma_f64 v[24:25], -v[8:9], v[16:17], 1.0
	v_fma_f64 v[26:27], -v[10:11], v[18:19], 1.0
	;; [unrolled: 1-line block ×3, first 2 shown]
	v_fma_f64 v[20:21], v[20:21], v[28:29], v[20:21]
	s_delay_alu instid0(VALU_DEP_4) | instskip(NEXT) | instid1(VALU_DEP_4)
	v_fma_f64 v[16:17], v[16:17], v[24:25], v[16:17]
	v_fma_f64 v[18:19], v[18:19], v[26:27], v[18:19]
	s_delay_alu instid0(VALU_DEP_4) | instskip(NEXT) | instid1(VALU_DEP_4)
	v_fma_f64 v[22:23], v[22:23], v[30:31], v[22:23]
	v_fma_f64 v[28:29], -v[12:13], v[20:21], 1.0
	s_delay_alu instid0(VALU_DEP_4) | instskip(NEXT) | instid1(VALU_DEP_4)
	v_fma_f64 v[24:25], -v[8:9], v[16:17], 1.0
	v_fma_f64 v[26:27], -v[10:11], v[18:19], 1.0
	s_delay_alu instid0(VALU_DEP_3) | instskip(SKIP_1) | instid1(VALU_DEP_4)
	v_fma_f64 v[20:21], v[20:21], v[28:29], v[20:21]
	v_div_scale_f64 v[28:29], s2, -s[8:9], v[0:1], -s[8:9]
	v_fma_f64 v[16:17], v[16:17], v[24:25], v[16:17]
	v_div_scale_f64 v[24:25], s0, -s[8:9], v[4:5], -s[8:9]
	v_fma_f64 v[18:19], v[18:19], v[26:27], v[18:19]
	v_div_scale_f64 v[26:27], s1, v[6:7], v[0:1], v[6:7]
	v_mul_f64 v[38:39], v[28:29], v[22:23]
	v_mul_f64 v[30:31], v[32:33], v[16:17]
	s_delay_alu instid0(VALU_DEP_4) | instskip(NEXT) | instid1(VALU_DEP_4)
	v_mul_f64 v[34:35], v[24:25], v[18:19]
	v_mul_f64 v[36:37], v[26:27], v[20:21]
	s_delay_alu instid0(VALU_DEP_4) | instskip(NEXT) | instid1(VALU_DEP_4)
	v_fma_f64 v[14:15], -v[14:15], v[38:39], v[28:29]
	v_fma_f64 v[8:9], -v[8:9], v[30:31], v[32:33]
	s_delay_alu instid0(VALU_DEP_4) | instskip(NEXT) | instid1(VALU_DEP_4)
	v_fma_f64 v[10:11], -v[10:11], v[34:35], v[24:25]
	v_fma_f64 v[12:13], -v[12:13], v[36:37], v[26:27]
	s_delay_alu instid0(VALU_DEP_3) | instskip(SKIP_1) | instid1(VALU_DEP_3)
	v_div_fmas_f64 v[8:9], v[8:9], v[16:17], v[30:31]
	s_mov_b32 vcc_lo, s0
	v_div_fmas_f64 v[10:11], v[10:11], v[18:19], v[34:35]
	s_mov_b32 vcc_lo, s1
	s_delay_alu instid0(VALU_DEP_3) | instskip(SKIP_3) | instid1(VALU_DEP_4)
	v_div_fmas_f64 v[12:13], v[12:13], v[20:21], v[36:37]
	s_mov_b32 vcc_lo, s2
	s_mov_b32 s2, s3
	v_div_fmas_f64 v[14:15], v[14:15], v[22:23], v[38:39]
	v_div_fixup_f64 v[2:3], v[8:9], v[4:5], v[2:3]
	s_delay_alu instid0(VALU_DEP_4)
	v_div_fixup_f64 v[4:5], v[10:11], v[4:5], -s[8:9]
	v_mov_b32_e32 v10, 0
	v_div_fixup_f64 v[6:7], v[12:13], v[0:1], v[6:7]
	v_div_fixup_f64 v[8:9], v[14:15], v[0:1], -s[8:9]
	s_clause 0x1
	global_store_b128 v10, v[2:5], s[6:7]
	global_store_b128 v10, v[6:9], s[4:5]
.LBB176_8:
	s_and_not1_b32 vcc_lo, exec_lo, s13
	s_cbranch_vccz .LBB176_11
; %bb.9:
	s_and_not1_b32 vcc_lo, exec_lo, s2
	s_cbranch_vccz .LBB176_12
; %bb.10:
	s_endpgm
.LBB176_11:
	v_dual_mov_b32 v2, s20 :: v_dual_mov_b32 v3, s21
	s_waitcnt vmcnt(0)
	flat_store_b64 v[2:3], v[0:1]
	v_mov_b32_e32 v0, 0
	v_mov_b32_e32 v1, 0x3ff00000
.LBB176_12:
	v_mov_b32_e32 v2, 0
	s_delay_alu instid0(VALU_DEP_1)
	v_mov_b32_e32 v3, v2
	s_waitcnt vmcnt(0) lgkmcnt(0)
	global_store_b128 v2, v[0:3], s[10:11]
	s_endpgm
	.section	.rodata,"a",@progbits
	.p2align	6, 0x0
	.amdhsa_kernel _ZN9rocsolver6v33100L11set_taubetaI19rocblas_complex_numIdEidPS3_EEvPT_lS6_T2_llPT1_ll
		.amdhsa_group_segment_fixed_size 0
		.amdhsa_private_segment_fixed_size 0
		.amdhsa_kernarg_size 72
		.amdhsa_user_sgpr_count 15
		.amdhsa_user_sgpr_dispatch_ptr 0
		.amdhsa_user_sgpr_queue_ptr 0
		.amdhsa_user_sgpr_kernarg_segment_ptr 1
		.amdhsa_user_sgpr_dispatch_id 0
		.amdhsa_user_sgpr_private_segment_size 0
		.amdhsa_wavefront_size32 1
		.amdhsa_uses_dynamic_stack 0
		.amdhsa_enable_private_segment 0
		.amdhsa_system_sgpr_workgroup_id_x 1
		.amdhsa_system_sgpr_workgroup_id_y 0
		.amdhsa_system_sgpr_workgroup_id_z 0
		.amdhsa_system_sgpr_workgroup_info 0
		.amdhsa_system_vgpr_workitem_id 0
		.amdhsa_next_free_vgpr 40
		.amdhsa_next_free_sgpr 22
		.amdhsa_reserve_vcc 1
		.amdhsa_float_round_mode_32 0
		.amdhsa_float_round_mode_16_64 0
		.amdhsa_float_denorm_mode_32 3
		.amdhsa_float_denorm_mode_16_64 3
		.amdhsa_dx10_clamp 1
		.amdhsa_ieee_mode 1
		.amdhsa_fp16_overflow 0
		.amdhsa_workgroup_processor_mode 1
		.amdhsa_memory_ordered 1
		.amdhsa_forward_progress 0
		.amdhsa_shared_vgpr_count 0
		.amdhsa_exception_fp_ieee_invalid_op 0
		.amdhsa_exception_fp_denorm_src 0
		.amdhsa_exception_fp_ieee_div_zero 0
		.amdhsa_exception_fp_ieee_overflow 0
		.amdhsa_exception_fp_ieee_underflow 0
		.amdhsa_exception_fp_ieee_inexact 0
		.amdhsa_exception_int_div_zero 0
	.end_amdhsa_kernel
	.section	.text._ZN9rocsolver6v33100L11set_taubetaI19rocblas_complex_numIdEidPS3_EEvPT_lS6_T2_llPT1_ll,"axG",@progbits,_ZN9rocsolver6v33100L11set_taubetaI19rocblas_complex_numIdEidPS3_EEvPT_lS6_T2_llPT1_ll,comdat
.Lfunc_end176:
	.size	_ZN9rocsolver6v33100L11set_taubetaI19rocblas_complex_numIdEidPS3_EEvPT_lS6_T2_llPT1_ll, .Lfunc_end176-_ZN9rocsolver6v33100L11set_taubetaI19rocblas_complex_numIdEidPS3_EEvPT_lS6_T2_llPT1_ll
                                        ; -- End function
	.section	.AMDGPU.csdata,"",@progbits
; Kernel info:
; codeLenInByte = 1156
; NumSgprs: 24
; NumVgprs: 40
; ScratchSize: 0
; MemoryBound: 0
; FloatMode: 240
; IeeeMode: 1
; LDSByteSize: 0 bytes/workgroup (compile time only)
; SGPRBlocks: 2
; VGPRBlocks: 4
; NumSGPRsForWavesPerEU: 24
; NumVGPRsForWavesPerEU: 40
; Occupancy: 16
; WaveLimiterHint : 0
; COMPUTE_PGM_RSRC2:SCRATCH_EN: 0
; COMPUTE_PGM_RSRC2:USER_SGPR: 15
; COMPUTE_PGM_RSRC2:TRAP_HANDLER: 0
; COMPUTE_PGM_RSRC2:TGID_X_EN: 1
; COMPUTE_PGM_RSRC2:TGID_Y_EN: 0
; COMPUTE_PGM_RSRC2:TGID_Z_EN: 0
; COMPUTE_PGM_RSRC2:TIDIG_COMP_CNT: 0
	.section	.text._ZN9rocsolver6v33100L20latrd_dot_scale_axpyILi64E19rocblas_complex_numIdEiPS3_EEvT1_T2_llPT0_llS8_l,"axG",@progbits,_ZN9rocsolver6v33100L20latrd_dot_scale_axpyILi64E19rocblas_complex_numIdEiPS3_EEvT1_T2_llPT0_llS8_l,comdat
	.globl	_ZN9rocsolver6v33100L20latrd_dot_scale_axpyILi64E19rocblas_complex_numIdEiPS3_EEvT1_T2_llPT0_llS8_l ; -- Begin function _ZN9rocsolver6v33100L20latrd_dot_scale_axpyILi64E19rocblas_complex_numIdEiPS3_EEvT1_T2_llPT0_llS8_l
	.p2align	8
	.type	_ZN9rocsolver6v33100L20latrd_dot_scale_axpyILi64E19rocblas_complex_numIdEiPS3_EEvT1_T2_llPT0_llS8_l,@function
_ZN9rocsolver6v33100L20latrd_dot_scale_axpyILi64E19rocblas_complex_numIdEiPS3_EEvT1_T2_llPT0_llS8_l: ; @_ZN9rocsolver6v33100L20latrd_dot_scale_axpyILi64E19rocblas_complex_numIdEiPS3_EEvT1_T2_llPT0_llS8_l
; %bb.0:
	s_clause 0x1
	s_load_b32 s6, s[0:1], 0x0
	s_load_b512 s[16:31], s[0:1], 0x8
	v_mov_b32_e32 v9, 0
	v_dual_mov_b32 v10, 0 :: v_dual_lshlrev_b32 v17, 4, v0
	s_ashr_i32 s13, s15, 31
	s_delay_alu instid0(VALU_DEP_1)
	v_dual_mov_b32 v12, v10 :: v_dual_mov_b32 v11, v9
	s_waitcnt lgkmcnt(0)
	v_cmp_gt_i32_e32 vcc_lo, s6, v0
	s_mul_i32 s7, s20, s13
	s_mul_hi_u32 s9, s20, s15
	s_mul_i32 s8, s21, s15
	s_mul_i32 s2, s20, s15
	;; [unrolled: 1-line block ×3, first 2 shown]
	s_mul_hi_u32 s11, s26, s15
	s_mul_i32 s12, s27, s15
	s_mul_i32 s4, s26, s15
	s_and_saveexec_b32 s14, vcc_lo
	s_cbranch_execz .LBB177_6
; %bb.1:
	s_add_i32 s0, s9, s7
	v_dual_mov_b32 v9, 0 :: v_dual_lshlrev_b32 v18, 4, v0
	s_add_i32 s3, s0, s8
	s_lshl_b64 s[0:1], s[18:19], 4
	s_lshl_b64 s[20:21], s[2:3], 4
	v_dual_mov_b32 v10, 0 :: v_dual_mov_b32 v19, v0
	s_add_u32 s0, s20, s0
	s_addc_u32 s1, s21, s1
	s_add_u32 s0, s16, s0
	s_addc_u32 s1, s17, s1
	v_add_co_u32 v1, s0, s0, v18
	s_add_i32 s3, s11, s10
	v_add_co_ci_u32_e64 v2, null, s1, 0, s0
	s_add_i32 s5, s3, s12
	s_delay_alu instid0(VALU_DEP_2)
	v_add_co_u32 v13, s0, v1, 8
	s_lshl_b64 s[20:21], s[4:5], 4
	s_lshl_b64 s[26:27], s[24:25], 4
	v_add_co_ci_u32_e64 v14, s0, 0, v2, s0
	s_add_u32 s0, s20, s26
	s_addc_u32 s1, s21, s27
	s_add_u32 s0, s22, s0
	s_addc_u32 s1, s23, s1
	v_add_co_u32 v1, s0, s0, v18
	s_delay_alu instid0(VALU_DEP_1) | instskip(SKIP_1) | instid1(VALU_DEP_3)
	v_add_co_ci_u32_e64 v2, null, s1, 0, s0
	v_dual_mov_b32 v12, v10 :: v_dual_mov_b32 v11, v9
	v_add_co_u32 v15, s0, v1, 8
	s_delay_alu instid0(VALU_DEP_1)
	v_add_co_ci_u32_e64 v16, s0, 0, v2, s0
	s_mov_b32 s3, 0
	s_set_inst_prefetch_distance 0x1
	s_branch .LBB177_3
	.p2align	6
.LBB177_2:                              ;   in Loop: Header=BB177_3 Depth=1
	s_or_b32 exec_lo, exec_lo, s1
	s_waitcnt vmcnt(0)
	v_mul_f64 v[20:21], v[3:4], v[7:8]
	v_mul_f64 v[7:8], v[1:2], v[7:8]
	v_add_nc_u32_e32 v19, 64, v19
	v_add_co_u32 v13, s0, 0x400, v13
	s_delay_alu instid0(VALU_DEP_1) | instskip(NEXT) | instid1(VALU_DEP_3)
	v_add_co_ci_u32_e64 v14, s0, 0, v14, s0
	v_cmp_le_i32_e64 s0, s6, v19
	v_add_co_u32 v15, s1, 0x400, v15
	v_add_nc_u32_e32 v18, 0x400, v18
	v_add_co_ci_u32_e64 v16, s1, 0, v16, s1
	s_delay_alu instid0(VALU_DEP_4) | instskip(SKIP_2) | instid1(VALU_DEP_2)
	s_or_b32 s3, s0, s3
	v_fma_f64 v[1:2], v[1:2], v[5:6], v[20:21]
	v_fma_f64 v[3:4], v[3:4], v[5:6], -v[7:8]
	v_add_f64 v[11:12], v[11:12], v[1:2]
	s_delay_alu instid0(VALU_DEP_2)
	v_add_f64 v[9:10], v[9:10], v[3:4]
	s_and_not1_b32 exec_lo, exec_lo, s3
	s_cbranch_execz .LBB177_5
.LBB177_3:                              ; =>This Inner Loop Header: Depth=1
	global_load_b128 v[1:4], v[13:14], off offset:-8
	global_load_b128 v[5:8], v[15:16], off offset:-8
	s_mov_b32 s1, exec_lo
	v_cmpx_gt_u32_e32 64, v19
	s_cbranch_execz .LBB177_2
; %bb.4:                                ;   in Loop: Header=BB177_3 Depth=1
	s_waitcnt vmcnt(1)
	ds_store_b128 v18, v[1:4]
	s_waitcnt vmcnt(0)
	ds_store_b128 v18, v[5:8] offset:1024
	s_branch .LBB177_2
.LBB177_5:
	s_set_inst_prefetch_distance 0x2
	s_or_b32 exec_lo, exec_lo, s3
.LBB177_6:
	s_delay_alu instid0(SALU_CYCLE_1) | instskip(SKIP_2) | instid1(VALU_DEP_1)
	s_or_b32 exec_lo, exec_lo, s14
	v_mbcnt_lo_u32_b32 v13, -1, 0
	s_mov_b32 s1, exec_lo
	v_cmp_ne_u32_e64 s0, 31, v13
	s_delay_alu instid0(VALU_DEP_1) | instskip(SKIP_1) | instid1(VALU_DEP_2)
	v_add_co_ci_u32_e64 v1, s0, 0, v13, s0
	v_cmp_gt_u32_e64 s0, 30, v13
	v_lshlrev_b32_e32 v4, 2, v1
	s_delay_alu instid0(VALU_DEP_2)
	v_cndmask_b32_e64 v5, 0, 1, s0
	v_cmp_gt_u32_e64 s0, 28, v13
	ds_bpermute_b32 v1, v4, v11
	ds_bpermute_b32 v2, v4, v12
	;; [unrolled: 1-line block ×4, first 2 shown]
	v_lshlrev_b32_e32 v5, 1, v5
	s_delay_alu instid0(VALU_DEP_1)
	v_add_lshl_u32 v8, v5, v13, 2
	s_waitcnt lgkmcnt(2)
	v_add_f64 v[1:2], v[11:12], v[1:2]
	s_waitcnt lgkmcnt(0)
	v_add_f64 v[3:4], v[9:10], v[3:4]
	ds_bpermute_b32 v5, v8, v1
	ds_bpermute_b32 v6, v8, v2
	;; [unrolled: 1-line block ×4, first 2 shown]
	s_waitcnt lgkmcnt(2)
	v_add_f64 v[1:2], v[1:2], v[5:6]
	v_cndmask_b32_e64 v5, 0, 1, s0
	s_waitcnt lgkmcnt(0)
	v_add_f64 v[3:4], v[3:4], v[7:8]
	v_cmp_gt_u32_e64 s0, 24, v13
	s_delay_alu instid0(VALU_DEP_3) | instskip(NEXT) | instid1(VALU_DEP_1)
	v_lshlrev_b32_e32 v5, 2, v5
	v_add_lshl_u32 v8, v5, v13, 2
	ds_bpermute_b32 v5, v8, v1
	ds_bpermute_b32 v6, v8, v2
	;; [unrolled: 1-line block ×4, first 2 shown]
	s_waitcnt lgkmcnt(2)
	v_add_f64 v[1:2], v[1:2], v[5:6]
	v_cndmask_b32_e64 v5, 0, 1, s0
	s_waitcnt lgkmcnt(0)
	v_add_f64 v[3:4], v[3:4], v[7:8]
	v_cmp_gt_u32_e64 s0, 16, v13
	s_delay_alu instid0(VALU_DEP_3) | instskip(NEXT) | instid1(VALU_DEP_1)
	v_lshlrev_b32_e32 v5, 3, v5
	v_add_lshl_u32 v8, v5, v13, 2
	ds_bpermute_b32 v5, v8, v1
	ds_bpermute_b32 v6, v8, v2
	;; [unrolled: 1-line block ×4, first 2 shown]
	s_waitcnt lgkmcnt(2)
	v_add_f64 v[1:2], v[1:2], v[5:6]
	v_cndmask_b32_e64 v5, 0, 1, s0
	s_waitcnt lgkmcnt(0)
	v_add_f64 v[3:4], v[3:4], v[7:8]
	s_delay_alu instid0(VALU_DEP_2) | instskip(NEXT) | instid1(VALU_DEP_1)
	v_lshlrev_b32_e32 v5, 4, v5
	v_add_lshl_u32 v8, v5, v13, 2
	ds_bpermute_b32 v5, v8, v1
	ds_bpermute_b32 v6, v8, v2
	;; [unrolled: 1-line block ×4, first 2 shown]
	s_waitcnt lgkmcnt(2)
	v_add_f64 v[1:2], v[1:2], v[5:6]
	v_and_b32_e32 v5, 31, v0
	s_waitcnt lgkmcnt(0)
	v_add_f64 v[3:4], v[3:4], v[7:8]
	s_delay_alu instid0(VALU_DEP_2)
	v_cmpx_eq_u32_e32 0, v5
	s_cbranch_execz .LBB177_8
; %bb.7:
	v_lshrrev_b32_e32 v5, 1, v0
	ds_store_b128 v5, v[1:4] offset:2048
.LBB177_8:
	s_or_b32 exec_lo, exec_lo, s1
	s_delay_alu instid0(SALU_CYCLE_1)
	s_mov_b32 s1, exec_lo
	s_waitcnt lgkmcnt(0)
	s_barrier
	buffer_gl0_inv
	v_cmpx_eq_u32_e32 0, v0
	s_cbranch_execz .LBB177_10
; %bb.9:
	s_mul_i32 s0, s15, s31
	s_mul_hi_u32 s3, s15, s30
	s_mul_i32 s5, s13, s30
	s_add_i32 s0, s3, s0
	s_mul_i32 s20, s15, s30
	s_add_i32 s21, s0, s5
	v_mov_b32_e32 v11, 0
	s_lshl_b64 s[14:15], s[20:21], 4
	s_delay_alu instid0(SALU_CYCLE_1)
	s_add_u32 s14, s28, s14
	s_addc_u32 s15, s29, s15
	ds_load_b128 v[5:8], v11 offset:2064
	s_load_b128 s[28:31], s[14:15], 0x0
	s_waitcnt lgkmcnt(0)
	v_add_f64 v[3:4], v[3:4], v[7:8]
	v_mul_f64 v[7:8], s[30:31], -0.5
	v_add_f64 v[1:2], v[1:2], v[5:6]
	v_mul_f64 v[5:6], s[28:29], -0.5
	s_delay_alu instid0(VALU_DEP_3) | instskip(NEXT) | instid1(VALU_DEP_3)
	v_mul_f64 v[9:10], v[3:4], v[7:8]
	v_mul_f64 v[7:8], v[1:2], v[7:8]
	s_delay_alu instid0(VALU_DEP_2) | instskip(NEXT) | instid1(VALU_DEP_2)
	v_fma_f64 v[1:2], v[1:2], v[5:6], -v[9:10]
	v_fma_f64 v[3:4], v[3:4], v[5:6], v[7:8]
	ds_store_b128 v11, v[1:4] offset:2048
.LBB177_10:
	s_or_b32 exec_lo, exec_lo, s1
	s_waitcnt lgkmcnt(0)
	s_barrier
	buffer_gl0_inv
	s_and_saveexec_b32 s0, vcc_lo
	s_cbranch_execz .LBB177_17
; %bb.11:
	s_add_i32 s0, s11, s10
	v_mov_b32_e32 v1, 0
	s_add_i32 s5, s0, s12
	s_lshl_b64 s[0:1], s[24:25], 4
	s_lshl_b64 s[4:5], s[4:5], 4
	ds_load_b128 v[1:4], v1 offset:2048
	s_add_u32 s0, s4, s0
	s_addc_u32 s1, s5, s1
	s_add_u32 s4, s22, s0
	s_addc_u32 s5, s23, s1
	s_add_i32 s0, s9, s7
	v_add_co_u32 v5, s4, s4, v17
	s_add_i32 s3, s0, s8
	s_lshl_b64 s[0:1], s[18:19], 4
	s_lshl_b64 s[2:3], s[2:3], 4
	v_add_co_ci_u32_e64 v6, null, s5, 0, s4
	s_add_u32 s0, s2, s0
	s_addc_u32 s1, s3, s1
	s_add_u32 s0, s16, s0
	s_addc_u32 s1, s17, s1
	v_add_co_u32 v7, s0, s0, v17
	s_delay_alu instid0(VALU_DEP_1) | instskip(SKIP_2) | instid1(VALU_DEP_4)
	v_add_co_ci_u32_e64 v8, null, s1, 0, s0
	v_add_co_u32 v5, vcc_lo, v5, 8
	v_add_co_ci_u32_e32 v6, vcc_lo, 0, v6, vcc_lo
	v_add_co_u32 v7, vcc_lo, v7, 8
	s_delay_alu instid0(VALU_DEP_4)
	v_add_co_ci_u32_e32 v8, vcc_lo, 0, v8, vcc_lo
	s_mov_b32 s1, 0
	s_branch .LBB177_13
.LBB177_12:                             ;   in Loop: Header=BB177_13 Depth=1
	s_or_b32 exec_lo, exec_lo, s0
	v_add_nc_u32_e32 v0, 64, v0
	v_add_co_u32 v5, vcc_lo, 0x400, v5
	v_add_co_ci_u32_e32 v6, vcc_lo, 0, v6, vcc_lo
	s_delay_alu instid0(VALU_DEP_3) | instskip(SKIP_4) | instid1(SALU_CYCLE_1)
	v_cmp_le_i32_e32 vcc_lo, s6, v0
	v_add_co_u32 v7, s0, 0x400, v7
	v_add_nc_u32_e32 v17, 0x400, v17
	v_add_co_ci_u32_e64 v8, s0, 0, v8, s0
	s_or_b32 s1, vcc_lo, s1
	s_and_not1_b32 exec_lo, exec_lo, s1
	s_cbranch_execz .LBB177_17
.LBB177_13:                             ; =>This Inner Loop Header: Depth=1
	s_mov_b32 s0, exec_lo
	v_cmpx_lt_u32_e32 63, v0
	s_xor_b32 s0, exec_lo, s0
	s_cbranch_execz .LBB177_15
; %bb.14:                               ;   in Loop: Header=BB177_13 Depth=1
	global_load_b128 v[9:12], v[7:8], off offset:-8
	global_load_b128 v[13:16], v[5:6], off offset:-8
	s_waitcnt vmcnt(1) lgkmcnt(0)
	v_mul_f64 v[18:19], v[11:12], v[3:4]
	v_mul_f64 v[20:21], v[9:10], v[3:4]
	s_delay_alu instid0(VALU_DEP_2) | instskip(NEXT) | instid1(VALU_DEP_2)
	v_fma_f64 v[9:10], v[9:10], v[1:2], -v[18:19]
	v_fma_f64 v[11:12], v[11:12], v[1:2], v[20:21]
	s_waitcnt vmcnt(0)
	s_delay_alu instid0(VALU_DEP_2) | instskip(NEXT) | instid1(VALU_DEP_2)
	v_add_f64 v[9:10], v[13:14], v[9:10]
	v_add_f64 v[11:12], v[15:16], v[11:12]
	global_store_b128 v[5:6], v[9:12], off offset:-8
.LBB177_15:                             ;   in Loop: Header=BB177_13 Depth=1
	s_and_not1_saveexec_b32 s0, s0
	s_cbranch_execz .LBB177_12
; %bb.16:                               ;   in Loop: Header=BB177_13 Depth=1
	ds_load_b128 v[9:12], v17
	ds_load_b128 v[13:16], v17 offset:1024
	s_waitcnt lgkmcnt(1)
	v_mul_f64 v[18:19], v[11:12], v[3:4]
	v_mul_f64 v[20:21], v[9:10], v[3:4]
	s_delay_alu instid0(VALU_DEP_2) | instskip(NEXT) | instid1(VALU_DEP_2)
	v_fma_f64 v[9:10], v[9:10], v[1:2], -v[18:19]
	v_fma_f64 v[11:12], v[11:12], v[1:2], v[20:21]
	s_waitcnt lgkmcnt(0)
	s_delay_alu instid0(VALU_DEP_2) | instskip(NEXT) | instid1(VALU_DEP_2)
	v_add_f64 v[9:10], v[13:14], v[9:10]
	v_add_f64 v[11:12], v[15:16], v[11:12]
	global_store_b128 v[5:6], v[9:12], off offset:-8
	s_branch .LBB177_12
.LBB177_17:
	s_nop 0
	s_sendmsg sendmsg(MSG_DEALLOC_VGPRS)
	s_endpgm
	.section	.rodata,"a",@progbits
	.p2align	6, 0x0
	.amdhsa_kernel _ZN9rocsolver6v33100L20latrd_dot_scale_axpyILi64E19rocblas_complex_numIdEiPS3_EEvT1_T2_llPT0_llS8_l
		.amdhsa_group_segment_fixed_size 2080
		.amdhsa_private_segment_fixed_size 0
		.amdhsa_kernarg_size 72
		.amdhsa_user_sgpr_count 14
		.amdhsa_user_sgpr_dispatch_ptr 0
		.amdhsa_user_sgpr_queue_ptr 0
		.amdhsa_user_sgpr_kernarg_segment_ptr 1
		.amdhsa_user_sgpr_dispatch_id 0
		.amdhsa_user_sgpr_private_segment_size 0
		.amdhsa_wavefront_size32 1
		.amdhsa_uses_dynamic_stack 0
		.amdhsa_enable_private_segment 0
		.amdhsa_system_sgpr_workgroup_id_x 1
		.amdhsa_system_sgpr_workgroup_id_y 0
		.amdhsa_system_sgpr_workgroup_id_z 1
		.amdhsa_system_sgpr_workgroup_info 0
		.amdhsa_system_vgpr_workitem_id 0
		.amdhsa_next_free_vgpr 22
		.amdhsa_next_free_sgpr 32
		.amdhsa_reserve_vcc 1
		.amdhsa_float_round_mode_32 0
		.amdhsa_float_round_mode_16_64 0
		.amdhsa_float_denorm_mode_32 3
		.amdhsa_float_denorm_mode_16_64 3
		.amdhsa_dx10_clamp 1
		.amdhsa_ieee_mode 1
		.amdhsa_fp16_overflow 0
		.amdhsa_workgroup_processor_mode 1
		.amdhsa_memory_ordered 1
		.amdhsa_forward_progress 0
		.amdhsa_shared_vgpr_count 0
		.amdhsa_exception_fp_ieee_invalid_op 0
		.amdhsa_exception_fp_denorm_src 0
		.amdhsa_exception_fp_ieee_div_zero 0
		.amdhsa_exception_fp_ieee_overflow 0
		.amdhsa_exception_fp_ieee_underflow 0
		.amdhsa_exception_fp_ieee_inexact 0
		.amdhsa_exception_int_div_zero 0
	.end_amdhsa_kernel
	.section	.text._ZN9rocsolver6v33100L20latrd_dot_scale_axpyILi64E19rocblas_complex_numIdEiPS3_EEvT1_T2_llPT0_llS8_l,"axG",@progbits,_ZN9rocsolver6v33100L20latrd_dot_scale_axpyILi64E19rocblas_complex_numIdEiPS3_EEvT1_T2_llPT0_llS8_l,comdat
.Lfunc_end177:
	.size	_ZN9rocsolver6v33100L20latrd_dot_scale_axpyILi64E19rocblas_complex_numIdEiPS3_EEvT1_T2_llPT0_llS8_l, .Lfunc_end177-_ZN9rocsolver6v33100L20latrd_dot_scale_axpyILi64E19rocblas_complex_numIdEiPS3_EEvT1_T2_llPT0_llS8_l
                                        ; -- End function
	.section	.AMDGPU.csdata,"",@progbits
; Kernel info:
; codeLenInByte = 1604
; NumSgprs: 34
; NumVgprs: 22
; ScratchSize: 0
; MemoryBound: 0
; FloatMode: 240
; IeeeMode: 1
; LDSByteSize: 2080 bytes/workgroup (compile time only)
; SGPRBlocks: 4
; VGPRBlocks: 2
; NumSGPRsForWavesPerEU: 34
; NumVGPRsForWavesPerEU: 22
; Occupancy: 16
; WaveLimiterHint : 0
; COMPUTE_PGM_RSRC2:SCRATCH_EN: 0
; COMPUTE_PGM_RSRC2:USER_SGPR: 14
; COMPUTE_PGM_RSRC2:TRAP_HANDLER: 0
; COMPUTE_PGM_RSRC2:TGID_X_EN: 1
; COMPUTE_PGM_RSRC2:TGID_Y_EN: 0
; COMPUTE_PGM_RSRC2:TGID_Z_EN: 1
; COMPUTE_PGM_RSRC2:TIDIG_COMP_CNT: 0
	.section	.text._ZN9rocsolver6v33100L7set_tauI19rocblas_complex_numIdEEEviPT_S5_l,"axG",@progbits,_ZN9rocsolver6v33100L7set_tauI19rocblas_complex_numIdEEEviPT_S5_l,comdat
	.globl	_ZN9rocsolver6v33100L7set_tauI19rocblas_complex_numIdEEEviPT_S5_l ; -- Begin function _ZN9rocsolver6v33100L7set_tauI19rocblas_complex_numIdEEEviPT_S5_l
	.p2align	8
	.type	_ZN9rocsolver6v33100L7set_tauI19rocblas_complex_numIdEEEviPT_S5_l,@function
_ZN9rocsolver6v33100L7set_tauI19rocblas_complex_numIdEEEviPT_S5_l: ; @_ZN9rocsolver6v33100L7set_tauI19rocblas_complex_numIdEEEviPT_S5_l
; %bb.0:
	s_clause 0x1
	s_load_b32 s2, s[0:1], 0x2c
	s_load_b32 s3, s[0:1], 0x0
	s_waitcnt lgkmcnt(0)
	s_and_b32 s2, s2, 0xffff
	s_delay_alu instid0(SALU_CYCLE_1) | instskip(SKIP_1) | instid1(VALU_DEP_1)
	v_mad_u64_u32 v[1:2], null, s15, s2, v[0:1]
	s_mov_b32 s2, exec_lo
	v_cmpx_gt_i32_e64 s3, v1
	s_cbranch_execz .LBB178_2
; %bb.1:
	s_load_b128 s[4:7], s[0:1], 0x8
	v_ashrrev_i32_e32 v2, 31, v1
	s_load_b64 s[0:1], s[0:1], 0x18
	s_delay_alu instid0(VALU_DEP_1) | instskip(SKIP_1) | instid1(VALU_DEP_1)
	v_lshlrev_b64 v[3:4], 4, v[1:2]
	s_waitcnt lgkmcnt(0)
	v_add_co_u32 v3, vcc_lo, s4, v3
	s_delay_alu instid0(VALU_DEP_2)
	v_add_co_ci_u32_e32 v4, vcc_lo, s5, v4, vcc_lo
	v_mul_lo_u32 v0, v1, s1
	v_mul_lo_u32 v2, v2, s0
	v_mad_u64_u32 v[7:8], null, v1, s0, 0
	global_load_b128 v[3:6], v[3:4], off
	v_add3_u32 v8, v8, v0, v2
	s_delay_alu instid0(VALU_DEP_1) | instskip(NEXT) | instid1(VALU_DEP_1)
	v_lshlrev_b64 v[0:1], 4, v[7:8]
	v_add_co_u32 v0, vcc_lo, s6, v0
	s_delay_alu instid0(VALU_DEP_2)
	v_add_co_ci_u32_e32 v1, vcc_lo, s7, v1, vcc_lo
	s_waitcnt vmcnt(0)
	global_store_b128 v[0:1], v[3:6], off
.LBB178_2:
	s_nop 0
	s_sendmsg sendmsg(MSG_DEALLOC_VGPRS)
	s_endpgm
	.section	.rodata,"a",@progbits
	.p2align	6, 0x0
	.amdhsa_kernel _ZN9rocsolver6v33100L7set_tauI19rocblas_complex_numIdEEEviPT_S5_l
		.amdhsa_group_segment_fixed_size 0
		.amdhsa_private_segment_fixed_size 0
		.amdhsa_kernarg_size 288
		.amdhsa_user_sgpr_count 15
		.amdhsa_user_sgpr_dispatch_ptr 0
		.amdhsa_user_sgpr_queue_ptr 0
		.amdhsa_user_sgpr_kernarg_segment_ptr 1
		.amdhsa_user_sgpr_dispatch_id 0
		.amdhsa_user_sgpr_private_segment_size 0
		.amdhsa_wavefront_size32 1
		.amdhsa_uses_dynamic_stack 0
		.amdhsa_enable_private_segment 0
		.amdhsa_system_sgpr_workgroup_id_x 1
		.amdhsa_system_sgpr_workgroup_id_y 0
		.amdhsa_system_sgpr_workgroup_id_z 0
		.amdhsa_system_sgpr_workgroup_info 0
		.amdhsa_system_vgpr_workitem_id 0
		.amdhsa_next_free_vgpr 9
		.amdhsa_next_free_sgpr 16
		.amdhsa_reserve_vcc 1
		.amdhsa_float_round_mode_32 0
		.amdhsa_float_round_mode_16_64 0
		.amdhsa_float_denorm_mode_32 3
		.amdhsa_float_denorm_mode_16_64 3
		.amdhsa_dx10_clamp 1
		.amdhsa_ieee_mode 1
		.amdhsa_fp16_overflow 0
		.amdhsa_workgroup_processor_mode 1
		.amdhsa_memory_ordered 1
		.amdhsa_forward_progress 0
		.amdhsa_shared_vgpr_count 0
		.amdhsa_exception_fp_ieee_invalid_op 0
		.amdhsa_exception_fp_denorm_src 0
		.amdhsa_exception_fp_ieee_div_zero 0
		.amdhsa_exception_fp_ieee_overflow 0
		.amdhsa_exception_fp_ieee_underflow 0
		.amdhsa_exception_fp_ieee_inexact 0
		.amdhsa_exception_int_div_zero 0
	.end_amdhsa_kernel
	.section	.text._ZN9rocsolver6v33100L7set_tauI19rocblas_complex_numIdEEEviPT_S5_l,"axG",@progbits,_ZN9rocsolver6v33100L7set_tauI19rocblas_complex_numIdEEEviPT_S5_l,comdat
.Lfunc_end178:
	.size	_ZN9rocsolver6v33100L7set_tauI19rocblas_complex_numIdEEEviPT_S5_l, .Lfunc_end178-_ZN9rocsolver6v33100L7set_tauI19rocblas_complex_numIdEEEviPT_S5_l
                                        ; -- End function
	.section	.AMDGPU.csdata,"",@progbits
; Kernel info:
; codeLenInByte = 204
; NumSgprs: 18
; NumVgprs: 9
; ScratchSize: 0
; MemoryBound: 0
; FloatMode: 240
; IeeeMode: 1
; LDSByteSize: 0 bytes/workgroup (compile time only)
; SGPRBlocks: 2
; VGPRBlocks: 1
; NumSGPRsForWavesPerEU: 18
; NumVGPRsForWavesPerEU: 9
; Occupancy: 16
; WaveLimiterHint : 0
; COMPUTE_PGM_RSRC2:SCRATCH_EN: 0
; COMPUTE_PGM_RSRC2:USER_SGPR: 15
; COMPUTE_PGM_RSRC2:TRAP_HANDLER: 0
; COMPUTE_PGM_RSRC2:TGID_X_EN: 1
; COMPUTE_PGM_RSRC2:TGID_Y_EN: 0
; COMPUTE_PGM_RSRC2:TGID_Z_EN: 0
; COMPUTE_PGM_RSRC2:TIDIG_COMP_CNT: 0
	.section	.text._ZN9rocsolver6v33100L24sytd2_upper_kernel_smallILi256E19rocblas_complex_numIdEidPS3_EEvT1_T3_lS5_lPT2_lS8_lPT0_l,"axG",@progbits,_ZN9rocsolver6v33100L24sytd2_upper_kernel_smallILi256E19rocblas_complex_numIdEidPS3_EEvT1_T3_lS5_lPT2_lS8_lPT0_l,comdat
	.globl	_ZN9rocsolver6v33100L24sytd2_upper_kernel_smallILi256E19rocblas_complex_numIdEidPS3_EEvT1_T3_lS5_lPT2_lS8_lPT0_l ; -- Begin function _ZN9rocsolver6v33100L24sytd2_upper_kernel_smallILi256E19rocblas_complex_numIdEidPS3_EEvT1_T3_lS5_lPT2_lS8_lPT0_l
	.p2align	8
	.type	_ZN9rocsolver6v33100L24sytd2_upper_kernel_smallILi256E19rocblas_complex_numIdEidPS3_EEvT1_T3_lS5_lPT2_lS8_lPT0_l,@function
_ZN9rocsolver6v33100L24sytd2_upper_kernel_smallILi256E19rocblas_complex_numIdEidPS3_EEvT1_T3_lS5_lPT2_lS8_lPT0_l: ; @_ZN9rocsolver6v33100L24sytd2_upper_kernel_smallILi256E19rocblas_complex_numIdEidPS3_EEvT1_T3_lS5_lPT2_lS8_lPT0_l
; %bb.0:
	s_clause 0x3
	s_load_b64 s[2:3], s[0:1], 0x20
	s_load_b32 s18, s[0:1], 0x0
	s_load_b128 s[4:7], s[0:1], 0x8
	s_load_b32 s21, s[0:1], 0x18
	s_ashr_i32 s13, s15, 31
	v_and_b32_e32 v5, 0x7f, v0
	v_lshrrev_b32_e32 v15, 7, v0
	s_delay_alu instid0(VALU_DEP_2)
	v_lshlrev_b32_e32 v16, 4, v5
	s_waitcnt lgkmcnt(0)
	s_mul_i32 s3, s15, s3
	s_mul_hi_u32 s8, s15, s2
	s_mul_i32 s9, s13, s2
	s_add_i32 s3, s8, s3
	s_mul_i32 s2, s15, s2
	s_add_i32 s3, s3, s9
	s_delay_alu instid0(SALU_CYCLE_1) | instskip(SKIP_4) | instid1(SALU_CYCLE_1)
	s_lshl_b64 s[8:9], s[2:3], 4
	v_cmp_gt_i32_e64 s2, s18, v5
	s_add_u32 s3, s4, s8
	s_addc_u32 s8, s5, s9
	s_lshl_b64 s[4:5], s[6:7], 4
	s_add_u32 s19, s3, s4
	s_addc_u32 s20, s8, s5
	s_and_saveexec_b32 s4, s2
	s_cbranch_execz .LBB179_6
; %bb.1:
	v_lshrrev_b32_e32 v4, 7, v0
	v_mov_b32_e32 v7, v5
	s_mov_b32 s5, 0
	s_lshl_b32 s6, s18, 5
	s_lshl_b32 s7, s21, 1
	v_mul_lo_u32 v1, s18, v4
	v_cmp_gt_u32_e32 vcc_lo, s18, v4
	s_delay_alu instid0(VALU_DEP_2) | instskip(SKIP_1) | instid1(VALU_DEP_2)
	v_lshl_add_u32 v3, v1, 4, v16
	v_mad_u64_u32 v[1:2], null, s21, v4, v[5:6]
	v_add3_u32 v6, v3, 0, 16
	s_set_inst_prefetch_distance 0x1
	s_branch .LBB179_3
	.p2align	6
.LBB179_2:                              ;   in Loop: Header=BB179_3 Depth=1
	s_or_b32 exec_lo, exec_lo, s8
	v_add_nc_u32_e32 v7, 0x80, v7
	v_add_nc_u32_e32 v6, 0x800, v6
	;; [unrolled: 1-line block ×3, first 2 shown]
	s_delay_alu instid0(VALU_DEP_3) | instskip(NEXT) | instid1(VALU_DEP_1)
	v_cmp_le_i32_e64 s3, s18, v7
	s_or_b32 s5, s3, s5
	s_delay_alu instid0(SALU_CYCLE_1)
	s_and_not1_b32 exec_lo, exec_lo, s5
	s_cbranch_execz .LBB179_6
.LBB179_3:                              ; =>This Loop Header: Depth=1
                                        ;     Child Loop BB179_5 Depth 2
	s_and_saveexec_b32 s8, vcc_lo
	s_cbranch_execz .LBB179_2
; %bb.4:                                ;   in Loop: Header=BB179_3 Depth=1
	s_delay_alu instid0(VALU_DEP_2)
	v_dual_mov_b32 v2, v1 :: v_dual_mov_b32 v9, v4
	v_mov_b32_e32 v8, v6
	s_mov_b32 s9, 0
	.p2align	6
.LBB179_5:                              ;   Parent Loop BB179_3 Depth=1
                                        ; =>  This Inner Loop Header: Depth=2
	s_delay_alu instid0(VALU_DEP_2) | instskip(NEXT) | instid1(VALU_DEP_3)
	v_ashrrev_i32_e32 v3, 31, v2
	v_add_nc_u32_e32 v9, 2, v9
	s_delay_alu instid0(VALU_DEP_2) | instskip(SKIP_1) | instid1(VALU_DEP_2)
	v_lshlrev_b64 v[10:11], 4, v[2:3]
	v_add_nc_u32_e32 v2, s7, v2
	v_add_co_u32 v10, s3, s19, v10
	s_delay_alu instid0(VALU_DEP_1)
	v_add_co_ci_u32_e64 v11, s3, s20, v11, s3
	v_cmp_le_i32_e64 s3, s18, v9
	global_load_b128 v[10:13], v[10:11], off
	s_or_b32 s9, s3, s9
	s_waitcnt vmcnt(0)
	ds_store_2addr_b64 v8, v[10:11], v[12:13] offset1:1
	v_add_nc_u32_e32 v8, s6, v8
	s_and_not1_b32 exec_lo, exec_lo, s9
	s_cbranch_execnz .LBB179_5
	s_branch .LBB179_2
.LBB179_6:
	s_set_inst_prefetch_distance 0x2
	s_or_b32 exec_lo, exec_lo, s4
	s_waitcnt lgkmcnt(0)
	s_barrier
	buffer_gl0_inv
	s_and_saveexec_b32 s4, s2
	s_cbranch_execz .LBB179_16
; %bb.7:
	v_lshrrev_b32_e32 v3, 7, v0
	v_mul_lo_u32 v1, s18, v5
	v_mov_b32_e32 v7, v5
	s_mov_b32 s5, 0
	s_lshl_b32 s6, s18, 11
	v_mul_lo_u32 v2, s18, v3
	v_lshlrev_b32_e32 v4, 4, v3
	v_cmp_gt_u32_e32 vcc_lo, s18, v3
	s_lshl_b32 s7, s18, 5
	s_delay_alu instid0(VALU_DEP_2) | instskip(SKIP_2) | instid1(VALU_DEP_3)
	v_lshl_add_u32 v4, v1, 4, v4
	v_mov_b32_e32 v1, 0
	v_lshl_add_u32 v2, v2, 4, v16
	v_add3_u32 v4, v4, 0, 16
	s_delay_alu instid0(VALU_DEP_2)
	v_add3_u32 v6, v2, 0, 16
	s_branch .LBB179_9
.LBB179_8:                              ;   in Loop: Header=BB179_9 Depth=1
	s_set_inst_prefetch_distance 0x2
	s_or_b32 exec_lo, exec_lo, s8
	v_add_nc_u32_e32 v7, 0x80, v7
	v_add_nc_u32_e32 v4, s6, v4
	;; [unrolled: 1-line block ×3, first 2 shown]
	s_delay_alu instid0(VALU_DEP_3) | instskip(NEXT) | instid1(VALU_DEP_1)
	v_cmp_le_i32_e64 s3, s18, v7
	s_or_b32 s5, s3, s5
	s_delay_alu instid0(SALU_CYCLE_1)
	s_and_not1_b32 exec_lo, exec_lo, s5
	s_cbranch_execz .LBB179_16
.LBB179_9:                              ; =>This Loop Header: Depth=1
                                        ;     Child Loop BB179_12 Depth 2
	s_and_saveexec_b32 s8, vcc_lo
	s_cbranch_execz .LBB179_8
; %bb.10:                               ;   in Loop: Header=BB179_9 Depth=1
	v_mul_lo_u32 v2, v7, s18
	v_lshl_add_u32 v10, v7, 4, 0
	v_dual_mov_b32 v8, v6 :: v_dual_mov_b32 v11, v3
	s_mov_b32 s9, 0
	s_delay_alu instid0(VALU_DEP_3) | instskip(NEXT) | instid1(VALU_DEP_1)
	v_dual_mov_b32 v9, v4 :: v_dual_lshlrev_b32 v2, 4, v2
	v_add3_u32 v10, v10, v2, 8
	s_set_inst_prefetch_distance 0x1
	s_branch .LBB179_12
	.p2align	6
.LBB179_11:                             ;   in Loop: Header=BB179_12 Depth=2
	s_or_b32 exec_lo, exec_lo, s10
	v_add_nc_u32_e32 v11, 2, v11
	v_add_nc_u32_e32 v9, 32, v9
	v_add_nc_u32_e32 v8, s7, v8
	s_delay_alu instid0(VALU_DEP_3) | instskip(NEXT) | instid1(VALU_DEP_1)
	v_cmp_le_i32_e64 s3, s18, v11
	s_or_b32 s9, s3, s9
	s_delay_alu instid0(SALU_CYCLE_1)
	s_and_not1_b32 exec_lo, exec_lo, s9
	s_cbranch_execz .LBB179_8
.LBB179_12:                             ;   Parent Loop BB179_9 Depth=1
                                        ; =>  This Inner Loop Header: Depth=2
	s_mov_b32 s10, exec_lo
	v_cmpx_eq_u32_e64 v7, v11
	s_cbranch_execz .LBB179_14
; %bb.13:                               ;   in Loop: Header=BB179_12 Depth=2
	v_mov_b32_e32 v2, v1
	ds_store_b64 v10, v[1:2] offset:16
.LBB179_14:                             ;   in Loop: Header=BB179_12 Depth=2
	s_or_b32 exec_lo, exec_lo, s10
	s_delay_alu instid0(SALU_CYCLE_1)
	s_mov_b32 s10, exec_lo
	v_cmpx_gt_u32_e64 v7, v11
	s_cbranch_execz .LBB179_11
; %bb.15:                               ;   in Loop: Header=BB179_12 Depth=2
	ds_load_2addr_b64 v[17:20], v9 offset1:1
	s_waitcnt lgkmcnt(0)
	v_xor_b32_e32 v20, 0x80000000, v20
	ds_store_2addr_b64 v8, v[17:18], v[19:20] offset1:1
	s_branch .LBB179_11
.LBB179_16:
	s_or_b32 exec_lo, exec_lo, s4
	s_cmp_lt_i32 s18, 2
	s_waitcnt lgkmcnt(0)
	s_barrier
	buffer_gl0_inv
	s_cbranch_scc1 .LBB179_67
; %bb.17:
	s_load_b256 s[4:11], s[0:1], 0x38
	v_mbcnt_lo_u32_b32 v1, -1, 0
	s_mul_i32 s3, s18, s18
	s_mov_b32 s12, 0
	s_mov_b32 s34, s18
	s_delay_alu instid0(VALU_DEP_1) | instskip(SKIP_2) | instid1(VALU_DEP_2)
	v_cmp_ne_u32_e32 vcc_lo, 31, v1
	v_add_co_ci_u32_e32 v2, vcc_lo, 0, v1, vcc_lo
	v_cmp_gt_u32_e32 vcc_lo, 30, v1
	v_lshlrev_b32_e32 v17, 2, v2
	v_cndmask_b32_e64 v3, 0, 1, vcc_lo
	v_cmp_gt_u32_e32 vcc_lo, 28, v1
	s_waitcnt lgkmcnt(0)
	s_mul_i32 s1, s15, s7
	s_mul_hi_u32 s7, s15, s6
	s_mul_i32 s14, s13, s6
	s_add_i32 s1, s7, s1
	s_mul_i32 s0, s15, s6
	s_add_i32 s1, s1, s14
	s_mul_i32 s6, s15, s11
	s_lshl_b64 s[0:1], s[0:1], 3
	s_mul_hi_u32 s7, s15, s10
	s_add_u32 s22, s4, s0
	s_mul_i32 s11, s13, s10
	s_addc_u32 s23, s5, s1
	s_add_i32 s1, s7, s6
	v_cndmask_b32_e64 v4, 0, 1, vcc_lo
	v_cmp_gt_u32_e32 vcc_lo, 24, v1
	s_mul_i32 s0, s15, s10
	s_add_i32 s1, s1, s11
	v_lshlrev_b32_e32 v2, 1, v3
	s_lshl_b64 s[0:1], s[0:1], 4
	v_cndmask_b32_e64 v6, 0, 1, vcc_lo
	v_cmp_gt_u32_e32 vcc_lo, 16, v1
	s_add_u32 s24, s8, s0
	s_addc_u32 s25, s9, s1
	s_lshl_b32 s0, s3, 4
	s_lshl_b32 s26, s18, 4
	s_add_i32 s0, s0, 0
	v_cndmask_b32_e64 v7, 0, 1, vcc_lo
	s_add_i32 s31, s0, s26
	s_add_i32 s27, s0, 16
	s_add_i32 s28, s31, s26
	v_lshlrev_b32_e32 v3, 2, v4
	v_add_lshl_u32 v18, v2, v1, 2
	s_cmp_eq_u64 s[4:5], 0
	v_lshlrev_b32_e32 v2, 4, v0
	v_lshlrev_b32_e32 v4, 3, v6
	;; [unrolled: 1-line block ×3, first 2 shown]
	s_cselect_b32 s29, -1, 0
	s_cmp_lg_u64 s[4:5], 0
	v_add_lshl_u32 v19, v3, v1, 2
	s_cselect_b32 s30, -1, 0
	s_add_i32 s3, s18, -1
	v_add_nc_u32_e32 v3, 16, v2
	s_mul_i32 s3, s18, s3
	v_and_b32_e32 v7, 31, v0
	v_add_lshl_u32 v20, v4, v1, 2
	v_add_lshl_u32 v21, v6, v1, 2
	v_mov_b32_e32 v6, 0
	v_lshrrev_b32_e32 v1, 1, v0
	s_lshl_b32 s3, s3, 4
	s_add_i32 s4, s26, 16
	v_add3_u32 v23, 0, s3, v3
	s_mul_i32 s3, s18, s4
	v_cmp_eq_u32_e64 s0, 0, v7
	v_cmp_eq_u32_e64 s1, 0, v0
	v_add_nc_u32_e32 v22, s27, v2
	v_add_nc_u32_e32 v24, 0, v3
	v_add3_u32 v25, 0, s3, v3
	v_add_nc_u32_e32 v26, s28, v1
	s_add_i32 s31, s31, 16
	s_sub_i32 s33, 0, s26
	s_branch .LBB179_19
.LBB179_18:                             ;   in Loop: Header=BB179_19 Depth=1
	s_or_b32 exec_lo, exec_lo, s4
	v_add_nc_u32_e32 v23, s33, v23
	s_cmp_lt_i32 s34, 3
	s_mov_b32 s34, s35
	s_waitcnt lgkmcnt(0)
	s_barrier
	buffer_gl0_inv
	s_cbranch_scc1 .LBB179_67
.LBB179_19:                             ; =>This Loop Header: Depth=1
                                        ;     Child Loop BB179_21 Depth 2
                                        ;     Child Loop BB179_24 Depth 2
	;; [unrolled: 1-line block ×4, first 2 shown]
                                        ;       Child Loop BB179_47 Depth 3
                                        ;     Child Loop BB179_50 Depth 2
                                        ;     Child Loop BB179_53 Depth 2
	;; [unrolled: 1-line block ×4, first 2 shown]
                                        ;       Child Loop BB179_65 Depth 3
	s_add_i32 s35, s34, -1
	s_delay_alu instid0(SALU_CYCLE_1) | instskip(NEXT) | instid1(VALU_DEP_1)
	v_cmp_gt_i32_e64 s3, s35, v0
	s_and_saveexec_b32 s4, s3
	s_cbranch_execz .LBB179_22
; %bb.20:                               ;   in Loop: Header=BB179_19 Depth=1
	v_dual_mov_b32 v1, v23 :: v_dual_mov_b32 v2, v22
	v_mov_b32_e32 v3, v0
	s_mov_b32 s5, 0
.LBB179_21:                             ;   Parent Loop BB179_19 Depth=1
                                        ; =>  This Inner Loop Header: Depth=2
	ds_load_2addr_b64 v[7:10], v1 offset1:1
	v_add_nc_u32_e32 v3, 0x100, v3
	v_add_nc_u32_e32 v1, 0x1000, v1
	s_delay_alu instid0(VALU_DEP_2)
	v_cmp_le_i32_e32 vcc_lo, s35, v3
	s_or_b32 s5, vcc_lo, s5
	s_waitcnt lgkmcnt(0)
	ds_store_2addr_b64 v2, v[7:8], v[9:10] offset1:1
	v_add_nc_u32_e32 v2, 0x1000, v2
	s_and_not1_b32 exec_lo, exec_lo, s5
	s_cbranch_execnz .LBB179_21
.LBB179_22:                             ;   in Loop: Header=BB179_19 Depth=1
	s_or_b32 exec_lo, exec_lo, s4
	v_mov_b32_e32 v1, 0
	v_mov_b32_e32 v2, 0
	s_add_i32 s8, s34, -2
	s_waitcnt lgkmcnt(0)
	v_cmp_gt_i32_e64 s4, s8, v0
	s_barrier
	v_dual_mov_b32 v4, v2 :: v_dual_mov_b32 v3, v1
	buffer_gl0_inv
	s_and_saveexec_b32 s5, s4
	s_cbranch_execz .LBB179_26
; %bb.23:                               ;   in Loop: Header=BB179_19 Depth=1
	v_dual_mov_b32 v1, 0 :: v_dual_mov_b32 v8, v0
	v_dual_mov_b32 v2, 0 :: v_dual_mov_b32 v7, v22
	s_mov_b32 s6, 0
	s_delay_alu instid0(VALU_DEP_1)
	v_dual_mov_b32 v4, v2 :: v_dual_mov_b32 v3, v1
	.p2align	6
.LBB179_24:                             ;   Parent Loop BB179_19 Depth=1
                                        ; =>  This Inner Loop Header: Depth=2
	ds_load_2addr_b64 v[9:12], v7 offset1:1
	v_add_nc_u32_e32 v8, 0x100, v8
	v_add_nc_u32_e32 v7, 0x1000, v7
	s_delay_alu instid0(VALU_DEP_2) | instskip(SKIP_4) | instid1(VALU_DEP_2)
	v_cmp_le_i32_e32 vcc_lo, s8, v8
	s_or_b32 s6, vcc_lo, s6
	s_waitcnt lgkmcnt(0)
	v_mul_f64 v[13:14], v[11:12], v[11:12]
	v_mul_f64 v[27:28], v[9:10], v[11:12]
	v_fma_f64 v[13:14], v[9:10], v[9:10], v[13:14]
	s_delay_alu instid0(VALU_DEP_2) | instskip(NEXT) | instid1(VALU_DEP_2)
	v_fma_f64 v[9:10], v[9:10], v[11:12], -v[27:28]
	v_add_f64 v[3:4], v[3:4], v[13:14]
	s_delay_alu instid0(VALU_DEP_2)
	v_add_f64 v[1:2], v[1:2], v[9:10]
	s_and_not1_b32 exec_lo, exec_lo, s6
	s_cbranch_execnz .LBB179_24
; %bb.25:                               ;   in Loop: Header=BB179_19 Depth=1
	s_or_b32 exec_lo, exec_lo, s6
.LBB179_26:                             ;   in Loop: Header=BB179_19 Depth=1
	s_delay_alu instid0(SALU_CYCLE_1)
	s_or_b32 exec_lo, exec_lo, s5
	ds_bpermute_b32 v7, v17, v3
	ds_bpermute_b32 v8, v17, v4
	s_waitcnt lgkmcnt(0)
	v_add_f64 v[3:4], v[3:4], v[7:8]
	ds_bpermute_b32 v7, v17, v1
	ds_bpermute_b32 v8, v17, v2
	s_waitcnt lgkmcnt(0)
	v_add_f64 v[1:2], v[1:2], v[7:8]
	;; [unrolled: 4-line block ×9, first 2 shown]
	ds_bpermute_b32 v7, v21, v3
	ds_bpermute_b32 v8, v21, v4
	s_and_saveexec_b32 s5, s0
	s_cbranch_execz .LBB179_28
; %bb.27:                               ;   in Loop: Header=BB179_19 Depth=1
	s_waitcnt lgkmcnt(0)
	v_add_f64 v[3:4], v[3:4], v[7:8]
	ds_store_2addr_b64 v26, v[1:2], v[3:4] offset0:2 offset1:3
.LBB179_28:                             ;   in Loop: Header=BB179_19 Depth=1
	s_or_b32 exec_lo, exec_lo, s5
	s_waitcnt lgkmcnt(0)
	s_barrier
	buffer_gl0_inv
	s_and_saveexec_b32 s36, s1
	s_cbranch_execz .LBB179_41
; %bb.29:                               ;   in Loop: Header=BB179_19 Depth=1
	v_mov_b32_e32 v11, s28
	s_lshl_b32 s5, s8, 4
	s_mov_b32 s9, 0
	s_add_i32 s37, s27, s5
	s_mov_b32 s13, s9
	ds_load_2addr_b64 v[7:10], v11 offset0:4 offset1:6
	s_mov_b32 s5, exec_lo
                                        ; implicit-def: $sgpr10_sgpr11
                                        ; implicit-def: $sgpr14_sgpr15
                                        ; implicit-def: $sgpr6_sgpr7
                                        ; implicit-def: $sgpr16_sgpr17
	s_waitcnt lgkmcnt(0)
	v_add_f64 v[1:2], v[1:2], v[7:8]
	s_delay_alu instid0(VALU_DEP_1) | instskip(SKIP_3) | instid1(VALU_DEP_1)
	v_add_f64 v[7:8], v[1:2], v[9:10]
	ds_load_2addr_b64 v[1:4], v11 offset0:8 offset1:10
	s_waitcnt lgkmcnt(0)
	v_add_f64 v[1:2], v[7:8], v[1:2]
	v_add_f64 v[7:8], v[1:2], v[3:4]
	ds_load_2addr_b64 v[1:4], v11 offset0:12 offset1:14
	s_waitcnt lgkmcnt(0)
	v_add_f64 v[1:2], v[7:8], v[1:2]
	v_mov_b32_e32 v7, s37
	s_delay_alu instid0(VALU_DEP_2)
	v_add_f64 v[1:2], v[1:2], v[3:4]
	ds_load_b64 v[3:4], v11 offset:128
	ds_load_b64 v[7:8], v7 offset:8
	s_waitcnt lgkmcnt(0)
	v_mul_f64 v[11:12], v[7:8], v[7:8]
	v_add_f64 v[13:14], v[1:2], v[3:4]
	s_delay_alu instid0(VALU_DEP_1) | instskip(NEXT) | instid1(VALU_DEP_1)
	v_max_f64 v[1:2], v[13:14], v[11:12]
	v_cmpx_nlt_f64_e32 0, v[1:2]
	s_xor_b32 s5, exec_lo, s5
                                        ; implicit-def: $vgpr1_vgpr2_vgpr3_vgpr4
	s_cbranch_execz .LBB179_34
; %bb.30:                               ;   in Loop: Header=BB179_19 Depth=1
	s_mov_b32 s13, s12
	s_mov_b32 s6, s12
	;; [unrolled: 1-line block ×3, first 2 shown]
	v_dual_mov_b32 v1, s12 :: v_dual_mov_b32 v2, s13
	v_dual_mov_b32 v3, s6 :: v_dual_mov_b32 v4, s7
	s_and_b32 vcc_lo, exec_lo, s30
	ds_store_2addr_b64 v6, v[1:2], v[3:4] offset1:1
	s_cbranch_vccz .LBB179_32
; %bb.31:                               ;   in Loop: Header=BB179_19 Depth=1
	v_mov_b32_e32 v1, s37
	s_mov_b32 s13, -1
	s_mov_b64 s[16:17], 1.0
	s_mov_b64 s[6:7], 0
	ds_load_b64 v[1:2], v1
	s_branch .LBB179_33
.LBB179_32:                             ;   in Loop: Header=BB179_19 Depth=1
	s_mov_b32 s13, 0
                                        ; implicit-def: $sgpr6_sgpr7
                                        ; implicit-def: $sgpr16_sgpr17
                                        ; implicit-def: $vgpr1_vgpr2_vgpr3_vgpr4
.LBB179_33:                             ;   in Loop: Header=BB179_19 Depth=1
	s_mov_b64 s[14:15], 1.0
	s_mov_b64 s[10:11], 0
	s_and_b32 s13, s13, exec_lo
                                        ; implicit-def: $vgpr11_vgpr12
                                        ; implicit-def: $vgpr13_vgpr14
                                        ; implicit-def: $vgpr7_vgpr8
.LBB179_34:                             ;   in Loop: Header=BB179_19 Depth=1
	s_or_saveexec_b32 s38, s5
	v_dual_mov_b32 v10, s7 :: v_dual_mov_b32 v9, s6
	v_dual_mov_b32 v3, s16 :: v_dual_mov_b32 v4, s17
	s_mov_b32 s5, 0
	s_xor_b32 exec_lo, exec_lo, s38
	s_cbranch_execz .LBB179_36
; %bb.35:                               ;   in Loop: Header=BB179_19 Depth=1
	s_waitcnt lgkmcnt(0)
	v_mov_b32_e32 v1, s37
	ds_load_b64 v[3:4], v1
	s_waitcnt lgkmcnt(0)
	v_fma_f64 v[1:2], v[3:4], v[3:4], v[11:12]
	s_delay_alu instid0(VALU_DEP_1) | instskip(NEXT) | instid1(VALU_DEP_1)
	v_add_f64 v[1:2], v[13:14], v[1:2]
	v_cmp_gt_f64_e32 vcc_lo, 0x10000000, v[1:2]
	v_cndmask_b32_e64 v9, 0, 1, vcc_lo
	s_delay_alu instid0(VALU_DEP_1) | instskip(NEXT) | instid1(VALU_DEP_1)
	v_lshlrev_b32_e32 v9, 8, v9
	v_ldexp_f64 v[1:2], v[1:2], v9
	s_delay_alu instid0(VALU_DEP_1) | instskip(SKIP_3) | instid1(VALU_DEP_1)
	v_rsq_f64_e32 v[9:10], v[1:2]
	s_waitcnt_depctr 0xfff
	v_mul_f64 v[13:14], v[1:2], v[9:10]
	v_mul_f64 v[9:10], v[9:10], 0.5
	v_fma_f64 v[27:28], -v[9:10], v[13:14], 0.5
	s_delay_alu instid0(VALU_DEP_1) | instskip(SKIP_1) | instid1(VALU_DEP_2)
	v_fma_f64 v[13:14], v[13:14], v[27:28], v[13:14]
	v_fma_f64 v[9:10], v[9:10], v[27:28], v[9:10]
	v_fma_f64 v[27:28], -v[13:14], v[13:14], v[1:2]
	s_delay_alu instid0(VALU_DEP_1) | instskip(NEXT) | instid1(VALU_DEP_1)
	v_fma_f64 v[13:14], v[27:28], v[9:10], v[13:14]
	v_fma_f64 v[27:28], -v[13:14], v[13:14], v[1:2]
	s_delay_alu instid0(VALU_DEP_1) | instskip(SKIP_2) | instid1(VALU_DEP_2)
	v_fma_f64 v[9:10], v[27:28], v[9:10], v[13:14]
	v_cndmask_b32_e64 v13, 0, 0xffffff80, vcc_lo
	v_cmp_class_f64_e64 vcc_lo, v[1:2], 0x260
	v_ldexp_f64 v[9:10], v[9:10], v13
	s_delay_alu instid0(VALU_DEP_1) | instskip(SKIP_1) | instid1(VALU_DEP_2)
	v_dual_cndmask_b32 v2, v10, v2 :: v_dual_cndmask_b32 v1, v9, v1
	v_cmp_le_f64_e32 vcc_lo, 0, v[3:4]
	v_xor_b32_e32 v9, 0x80000000, v2
	s_delay_alu instid0(VALU_DEP_1) | instskip(NEXT) | instid1(VALU_DEP_1)
	v_cndmask_b32_e32 v2, v2, v9, vcc_lo
	v_add_f64 v[9:10], v[3:4], -v[1:2]
	v_add_f64 v[13:14], v[1:2], -v[3:4]
	v_div_scale_f64 v[31:32], null, v[1:2], v[1:2], -v[7:8]
	s_delay_alu instid0(VALU_DEP_3) | instskip(NEXT) | instid1(VALU_DEP_3)
	v_fma_f64 v[11:12], v[9:10], v[9:10], v[11:12]
	v_div_scale_f64 v[29:30], null, v[1:2], v[1:2], v[13:14]
	s_delay_alu instid0(VALU_DEP_3) | instskip(NEXT) | instid1(VALU_DEP_2)
	v_rcp_f64_e32 v[39:40], v[31:32]
	v_div_scale_f64 v[3:4], null, v[11:12], v[11:12], v[9:10]
	v_div_scale_f64 v[27:28], null, v[11:12], v[11:12], -v[7:8]
	s_delay_alu instid0(VALU_DEP_3)
	v_rcp_f64_e32 v[37:38], v[29:30]
	s_waitcnt_depctr 0xfff
	v_fma_f64 v[47:48], -v[31:32], v[39:40], 1.0
	v_div_scale_f64 v[49:50], vcc_lo, v[9:10], v[11:12], v[9:10]
	v_rcp_f64_e32 v[33:34], v[3:4]
	v_rcp_f64_e32 v[35:36], v[27:28]
	s_delay_alu instid0(VALU_DEP_2)
	v_fma_f64 v[39:40], v[39:40], v[47:48], v[39:40]
	v_fma_f64 v[45:46], -v[29:30], v[37:38], 1.0
	s_waitcnt_depctr 0xfff
	v_fma_f64 v[41:42], -v[3:4], v[33:34], 1.0
	v_fma_f64 v[43:44], -v[27:28], v[35:36], 1.0
	;; [unrolled: 1-line block ×3, first 2 shown]
	v_fma_f64 v[37:38], v[37:38], v[45:46], v[37:38]
	s_delay_alu instid0(VALU_DEP_4) | instskip(NEXT) | instid1(VALU_DEP_4)
	v_fma_f64 v[33:34], v[33:34], v[41:42], v[33:34]
	v_fma_f64 v[35:36], v[35:36], v[43:44], v[35:36]
	s_delay_alu instid0(VALU_DEP_4) | instskip(NEXT) | instid1(VALU_DEP_4)
	v_fma_f64 v[39:40], v[39:40], v[47:48], v[39:40]
	v_fma_f64 v[45:46], -v[29:30], v[37:38], 1.0
	s_delay_alu instid0(VALU_DEP_4) | instskip(NEXT) | instid1(VALU_DEP_4)
	v_fma_f64 v[41:42], -v[3:4], v[33:34], 1.0
	v_fma_f64 v[43:44], -v[27:28], v[35:36], 1.0
	s_delay_alu instid0(VALU_DEP_3) | instskip(SKIP_1) | instid1(VALU_DEP_4)
	v_fma_f64 v[37:38], v[37:38], v[45:46], v[37:38]
	v_div_scale_f64 v[45:46], s7, -v[7:8], v[1:2], -v[7:8]
	v_fma_f64 v[33:34], v[33:34], v[41:42], v[33:34]
	v_div_scale_f64 v[41:42], s5, -v[7:8], v[11:12], -v[7:8]
	v_fma_f64 v[35:36], v[35:36], v[43:44], v[35:36]
	v_div_scale_f64 v[43:44], s6, v[13:14], v[1:2], v[13:14]
	v_mul_f64 v[55:56], v[45:46], v[39:40]
	v_mul_f64 v[47:48], v[49:50], v[33:34]
	s_delay_alu instid0(VALU_DEP_4) | instskip(NEXT) | instid1(VALU_DEP_4)
	v_mul_f64 v[51:52], v[41:42], v[35:36]
	v_mul_f64 v[53:54], v[43:44], v[37:38]
	s_delay_alu instid0(VALU_DEP_4) | instskip(NEXT) | instid1(VALU_DEP_4)
	v_fma_f64 v[31:32], -v[31:32], v[55:56], v[45:46]
	v_fma_f64 v[3:4], -v[3:4], v[47:48], v[49:50]
	s_delay_alu instid0(VALU_DEP_4) | instskip(NEXT) | instid1(VALU_DEP_4)
	v_fma_f64 v[27:28], -v[27:28], v[51:52], v[41:42]
	v_fma_f64 v[29:30], -v[29:30], v[53:54], v[43:44]
	s_delay_alu instid0(VALU_DEP_3) | instskip(SKIP_2) | instid1(VALU_DEP_3)
	v_div_fmas_f64 v[3:4], v[3:4], v[33:34], v[47:48]
	s_mov_b32 vcc_lo, s5
	s_and_b32 s5, s29, exec_lo
	v_div_fmas_f64 v[27:28], v[27:28], v[35:36], v[51:52]
	s_mov_b32 vcc_lo, s6
	s_and_not1_b32 s6, s13, exec_lo
	s_delay_alu instid0(VALU_DEP_3) | instskip(SKIP_4) | instid1(VALU_DEP_4)
	v_div_fmas_f64 v[29:30], v[29:30], v[37:38], v[53:54]
	s_mov_b32 vcc_lo, s7
	s_and_b32 s7, s30, exec_lo
	v_div_fmas_f64 v[31:32], v[31:32], v[39:40], v[55:56]
	s_or_b32 s13, s6, s7
	v_div_fixup_f64 v[3:4], v[3:4], v[11:12], v[9:10]
	s_delay_alu instid0(VALU_DEP_4) | instskip(NEXT) | instid1(VALU_DEP_4)
	v_div_fixup_f64 v[9:10], v[27:28], v[11:12], -v[7:8]
	v_div_fixup_f64 v[13:14], v[29:30], v[1:2], v[13:14]
	s_delay_alu instid0(VALU_DEP_4)
	v_div_fixup_f64 v[29:30], v[31:32], v[1:2], -v[7:8]
	ds_store_2addr_b64 v6, v[13:14], v[29:30] offset1:1
.LBB179_36:                             ;   in Loop: Header=BB179_19 Depth=1
	s_or_b32 exec_lo, exec_lo, s38
	s_and_saveexec_b32 s6, s13
	s_cbranch_execz .LBB179_38
; %bb.37:                               ;   in Loop: Header=BB179_19 Depth=1
	s_lshl_b64 s[16:17], s[8:9], 3
	s_delay_alu instid0(SALU_CYCLE_1)
	s_add_u32 s16, s22, s16
	s_addc_u32 s17, s23, s17
	s_or_b32 s5, s5, exec_lo
	s_waitcnt lgkmcnt(0)
	global_store_b64 v6, v[1:2], s[16:17]
	v_mov_b32_e32 v1, 0
	v_mov_b32_e32 v2, 0x3ff00000
.LBB179_38:                             ;   in Loop: Header=BB179_19 Depth=1
	s_or_b32 exec_lo, exec_lo, s6
	v_dual_mov_b32 v11, s14 :: v_dual_mov_b32 v12, s15
	v_dual_mov_b32 v14, s11 :: v_dual_mov_b32 v13, s10
	s_and_saveexec_b32 s6, s5
	s_cbranch_execz .LBB179_40
; %bb.39:                               ;   in Loop: Header=BB179_19 Depth=1
	v_dual_mov_b32 v7, v6 :: v_dual_mov_b32 v8, s37
	v_dual_mov_b32 v12, v4 :: v_dual_mov_b32 v11, v3
	v_dual_mov_b32 v14, v10 :: v_dual_mov_b32 v13, v9
	s_waitcnt lgkmcnt(0)
	ds_store_2addr_b64 v8, v[1:2], v[6:7] offset1:1
.LBB179_40:                             ;   in Loop: Header=BB179_19 Depth=1
	s_or_b32 exec_lo, exec_lo, s6
	s_waitcnt lgkmcnt(0)
	ds_load_2addr_b64 v[1:4], v6 offset1:1
	s_lshl_b64 s[6:7], s[8:9], 4
	v_mov_b32_e32 v7, s28
	s_add_u32 s6, s24, s6
	s_addc_u32 s7, s25, s7
	ds_store_2addr_b64 v7, v[11:12], v[13:14] offset0:2 offset1:3
	s_waitcnt lgkmcnt(1)
	global_store_b128 v6, v[1:4], s[6:7]
.LBB179_41:                             ;   in Loop: Header=BB179_19 Depth=1
	s_or_b32 exec_lo, exec_lo, s36
	s_waitcnt lgkmcnt(0)
	s_waitcnt_vscnt null, 0x0
	s_barrier
	buffer_gl0_inv
	s_and_saveexec_b32 s5, s4
	s_cbranch_execz .LBB179_44
; %bb.42:                               ;   in Loop: Header=BB179_19 Depth=1
	v_dual_mov_b32 v1, v22 :: v_dual_mov_b32 v2, v0
	s_mov_b32 s4, 0
	.p2align	6
.LBB179_43:                             ;   Parent Loop BB179_19 Depth=1
                                        ; =>  This Inner Loop Header: Depth=2
	s_delay_alu instid0(VALU_DEP_1)
	v_dual_mov_b32 v3, s28 :: v_dual_add_nc_u32 v2, 0x100, v2
	ds_load_2addr_b64 v[7:10], v1 offset1:1
	ds_load_2addr_b64 v[11:14], v3 offset0:2 offset1:3
	v_cmp_le_i32_e32 vcc_lo, s8, v2
	s_or_b32 s4, vcc_lo, s4
	s_waitcnt lgkmcnt(0)
	v_mul_f64 v[3:4], v[13:14], v[9:10]
	v_mul_f64 v[9:10], v[11:12], v[9:10]
	s_delay_alu instid0(VALU_DEP_2) | instskip(NEXT) | instid1(VALU_DEP_2)
	v_fma_f64 v[3:4], v[11:12], v[7:8], -v[3:4]
	v_fma_f64 v[7:8], v[13:14], v[7:8], v[9:10]
	ds_store_2addr_b64 v1, v[3:4], v[7:8] offset1:1
	v_add_nc_u32_e32 v1, 0x1000, v1
	s_and_not1_b32 exec_lo, exec_lo, s4
	s_cbranch_execnz .LBB179_43
.LBB179_44:                             ;   in Loop: Header=BB179_19 Depth=1
	s_or_b32 exec_lo, exec_lo, s5
	s_waitcnt lgkmcnt(0)
	s_barrier
	buffer_gl0_inv
	s_and_saveexec_b32 s4, s3
	s_cbranch_execz .LBB179_51
; %bb.45:                               ;   in Loop: Header=BB179_19 Depth=1
	v_mov_b32_e32 v7, v24
	v_mov_b32_e32 v8, v0
	s_mov_b32 s5, 0
.LBB179_46:                             ;   Parent Loop BB179_19 Depth=1
                                        ; =>  This Loop Header: Depth=2
                                        ;       Child Loop BB179_47 Depth 3
	v_mov_b32_e32 v1, 0
	s_delay_alu instid0(VALU_DEP_3) | instskip(SKIP_2) | instid1(VALU_DEP_1)
	v_dual_mov_b32 v2, 0 :: v_dual_mov_b32 v9, v7
	s_mov_b32 s6, s27
	s_mov_b32 s7, 0
	v_dual_mov_b32 v4, v2 :: v_dual_mov_b32 v3, v1
	.p2align	6
.LBB179_47:                             ;   Parent Loop BB179_19 Depth=1
                                        ;     Parent Loop BB179_46 Depth=2
                                        ; =>    This Inner Loop Header: Depth=3
	v_mov_b32_e32 v14, s6
	s_add_i32 s7, s7, 1
	s_add_i32 s6, s6, 16
	s_cmp_ge_i32 s7, s35
	ds_load_2addr_b64 v[10:13], v9 offset1:1
	ds_load_2addr_b64 v[27:30], v14 offset1:1
	v_add_nc_u32_e32 v9, s26, v9
	s_waitcnt lgkmcnt(0)
	v_mul_f64 v[31:32], v[29:30], v[12:13]
	v_mul_f64 v[12:13], v[27:28], v[12:13]
	s_delay_alu instid0(VALU_DEP_2) | instskip(NEXT) | instid1(VALU_DEP_2)
	v_fma_f64 v[27:28], v[27:28], v[10:11], -v[31:32]
	v_fma_f64 v[10:11], v[29:30], v[10:11], v[12:13]
	s_delay_alu instid0(VALU_DEP_2) | instskip(NEXT) | instid1(VALU_DEP_2)
	v_add_f64 v[3:4], v[3:4], v[27:28]
	v_add_f64 v[1:2], v[1:2], v[10:11]
	s_cbranch_scc0 .LBB179_47
; %bb.48:                               ;   in Loop: Header=BB179_46 Depth=2
	ds_load_2addr_b64 v[9:12], v6 offset1:1
	v_add_nc_u32_e32 v7, 0x1000, v7
	s_waitcnt lgkmcnt(0)
	v_mul_f64 v[13:14], v[1:2], v[11:12]
	v_mul_f64 v[11:12], v[3:4], v[11:12]
	s_delay_alu instid0(VALU_DEP_2) | instskip(NEXT) | instid1(VALU_DEP_2)
	v_fma_f64 v[3:4], v[3:4], v[9:10], -v[13:14]
	v_fma_f64 v[1:2], v[1:2], v[9:10], v[11:12]
	v_lshl_add_u32 v9, v8, 4, s31
	v_add_nc_u32_e32 v8, 0x100, v8
	s_delay_alu instid0(VALU_DEP_1)
	v_cmp_le_i32_e32 vcc_lo, s35, v8
	s_or_b32 s5, vcc_lo, s5
	ds_store_2addr_b64 v9, v[3:4], v[1:2] offset1:1
	s_and_not1_b32 exec_lo, exec_lo, s5
	s_cbranch_execnz .LBB179_46
; %bb.49:                               ;   in Loop: Header=BB179_19 Depth=1
	s_or_b32 exec_lo, exec_lo, s5
	v_mov_b32_e32 v1, v0
	s_mov_b32 s5, 0
	s_mov_b32 s6, 0
.LBB179_50:                             ;   Parent Loop BB179_19 Depth=1
                                        ; =>  This Inner Loop Header: Depth=2
	s_delay_alu instid0(SALU_CYCLE_1) | instskip(NEXT) | instid1(VALU_DEP_2)
	v_add_nc_u32_e32 v2, s6, v22
	v_add_nc_u32_e32 v1, 0x100, v1
	ds_load_2addr_b64 v[7:10], v2 offset1:1
	v_cmp_le_i32_e32 vcc_lo, s35, v1
	v_add_nc_u32_e32 v2, s6, v23
	s_addk_i32 s6, 0x1000
	s_or_b32 s5, vcc_lo, s5
	s_waitcnt lgkmcnt(0)
	ds_store_2addr_b64 v2, v[7:8], v[9:10] offset1:1
	s_and_not1_b32 exec_lo, exec_lo, s5
	s_cbranch_execnz .LBB179_50
.LBB179_51:                             ;   in Loop: Header=BB179_19 Depth=1
	s_or_b32 exec_lo, exec_lo, s4
	v_mov_b32_e32 v1, 0
	v_mov_b32_e32 v2, 0
	s_waitcnt lgkmcnt(0)
	s_barrier
	buffer_gl0_inv
	v_dual_mov_b32 v4, v2 :: v_dual_mov_b32 v3, v1
	s_and_saveexec_b32 s4, s3
	s_cbranch_execz .LBB179_55
; %bb.52:                               ;   in Loop: Header=BB179_19 Depth=1
	v_dual_mov_b32 v1, 0 :: v_dual_mov_b32 v8, v25
	v_dual_mov_b32 v2, 0 :: v_dual_mov_b32 v7, v22
	v_mov_b32_e32 v9, v0
	s_mov_b32 s5, 0
	s_delay_alu instid0(VALU_DEP_2)
	v_dual_mov_b32 v4, v2 :: v_dual_mov_b32 v3, v1
	.p2align	6
.LBB179_53:                             ;   Parent Loop BB179_19 Depth=1
                                        ; =>  This Inner Loop Header: Depth=2
	ds_load_2addr_b64 v[10:13], v8 offset1:1
	ds_load_2addr_b64 v[27:30], v7 offset1:1
	v_add_nc_u32_e32 v9, 0x100, v9
	v_add_nc_u32_e32 v8, 0x1000, v8
	;; [unrolled: 1-line block ×3, first 2 shown]
	s_delay_alu instid0(VALU_DEP_3) | instskip(SKIP_4) | instid1(VALU_DEP_2)
	v_cmp_le_i32_e32 vcc_lo, s35, v9
	s_or_b32 s5, vcc_lo, s5
	s_waitcnt lgkmcnt(0)
	v_mul_f64 v[31:32], v[12:13], v[29:30]
	v_mul_f64 v[12:13], v[12:13], v[27:28]
	v_fma_f64 v[27:28], v[10:11], v[27:28], v[31:32]
	s_delay_alu instid0(VALU_DEP_2) | instskip(NEXT) | instid1(VALU_DEP_2)
	v_fma_f64 v[10:11], v[10:11], v[29:30], -v[12:13]
	v_add_f64 v[3:4], v[3:4], v[27:28]
	s_delay_alu instid0(VALU_DEP_2)
	v_add_f64 v[1:2], v[1:2], v[10:11]
	s_and_not1_b32 exec_lo, exec_lo, s5
	s_cbranch_execnz .LBB179_53
; %bb.54:                               ;   in Loop: Header=BB179_19 Depth=1
	s_or_b32 exec_lo, exec_lo, s5
.LBB179_55:                             ;   in Loop: Header=BB179_19 Depth=1
	s_delay_alu instid0(SALU_CYCLE_1)
	s_or_b32 exec_lo, exec_lo, s4
	ds_bpermute_b32 v7, v17, v3
	ds_bpermute_b32 v8, v17, v4
	ds_bpermute_b32 v9, v17, v1
	ds_bpermute_b32 v10, v17, v2
	s_waitcnt lgkmcnt(2)
	v_add_f64 v[3:4], v[3:4], v[7:8]
	s_waitcnt lgkmcnt(0)
	v_add_f64 v[1:2], v[1:2], v[9:10]
	ds_bpermute_b32 v7, v18, v3
	ds_bpermute_b32 v8, v18, v4
	ds_bpermute_b32 v9, v18, v1
	ds_bpermute_b32 v10, v18, v2
	s_waitcnt lgkmcnt(2)
	v_add_f64 v[3:4], v[3:4], v[7:8]
	s_waitcnt lgkmcnt(0)
	v_add_f64 v[1:2], v[1:2], v[9:10]
	;; [unrolled: 8-line block ×5, first 2 shown]
	s_and_saveexec_b32 s4, s0
	s_cbranch_execz .LBB179_57
; %bb.56:                               ;   in Loop: Header=BB179_19 Depth=1
	ds_store_2addr_b64 v26, v[1:2], v[3:4] offset0:2 offset1:3
.LBB179_57:                             ;   in Loop: Header=BB179_19 Depth=1
	s_or_b32 exec_lo, exec_lo, s4
	s_waitcnt lgkmcnt(0)
	s_barrier
	buffer_gl0_inv
	s_and_saveexec_b32 s4, s1
	s_cbranch_execz .LBB179_59
; %bb.58:                               ;   in Loop: Header=BB179_19 Depth=1
	v_mov_b32_e32 v27, s28
	ds_load_2addr_b64 v[7:10], v27 offset0:4 offset1:5
	ds_load_2addr_b64 v[11:14], v27 offset0:6 offset1:7
	s_waitcnt lgkmcnt(1)
	v_add_f64 v[3:4], v[3:4], v[9:10]
	v_add_f64 v[1:2], v[1:2], v[7:8]
	s_waitcnt lgkmcnt(0)
	s_delay_alu instid0(VALU_DEP_2) | instskip(NEXT) | instid1(VALU_DEP_2)
	v_add_f64 v[13:14], v[3:4], v[13:14]
	v_add_f64 v[11:12], v[1:2], v[11:12]
	ds_load_2addr_b64 v[1:4], v27 offset0:8 offset1:9
	ds_load_2addr_b64 v[7:10], v27 offset0:10 offset1:11
	s_waitcnt lgkmcnt(1)
	v_add_f64 v[3:4], v[13:14], v[3:4]
	v_add_f64 v[1:2], v[11:12], v[1:2]
	s_waitcnt lgkmcnt(0)
	s_delay_alu instid0(VALU_DEP_2) | instskip(NEXT) | instid1(VALU_DEP_2)
	v_add_f64 v[11:12], v[3:4], v[9:10]
	v_add_f64 v[13:14], v[1:2], v[7:8]
	;; [unrolled: 9-line block ×3, first 2 shown]
	ds_load_2addr_b64 v[1:4], v6 offset1:1
	ds_load_2addr_b64 v[7:10], v27 offset0:16 offset1:17
	s_waitcnt lgkmcnt(1)
	v_mul_f64 v[3:4], v[3:4], -0.5
	v_mul_f64 v[1:2], v[1:2], -0.5
	s_waitcnt lgkmcnt(0)
	v_add_f64 v[9:10], v[11:12], v[9:10]
	v_add_f64 v[7:8], v[13:14], v[7:8]
	s_delay_alu instid0(VALU_DEP_2) | instskip(NEXT) | instid1(VALU_DEP_2)
	v_mul_f64 v[11:12], v[9:10], v[3:4]
	v_mul_f64 v[3:4], v[7:8], v[3:4]
	s_delay_alu instid0(VALU_DEP_2) | instskip(NEXT) | instid1(VALU_DEP_2)
	v_fma_f64 v[7:8], v[7:8], v[1:2], -v[11:12]
	v_fma_f64 v[1:2], v[9:10], v[1:2], v[3:4]
	ds_store_2addr_b64 v27, v[7:8], v[1:2] offset0:2 offset1:3
.LBB179_59:                             ;   in Loop: Header=BB179_19 Depth=1
	s_or_b32 exec_lo, exec_lo, s4
	s_waitcnt lgkmcnt(0)
	s_barrier
	buffer_gl0_inv
	s_and_saveexec_b32 s4, s3
	s_cbranch_execz .LBB179_62
; %bb.60:                               ;   in Loop: Header=BB179_19 Depth=1
	v_dual_mov_b32 v1, v22 :: v_dual_mov_b32 v2, v25
	v_mov_b32_e32 v3, v0
	s_mov_b32 s5, 0
	.p2align	6
.LBB179_61:                             ;   Parent Loop BB179_19 Depth=1
                                        ; =>  This Inner Loop Header: Depth=2
	s_delay_alu instid0(VALU_DEP_1)
	v_dual_mov_b32 v4, s28 :: v_dual_add_nc_u32 v3, 0x100, v3
	ds_load_2addr_b64 v[7:10], v1 offset1:1
	ds_load_2addr_b64 v[11:14], v4 offset0:2 offset1:3
	v_add_nc_u32_e32 v1, 0x1000, v1
	v_cmp_le_i32_e32 vcc_lo, s35, v3
	s_or_b32 s5, vcc_lo, s5
	s_waitcnt lgkmcnt(0)
	v_mul_f64 v[27:28], v[9:10], v[13:14]
	v_mul_f64 v[13:14], v[7:8], v[13:14]
	s_delay_alu instid0(VALU_DEP_2) | instskip(NEXT) | instid1(VALU_DEP_2)
	v_fma_f64 v[27:28], v[7:8], v[11:12], -v[27:28]
	v_fma_f64 v[11:12], v[9:10], v[11:12], v[13:14]
	ds_load_2addr_b64 v[7:10], v2 offset1:1
	s_waitcnt lgkmcnt(0)
	v_add_f64 v[7:8], v[7:8], v[27:28]
	v_add_f64 v[9:10], v[9:10], v[11:12]
	ds_store_2addr_b64 v2, v[7:8], v[9:10] offset1:1
	v_add_nc_u32_e32 v2, 0x1000, v2
	s_and_not1_b32 exec_lo, exec_lo, s5
	s_cbranch_execnz .LBB179_61
.LBB179_62:                             ;   in Loop: Header=BB179_19 Depth=1
	s_or_b32 exec_lo, exec_lo, s4
	s_waitcnt lgkmcnt(0)
	s_barrier
	buffer_gl0_inv
	s_and_saveexec_b32 s4, s3
	s_cbranch_execz .LBB179_18
; %bb.63:                               ;   in Loop: Header=BB179_19 Depth=1
	v_mov_b32_e32 v1, v24
	v_mov_b32_e32 v2, v0
	s_mov_b32 s3, 0
.LBB179_64:                             ;   Parent Loop BB179_19 Depth=1
                                        ; =>  This Loop Header: Depth=2
                                        ;       Child Loop BB179_65 Depth 3
	s_delay_alu instid0(VALU_DEP_1) | instskip(SKIP_3) | instid1(VALU_DEP_1)
	v_dual_mov_b32 v7, v1 :: v_dual_lshlrev_b32 v4, 4, v2
	s_mov_b32 s5, s31
	s_mov_b32 s6, s27
	;; [unrolled: 1-line block ×3, first 2 shown]
	v_add_nc_u32_e32 v3, s27, v4
	v_add_nc_u32_e32 v4, s31, v4
	s_set_inst_prefetch_distance 0x1
	.p2align	6
.LBB179_65:                             ;   Parent Loop BB179_19 Depth=1
                                        ;     Parent Loop BB179_64 Depth=2
                                        ; =>    This Inner Loop Header: Depth=3
	v_mov_b32_e32 v12, s5
	v_mov_b32_e32 v14, s6
	s_add_i32 s7, s7, 1
	s_add_i32 s6, s6, 16
	ds_load_2addr_b64 v[8:11], v3 offset1:1
	ds_load_2addr_b64 v[27:30], v12 offset1:1
	;; [unrolled: 1-line block ×3, first 2 shown]
	s_add_i32 s5, s5, 16
	ds_load_2addr_b64 v[35:38], v14 offset1:1
	s_cmp_ge_i32 s7, s35
	s_waitcnt lgkmcnt(2)
	v_mul_f64 v[12:13], v[29:30], v[10:11]
	v_mul_f64 v[29:30], v[29:30], v[8:9]
	s_waitcnt lgkmcnt(0)
	v_mul_f64 v[39:40], v[37:38], v[33:34]
	v_mul_f64 v[37:38], v[37:38], v[31:32]
	s_delay_alu instid0(VALU_DEP_4) | instskip(NEXT) | instid1(VALU_DEP_4)
	v_fma_f64 v[12:13], v[27:28], v[8:9], v[12:13]
	v_fma_f64 v[27:28], v[27:28], v[10:11], -v[29:30]
	ds_load_2addr_b64 v[8:11], v7 offset1:1
	v_fma_f64 v[29:30], v[35:36], v[31:32], v[39:40]
	v_fma_f64 v[31:32], v[35:36], v[33:34], -v[37:38]
	s_waitcnt lgkmcnt(0)
	v_add_f64 v[8:9], v[8:9], -v[12:13]
	v_add_f64 v[10:11], v[10:11], -v[27:28]
	s_delay_alu instid0(VALU_DEP_2) | instskip(NEXT) | instid1(VALU_DEP_2)
	v_add_f64 v[8:9], v[8:9], -v[29:30]
	v_add_f64 v[10:11], v[10:11], -v[31:32]
	ds_store_2addr_b64 v7, v[8:9], v[10:11] offset1:1
	v_add_nc_u32_e32 v7, s26, v7
	s_cbranch_scc0 .LBB179_65
; %bb.66:                               ;   in Loop: Header=BB179_64 Depth=2
	s_set_inst_prefetch_distance 0x2
	v_add_nc_u32_e32 v2, 0x100, v2
	v_add_nc_u32_e32 v1, 0x1000, v1
	s_delay_alu instid0(VALU_DEP_2) | instskip(SKIP_1) | instid1(SALU_CYCLE_1)
	v_cmp_le_i32_e32 vcc_lo, s35, v2
	s_or_b32 s3, vcc_lo, s3
	s_and_not1_b32 exec_lo, exec_lo, s3
	s_cbranch_execnz .LBB179_64
	s_branch .LBB179_18
.LBB179_67:
	s_and_saveexec_b32 s0, s2
	s_cbranch_execz .LBB179_75
; %bb.68:
	v_mul_lo_u32 v0, s18, v15
	v_cmp_gt_u32_e32 vcc_lo, s18, v15
	s_lshl_b32 s1, s21, 1
	s_mov_b32 s2, 0
	s_lshl_b32 s3, s18, 5
	s_delay_alu instid0(VALU_DEP_2) | instskip(SKIP_1) | instid1(VALU_DEP_2)
	v_lshl_add_u32 v2, v0, 4, v16
	v_mad_u64_u32 v[0:1], null, s21, v15, v[5:6]
	v_add3_u32 v3, v2, 0, 16
	s_set_inst_prefetch_distance 0x1
	s_branch .LBB179_70
	.p2align	6
.LBB179_69:                             ;   in Loop: Header=BB179_70 Depth=1
	s_or_b32 exec_lo, exec_lo, s4
	v_add_nc_u32_e32 v5, 0x80, v5
	v_add_nc_u32_e32 v0, 0x80, v0
	;; [unrolled: 1-line block ×3, first 2 shown]
	s_delay_alu instid0(VALU_DEP_3) | instskip(NEXT) | instid1(VALU_DEP_1)
	v_cmp_le_i32_e64 s0, s18, v5
	s_or_b32 s2, s0, s2
	s_delay_alu instid0(SALU_CYCLE_1)
	s_and_not1_b32 exec_lo, exec_lo, s2
	s_cbranch_execz .LBB179_75
.LBB179_70:                             ; =>This Loop Header: Depth=1
                                        ;     Child Loop BB179_73 Depth 2
	s_and_saveexec_b32 s4, vcc_lo
	s_cbranch_execz .LBB179_69
; %bb.71:                               ;   in Loop: Header=BB179_70 Depth=1
	s_delay_alu instid0(VALU_DEP_2)
	v_dual_mov_b32 v4, v3 :: v_dual_mov_b32 v1, v0
	v_mov_b32_e32 v6, v15
	s_mov_b32 s5, 0
	s_branch .LBB179_73
	.p2align	6
.LBB179_72:                             ;   in Loop: Header=BB179_73 Depth=2
	s_or_b32 exec_lo, exec_lo, s6
	v_add_nc_u32_e32 v6, 2, v6
	v_add_nc_u32_e32 v1, s1, v1
	;; [unrolled: 1-line block ×3, first 2 shown]
	s_delay_alu instid0(VALU_DEP_3) | instskip(NEXT) | instid1(VALU_DEP_1)
	v_cmp_le_i32_e64 s0, s18, v6
	s_or_b32 s5, s0, s5
	s_delay_alu instid0(SALU_CYCLE_1)
	s_and_not1_b32 exec_lo, exec_lo, s5
	s_cbranch_execz .LBB179_69
.LBB179_73:                             ;   Parent Loop BB179_70 Depth=1
                                        ; =>  This Inner Loop Header: Depth=2
	s_mov_b32 s6, exec_lo
	s_delay_alu instid0(VALU_DEP_1)
	v_cmpx_le_u32_e64 v5, v6
	s_cbranch_execz .LBB179_72
; %bb.74:                               ;   in Loop: Header=BB179_73 Depth=2
	ds_load_2addr_b64 v[7:10], v4 offset1:1
	v_ashrrev_i32_e32 v2, 31, v1
	s_delay_alu instid0(VALU_DEP_1) | instskip(NEXT) | instid1(VALU_DEP_1)
	v_lshlrev_b64 v[11:12], 4, v[1:2]
	v_add_co_u32 v11, s0, s19, v11
	s_delay_alu instid0(VALU_DEP_1)
	v_add_co_ci_u32_e64 v12, s0, s20, v12, s0
	s_waitcnt lgkmcnt(0)
	global_store_b128 v[11:12], v[7:10], off
	s_branch .LBB179_72
.LBB179_75:
	s_set_inst_prefetch_distance 0x2
	s_nop 0
	s_sendmsg sendmsg(MSG_DEALLOC_VGPRS)
	s_endpgm
	.section	.rodata,"a",@progbits
	.p2align	6, 0x0
	.amdhsa_kernel _ZN9rocsolver6v33100L24sytd2_upper_kernel_smallILi256E19rocblas_complex_numIdEidPS3_EEvT1_T3_lS5_lPT2_lS8_lPT0_l
		.amdhsa_group_segment_fixed_size 0
		.amdhsa_private_segment_fixed_size 0
		.amdhsa_kernarg_size 88
		.amdhsa_user_sgpr_count 14
		.amdhsa_user_sgpr_dispatch_ptr 0
		.amdhsa_user_sgpr_queue_ptr 0
		.amdhsa_user_sgpr_kernarg_segment_ptr 1
		.amdhsa_user_sgpr_dispatch_id 0
		.amdhsa_user_sgpr_private_segment_size 0
		.amdhsa_wavefront_size32 1
		.amdhsa_uses_dynamic_stack 0
		.amdhsa_enable_private_segment 0
		.amdhsa_system_sgpr_workgroup_id_x 1
		.amdhsa_system_sgpr_workgroup_id_y 0
		.amdhsa_system_sgpr_workgroup_id_z 1
		.amdhsa_system_sgpr_workgroup_info 0
		.amdhsa_system_vgpr_workitem_id 0
		.amdhsa_next_free_vgpr 57
		.amdhsa_next_free_sgpr 39
		.amdhsa_reserve_vcc 1
		.amdhsa_float_round_mode_32 0
		.amdhsa_float_round_mode_16_64 0
		.amdhsa_float_denorm_mode_32 3
		.amdhsa_float_denorm_mode_16_64 3
		.amdhsa_dx10_clamp 1
		.amdhsa_ieee_mode 1
		.amdhsa_fp16_overflow 0
		.amdhsa_workgroup_processor_mode 1
		.amdhsa_memory_ordered 1
		.amdhsa_forward_progress 0
		.amdhsa_shared_vgpr_count 0
		.amdhsa_exception_fp_ieee_invalid_op 0
		.amdhsa_exception_fp_denorm_src 0
		.amdhsa_exception_fp_ieee_div_zero 0
		.amdhsa_exception_fp_ieee_overflow 0
		.amdhsa_exception_fp_ieee_underflow 0
		.amdhsa_exception_fp_ieee_inexact 0
		.amdhsa_exception_int_div_zero 0
	.end_amdhsa_kernel
	.section	.text._ZN9rocsolver6v33100L24sytd2_upper_kernel_smallILi256E19rocblas_complex_numIdEidPS3_EEvT1_T3_lS5_lPT2_lS8_lPT0_l,"axG",@progbits,_ZN9rocsolver6v33100L24sytd2_upper_kernel_smallILi256E19rocblas_complex_numIdEidPS3_EEvT1_T3_lS5_lPT2_lS8_lPT0_l,comdat
.Lfunc_end179:
	.size	_ZN9rocsolver6v33100L24sytd2_upper_kernel_smallILi256E19rocblas_complex_numIdEidPS3_EEvT1_T3_lS5_lPT2_lS8_lPT0_l, .Lfunc_end179-_ZN9rocsolver6v33100L24sytd2_upper_kernel_smallILi256E19rocblas_complex_numIdEidPS3_EEvT1_T3_lS5_lPT2_lS8_lPT0_l
                                        ; -- End function
	.section	.AMDGPU.csdata,"",@progbits
; Kernel info:
; codeLenInByte = 5084
; NumSgprs: 41
; NumVgprs: 57
; ScratchSize: 0
; MemoryBound: 0
; FloatMode: 240
; IeeeMode: 1
; LDSByteSize: 0 bytes/workgroup (compile time only)
; SGPRBlocks: 5
; VGPRBlocks: 7
; NumSGPRsForWavesPerEU: 41
; NumVGPRsForWavesPerEU: 57
; Occupancy: 16
; WaveLimiterHint : 0
; COMPUTE_PGM_RSRC2:SCRATCH_EN: 0
; COMPUTE_PGM_RSRC2:USER_SGPR: 14
; COMPUTE_PGM_RSRC2:TRAP_HANDLER: 0
; COMPUTE_PGM_RSRC2:TGID_X_EN: 1
; COMPUTE_PGM_RSRC2:TGID_Y_EN: 0
; COMPUTE_PGM_RSRC2:TGID_Z_EN: 1
; COMPUTE_PGM_RSRC2:TIDIG_COMP_CNT: 0
	.section	.text._ZN9rocsolver6v33100L8copy_matI19rocblas_complex_numIdEPS3_NS0_7no_maskEEEvNS0_17copymat_directionEiiT0_iilPT_T1_13rocblas_fill_17rocblas_diagonal_,"axG",@progbits,_ZN9rocsolver6v33100L8copy_matI19rocblas_complex_numIdEPS3_NS0_7no_maskEEEvNS0_17copymat_directionEiiT0_iilPT_T1_13rocblas_fill_17rocblas_diagonal_,comdat
	.globl	_ZN9rocsolver6v33100L8copy_matI19rocblas_complex_numIdEPS3_NS0_7no_maskEEEvNS0_17copymat_directionEiiT0_iilPT_T1_13rocblas_fill_17rocblas_diagonal_ ; -- Begin function _ZN9rocsolver6v33100L8copy_matI19rocblas_complex_numIdEPS3_NS0_7no_maskEEEvNS0_17copymat_directionEiiT0_iilPT_T1_13rocblas_fill_17rocblas_diagonal_
	.p2align	8
	.type	_ZN9rocsolver6v33100L8copy_matI19rocblas_complex_numIdEPS3_NS0_7no_maskEEEvNS0_17copymat_directionEiiT0_iilPT_T1_13rocblas_fill_17rocblas_diagonal_,@function
_ZN9rocsolver6v33100L8copy_matI19rocblas_complex_numIdEPS3_NS0_7no_maskEEEvNS0_17copymat_directionEiiT0_iilPT_T1_13rocblas_fill_17rocblas_diagonal_: ; @_ZN9rocsolver6v33100L8copy_matI19rocblas_complex_numIdEPS3_NS0_7no_maskEEEvNS0_17copymat_directionEiiT0_iilPT_T1_13rocblas_fill_17rocblas_diagonal_
; %bb.0:
	s_clause 0x1
	s_load_b32 s2, s[0:1], 0x4c
	s_load_b128 s[8:11], s[0:1], 0x0
	v_and_b32_e32 v2, 0x3ff, v0
	v_bfe_u32 v3, v0, 10, 10
	s_waitcnt lgkmcnt(0)
	s_lshr_b32 s3, s2, 16
	s_and_b32 s2, s2, 0xffff
	s_delay_alu instid0(VALU_DEP_1) | instid1(SALU_CYCLE_1)
	v_mad_u64_u32 v[0:1], null, s13, s2, v[2:3]
	v_mad_u64_u32 v[1:2], null, s14, s3, v[3:4]
	s_delay_alu instid0(VALU_DEP_2) | instskip(NEXT) | instid1(VALU_DEP_2)
	v_cmp_gt_u32_e32 vcc_lo, s9, v0
	v_cmp_gt_u32_e64 s2, s10, v1
	s_delay_alu instid0(VALU_DEP_1) | instskip(NEXT) | instid1(SALU_CYCLE_1)
	s_and_b32 s2, s2, vcc_lo
	s_and_saveexec_b32 s3, s2
	s_cbranch_execz .LBB180_14
; %bb.1:
	s_load_b64 s[4:5], s[0:1], 0x34
	s_waitcnt lgkmcnt(0)
	s_cmpk_lt_i32 s4, 0x7a
	s_cbranch_scc1 .LBB180_4
; %bb.2:
	s_cmpk_gt_i32 s4, 0x7a
	s_cbranch_scc0 .LBB180_5
; %bb.3:
	s_cmpk_lg_i32 s4, 0x7b
	s_mov_b32 s3, -1
	s_cselect_b32 s6, -1, 0
	s_cbranch_execz .LBB180_6
	s_branch .LBB180_7
.LBB180_4:
	s_mov_b32 s6, 0
	s_mov_b32 s3, 0
	s_cbranch_execnz .LBB180_8
	s_branch .LBB180_10
.LBB180_5:
	s_mov_b32 s3, 0
	s_mov_b32 s6, 0
.LBB180_6:
	v_cmp_gt_u32_e32 vcc_lo, v0, v1
	v_cmp_le_u32_e64 s2, v0, v1
	s_and_not1_b32 s3, s3, exec_lo
	s_and_not1_b32 s6, s6, exec_lo
	s_and_b32 s7, vcc_lo, exec_lo
	s_delay_alu instid0(VALU_DEP_1)
	s_and_b32 s2, s2, exec_lo
	s_or_b32 s3, s3, s7
	s_or_b32 s6, s6, s2
.LBB180_7:
	s_branch .LBB180_10
.LBB180_8:
	s_cmpk_eq_i32 s4, 0x79
	s_mov_b32 s6, -1
	s_cbranch_scc0 .LBB180_10
; %bb.9:
	v_cmp_gt_u32_e32 vcc_lo, v1, v0
	v_cmp_le_u32_e64 s2, v1, v0
	s_and_not1_b32 s3, s3, exec_lo
	s_and_b32 s4, vcc_lo, exec_lo
	s_delay_alu instid0(VALU_DEP_1)
	s_or_not1_b32 s6, s2, exec_lo
	s_or_b32 s3, s3, s4
.LBB180_10:
	s_and_saveexec_b32 s2, s6
; %bb.11:
	v_cmp_eq_u32_e32 vcc_lo, v0, v1
	s_cmpk_eq_i32 s5, 0x83
	s_cselect_b32 s4, -1, 0
	s_and_not1_b32 s3, s3, exec_lo
	s_and_b32 s4, s4, vcc_lo
	s_delay_alu instid0(SALU_CYCLE_1) | instskip(NEXT) | instid1(SALU_CYCLE_1)
	s_and_b32 s4, s4, exec_lo
	s_or_b32 s3, s3, s4
; %bb.12:
	s_or_b32 exec_lo, exec_lo, s2
	s_delay_alu instid0(SALU_CYCLE_1)
	s_and_b32 exec_lo, exec_lo, s3
	s_cbranch_execz .LBB180_14
; %bb.13:
	s_load_b256 s[0:7], s[0:1], 0x10
	s_ashr_i32 s12, s10, 31
	s_mul_i32 s16, s9, s15
	s_ashr_i32 s11, s9, 31
	s_mul_i32 s17, s16, s12
	s_mul_hi_u32 s14, s9, s15
	s_mul_i32 s11, s11, s15
	s_waitcnt lgkmcnt(0)
	s_mul_i32 s5, s15, s5
	s_mul_hi_u32 s12, s15, s4
	s_mul_i32 s4, s15, s4
	s_add_i32 s5, s12, s5
	s_ashr_i32 s13, s2, 31
	s_lshl_b64 s[4:5], s[4:5], 4
	s_mov_b32 s12, s2
	s_add_u32 s2, s0, s4
	s_addc_u32 s4, s1, s5
	s_lshl_b64 s[0:1], s[12:13], 4
	s_mul_hi_u32 s5, s16, s10
	s_add_u32 s2, s2, s0
	s_addc_u32 s4, s4, s1
	s_add_i32 s0, s14, s11
	s_add_i32 s1, s5, s17
	s_mul_i32 s5, s0, s10
	s_mul_i32 s0, s16, s10
	s_add_i32 s1, s1, s5
	s_delay_alu instid0(SALU_CYCLE_1) | instskip(NEXT) | instid1(SALU_CYCLE_1)
	s_lshl_b64 s[0:1], s[0:1], 4
	s_add_u32 s0, s6, s0
	s_addc_u32 s1, s7, s1
	s_cmp_eq_u32 s8, 0
	s_cselect_b32 s5, s3, s9
	s_cselect_b32 s6, s2, s0
	v_mad_u64_u32 v[5:6], null, v1, s5, v[0:1]
	v_mov_b32_e32 v6, 0
	s_cselect_b32 s5, s4, s1
	s_cselect_b32 s3, s9, s3
	;; [unrolled: 1-line block ×3, first 2 shown]
	v_mad_u64_u32 v[7:8], null, v1, s3, v[0:1]
	s_delay_alu instid0(VALU_DEP_3) | instskip(SKIP_2) | instid1(VALU_DEP_2)
	v_lshlrev_b64 v[2:3], 4, v[5:6]
	v_mov_b32_e32 v8, v6
	s_cselect_b32 s1, s1, s4
	v_add_co_u32 v2, vcc_lo, s6, v2
	s_delay_alu instid0(VALU_DEP_3) | instskip(NEXT) | instid1(VALU_DEP_3)
	v_add_co_ci_u32_e32 v3, vcc_lo, s5, v3, vcc_lo
	v_lshlrev_b64 v[0:1], 4, v[7:8]
	global_load_b128 v[2:5], v[2:3], off
	v_add_co_u32 v0, vcc_lo, s0, v0
	v_add_co_ci_u32_e32 v1, vcc_lo, s1, v1, vcc_lo
	s_waitcnt vmcnt(0)
	global_store_b128 v[0:1], v[2:5], off
.LBB180_14:
	s_nop 0
	s_sendmsg sendmsg(MSG_DEALLOC_VGPRS)
	s_endpgm
	.section	.rodata,"a",@progbits
	.p2align	6, 0x0
	.amdhsa_kernel _ZN9rocsolver6v33100L8copy_matI19rocblas_complex_numIdEPS3_NS0_7no_maskEEEvNS0_17copymat_directionEiiT0_iilPT_T1_13rocblas_fill_17rocblas_diagonal_
		.amdhsa_group_segment_fixed_size 0
		.amdhsa_private_segment_fixed_size 0
		.amdhsa_kernarg_size 320
		.amdhsa_user_sgpr_count 13
		.amdhsa_user_sgpr_dispatch_ptr 0
		.amdhsa_user_sgpr_queue_ptr 0
		.amdhsa_user_sgpr_kernarg_segment_ptr 1
		.amdhsa_user_sgpr_dispatch_id 0
		.amdhsa_user_sgpr_private_segment_size 0
		.amdhsa_wavefront_size32 1
		.amdhsa_uses_dynamic_stack 0
		.amdhsa_enable_private_segment 0
		.amdhsa_system_sgpr_workgroup_id_x 1
		.amdhsa_system_sgpr_workgroup_id_y 1
		.amdhsa_system_sgpr_workgroup_id_z 1
		.amdhsa_system_sgpr_workgroup_info 0
		.amdhsa_system_vgpr_workitem_id 1
		.amdhsa_next_free_vgpr 9
		.amdhsa_next_free_sgpr 18
		.amdhsa_reserve_vcc 1
		.amdhsa_float_round_mode_32 0
		.amdhsa_float_round_mode_16_64 0
		.amdhsa_float_denorm_mode_32 3
		.amdhsa_float_denorm_mode_16_64 3
		.amdhsa_dx10_clamp 1
		.amdhsa_ieee_mode 1
		.amdhsa_fp16_overflow 0
		.amdhsa_workgroup_processor_mode 1
		.amdhsa_memory_ordered 1
		.amdhsa_forward_progress 0
		.amdhsa_shared_vgpr_count 0
		.amdhsa_exception_fp_ieee_invalid_op 0
		.amdhsa_exception_fp_denorm_src 0
		.amdhsa_exception_fp_ieee_div_zero 0
		.amdhsa_exception_fp_ieee_overflow 0
		.amdhsa_exception_fp_ieee_underflow 0
		.amdhsa_exception_fp_ieee_inexact 0
		.amdhsa_exception_int_div_zero 0
	.end_amdhsa_kernel
	.section	.text._ZN9rocsolver6v33100L8copy_matI19rocblas_complex_numIdEPS3_NS0_7no_maskEEEvNS0_17copymat_directionEiiT0_iilPT_T1_13rocblas_fill_17rocblas_diagonal_,"axG",@progbits,_ZN9rocsolver6v33100L8copy_matI19rocblas_complex_numIdEPS3_NS0_7no_maskEEEvNS0_17copymat_directionEiiT0_iilPT_T1_13rocblas_fill_17rocblas_diagonal_,comdat
.Lfunc_end180:
	.size	_ZN9rocsolver6v33100L8copy_matI19rocblas_complex_numIdEPS3_NS0_7no_maskEEEvNS0_17copymat_directionEiiT0_iilPT_T1_13rocblas_fill_17rocblas_diagonal_, .Lfunc_end180-_ZN9rocsolver6v33100L8copy_matI19rocblas_complex_numIdEPS3_NS0_7no_maskEEEvNS0_17copymat_directionEiiT0_iilPT_T1_13rocblas_fill_17rocblas_diagonal_
                                        ; -- End function
	.section	.AMDGPU.csdata,"",@progbits
; Kernel info:
; codeLenInByte = 572
; NumSgprs: 20
; NumVgprs: 9
; ScratchSize: 0
; MemoryBound: 0
; FloatMode: 240
; IeeeMode: 1
; LDSByteSize: 0 bytes/workgroup (compile time only)
; SGPRBlocks: 2
; VGPRBlocks: 1
; NumSGPRsForWavesPerEU: 20
; NumVGPRsForWavesPerEU: 9
; Occupancy: 16
; WaveLimiterHint : 0
; COMPUTE_PGM_RSRC2:SCRATCH_EN: 0
; COMPUTE_PGM_RSRC2:USER_SGPR: 13
; COMPUTE_PGM_RSRC2:TRAP_HANDLER: 0
; COMPUTE_PGM_RSRC2:TGID_X_EN: 1
; COMPUTE_PGM_RSRC2:TGID_Y_EN: 1
; COMPUTE_PGM_RSRC2:TGID_Z_EN: 1
; COMPUTE_PGM_RSRC2:TIDIG_COMP_CNT: 1
	.section	.text._ZN9rocsolver6v33100L26latrd_lower_updateA_kernelI19rocblas_complex_numIdEPS3_EEviiT0_iilPT_iil,"axG",@progbits,_ZN9rocsolver6v33100L26latrd_lower_updateA_kernelI19rocblas_complex_numIdEPS3_EEviiT0_iilPT_iil,comdat
	.globl	_ZN9rocsolver6v33100L26latrd_lower_updateA_kernelI19rocblas_complex_numIdEPS3_EEviiT0_iilPT_iil ; -- Begin function _ZN9rocsolver6v33100L26latrd_lower_updateA_kernelI19rocblas_complex_numIdEPS3_EEviiT0_iilPT_iil
	.p2align	8
	.type	_ZN9rocsolver6v33100L26latrd_lower_updateA_kernelI19rocblas_complex_numIdEPS3_EEviiT0_iilPT_iil,@function
_ZN9rocsolver6v33100L26latrd_lower_updateA_kernelI19rocblas_complex_numIdEPS3_EEviiT0_iilPT_iil: ; @_ZN9rocsolver6v33100L26latrd_lower_updateA_kernelI19rocblas_complex_numIdEPS3_EEviiT0_iilPT_iil
; %bb.0:
	s_clause 0x2
	s_load_b32 s2, s[0:1], 0x44
	s_load_b64 s[22:23], s[0:1], 0x38
	s_load_b64 s[20:21], s[0:1], 0x0
	s_mov_b32 s25, 0
	s_waitcnt lgkmcnt(0)
	s_and_b32 s12, s2, 0xffff
	s_sub_i32 s20, s20, s21
	v_cvt_f32_u32_e32 v1, s12
	s_sub_i32 s4, 0, s12
	s_add_i32 s5, s20, -1
	s_delay_alu instid0(SALU_CYCLE_1) | instskip(NEXT) | instid1(VALU_DEP_1)
	s_abs_i32 s6, s5
	v_rcp_iflag_f32_e32 v1, v1
	s_ashr_i32 s5, s5, 31
	s_waitcnt_depctr 0xfff
	v_mul_f32_e32 v1, 0x4f7ffffe, v1
	s_delay_alu instid0(VALU_DEP_1) | instskip(NEXT) | instid1(VALU_DEP_1)
	v_cvt_u32_f32_e32 v1, v1
	v_readfirstlane_b32 s3, v1
	s_delay_alu instid0(VALU_DEP_1) | instskip(NEXT) | instid1(SALU_CYCLE_1)
	s_mul_i32 s4, s4, s3
	s_mul_hi_u32 s4, s3, s4
	s_delay_alu instid0(SALU_CYCLE_1) | instskip(NEXT) | instid1(SALU_CYCLE_1)
	s_add_i32 s3, s3, s4
	s_mul_hi_u32 s3, s6, s3
	s_delay_alu instid0(SALU_CYCLE_1) | instskip(NEXT) | instid1(SALU_CYCLE_1)
	s_mul_i32 s4, s3, s12
	s_sub_i32 s4, s6, s4
	s_add_i32 s6, s3, 1
	s_sub_i32 s7, s4, s12
	s_cmp_ge_u32 s4, s12
	s_cselect_b32 s3, s6, s3
	s_cselect_b32 s4, s7, s4
	s_add_i32 s6, s3, 1
	s_cmp_ge_u32 s4, s12
	s_cselect_b32 s3, s6, s3
	s_abs_i32 s4, s22
	s_xor_b32 s3, s3, s5
	v_cvt_f32_u32_e32 v1, s4
	s_sub_i32 s7, 0, s4
	s_sub_i32 s3, s3, s5
	s_delay_alu instid0(VALU_DEP_1) | instskip(SKIP_2) | instid1(VALU_DEP_1)
	v_rcp_iflag_f32_e32 v1, v1
	s_waitcnt_depctr 0xfff
	v_mul_f32_e32 v1, 0x4f7ffffe, v1
	v_cvt_u32_f32_e32 v1, v1
	s_delay_alu instid0(VALU_DEP_1) | instskip(NEXT) | instid1(VALU_DEP_1)
	v_readfirstlane_b32 s6, v1
	s_mul_i32 s7, s7, s6
	s_delay_alu instid0(SALU_CYCLE_1)
	s_mul_hi_u32 s5, s6, s7
	s_abs_i32 s7, s3
	s_add_i32 s6, s6, s5
	s_xor_b32 s3, s3, s22
	s_mul_hi_u32 s5, s7, s6
	s_ashr_i32 s3, s3, 31
	s_mul_i32 s6, s5, s4
	s_delay_alu instid0(SALU_CYCLE_1)
	s_sub_i32 s6, s7, s6
	s_add_i32 s7, s5, 1
	s_sub_i32 s8, s6, s4
	s_cmp_ge_u32 s6, s4
	s_cselect_b32 s5, s7, s5
	s_cselect_b32 s6, s8, s6
	s_add_i32 s7, s5, 1
	s_cmp_ge_u32 s6, s4
	s_cselect_b32 s4, s7, s5
	s_delay_alu instid0(SALU_CYCLE_1) | instskip(NEXT) | instid1(SALU_CYCLE_1)
	s_xor_b32 s4, s4, s3
	s_sub_i32 s24, s4, s3
	s_delay_alu instid0(SALU_CYCLE_1)
	s_cmp_lt_i32 s24, 0
	s_cbranch_scc1 .LBB181_20
; %bb.1:
	s_clause 0x1
	s_load_b256 s[4:11], s[0:1], 0x8
	s_load_b128 s[16:19], s[0:1], 0x28
	s_lshr_b32 s26, s2, 16
	s_ashr_i32 s27, s15, 31
	v_cvt_f32_u32_e32 v1, s26
	v_bfe_u32 v13, v0, 10, 10
	v_and_b32_e32 v12, 0x3ff, v0
	s_delay_alu instid0(VALU_DEP_3) | instskip(NEXT) | instid1(VALU_DEP_2)
	v_rcp_iflag_f32_e32 v1, v1
	v_mad_u64_u32 v[14:15], null, s14, s26, v[13:14]
	v_mul_u32_u24_e32 v0, s12, v13
	s_delay_alu instid0(VALU_DEP_3) | instskip(SKIP_1) | instid1(VALU_DEP_2)
	v_lshl_add_u32 v22, v12, 4, 0
	v_mad_u64_u32 v[15:16], null, s13, s12, v[12:13]
	v_lshl_add_u32 v23, v0, 4, v22
	s_waitcnt_depctr 0xfff
	v_mul_f32_e32 v1, 0x4f7ffffe, v1
	s_waitcnt lgkmcnt(0)
	s_mul_i32 s2, s15, s9
	s_mul_hi_u32 s3, s15, s8
	s_ashr_i32 s1, s6, 31
	s_mov_b32 s0, s6
	s_mul_i32 s6, s27, s8
	s_add_i32 s3, s3, s2
	s_mul_i32 s2, s15, s8
	s_add_i32 s3, s3, s6
	s_mul_i32 s6, s15, s19
	s_lshl_b64 s[2:3], s[2:3], 4
	s_mul_hi_u32 s8, s15, s18
	s_add_u32 s2, s4, s2
	s_addc_u32 s3, s5, s3
	s_lshl_b64 s[0:1], s[0:1], 4
	s_mul_i32 s27, s27, s18
	s_add_u32 s9, s2, s0
	s_addc_u32 s19, s3, s1
	s_add_i32 s1, s8, s6
	s_mul_i32 s0, s15, s18
	s_add_i32 s1, s1, s27
	s_mov_b32 s2, s16
	s_lshl_b64 s[0:1], s[0:1], 4
	s_ashr_i32 s3, s16, 31
	s_add_u32 s4, s10, s0
	s_addc_u32 s5, s11, s1
	s_lshl_b64 s[0:1], s[2:3], 4
	v_cvt_u32_f32_e32 v1, v1
	s_add_u32 s10, s4, s0
	s_addc_u32 s11, s5, s1
	s_ashr_i32 s1, s21, 31
	s_ashr_i32 s0, s7, 31
	s_add_u32 s2, s7, 1
	s_addc_u32 s0, s0, 0
	s_mul_i32 s3, s2, s1
	s_mul_hi_u32 s4, s2, s21
	s_mul_i32 s0, s0, s21
	s_add_i32 s3, s4, s3
	s_mul_i32 s2, s2, s21
	s_add_i32 s3, s3, s0
	s_mov_b32 s0, s21
	s_lshl_b64 s[2:3], s[2:3], 4
	v_mul_lo_u32 v24, s7, v14
	s_add_u32 s4, s9, s2
	s_addc_u32 s5, s19, s3
	s_lshl_b64 s[0:1], s[0:1], 4
	v_readfirstlane_b32 s2, v1
	s_add_u32 s6, s9, s0
	s_addc_u32 s8, s19, s1
	s_add_u32 s9, s10, s0
	s_addc_u32 s10, s11, s1
	s_sub_i32 s0, 0, s26
	s_add_i32 s1, s21, -1
	s_mul_i32 s0, s0, s2
	s_abs_i32 s3, s1
	s_mul_hi_u32 s0, s2, s0
	s_ashr_i32 s1, s1, 31
	s_add_i32 s2, s2, s0
	v_mul_lo_u32 v25, s17, v14
	s_mul_hi_u32 s0, s3, s2
	v_cmp_gt_u16_e64 s15, s26, 1
	s_mul_i32 s2, s0, s26
	s_delay_alu instid0(SALU_CYCLE_1)
	s_sub_i32 s2, s3, s2
	s_add_i32 s3, s0, 1
	s_sub_i32 s11, s2, s26
	s_cmp_ge_u32 s2, s26
	s_cselect_b32 s0, s3, s0
	s_cselect_b32 s2, s11, s2
	s_add_i32 s3, s0, 1
	s_cmp_ge_u32 s2, s26
	s_mul_i32 s11, s23, s26
	s_cselect_b32 s0, s3, s0
	s_abs_i32 s2, s23
	s_xor_b32 s0, s0, s1
	v_cvt_f32_u32_e32 v1, s2
	s_sub_i32 s14, 0, s2
	s_sub_i32 s0, s0, s1
	s_mul_i32 s7, s11, s7
	s_mul_i32 s17, s11, s17
	v_rcp_iflag_f32_e32 v1, v1
	s_waitcnt_depctr 0xfff
	v_mul_f32_e32 v1, 0x4f7ffffe, v1
	s_delay_alu instid0(VALU_DEP_1) | instskip(NEXT) | instid1(VALU_DEP_1)
	v_cvt_u32_f32_e32 v1, v1
	v_readfirstlane_b32 s3, v1
	s_delay_alu instid0(VALU_DEP_1) | instskip(NEXT) | instid1(SALU_CYCLE_1)
	s_mul_i32 s14, s14, s3
	s_mul_hi_u32 s1, s3, s14
	s_abs_i32 s14, s0
	s_add_i32 s3, s3, s1
	s_xor_b32 s0, s0, s23
	s_mul_hi_u32 s1, s14, s3
	s_ashr_i32 s16, s0, 31
	s_mul_i32 s3, s1, s2
	v_cmp_eq_u32_e64 s0, 0, v13
	s_sub_i32 s3, s14, s3
	s_add_i32 s14, s1, 1
	s_sub_i32 s18, s3, s2
	s_cmp_ge_u32 s3, s2
	s_cselect_b32 s1, s14, s1
	s_cselect_b32 s3, s18, s3
	s_add_i32 s14, s1, 1
	s_cmp_ge_u32 s3, s2
	s_mul_i32 s18, s22, s12
	s_cselect_b32 s1, s14, s1
	s_delay_alu instid0(SALU_CYCLE_1) | instskip(SKIP_2) | instid1(SALU_CYCLE_1)
	s_xor_b32 s2, s1, s16
	v_cmp_eq_u32_e64 s1, 0, v14
	s_sub_i32 s16, s2, s16
	s_cmp_gt_i32 s16, -1
	s_cselect_b32 s14, -1, 0
	s_add_i32 s16, s16, 1
	s_branch .LBB181_3
.LBB181_2:                              ;   in Loop: Header=BB181_3 Depth=1
	s_or_b32 exec_lo, exec_lo, s2
	v_add_nc_u32_e32 v15, s18, v15
	s_add_i32 s2, s25, 1
	s_cmp_eq_u32 s25, s24
	s_mov_b32 s25, s2
	s_cbranch_scc1 .LBB181_20
.LBB181_3:                              ; =>This Loop Header: Depth=1
                                        ;     Child Loop BB181_12 Depth 2
                                        ;     Child Loop BB181_9 Depth 2
	s_mul_i32 s2, s25, s22
	v_mov_b32_e32 v0, 0
	s_add_i32 s2, s2, s13
	v_mov_b32_e32 v1, 0
	v_mad_u64_u32 v[16:17], null, s2, s12, v[12:13]
	s_delay_alu instid0(VALU_DEP_2) | instskip(NEXT) | instid1(VALU_DEP_2)
	v_dual_mov_b32 v3, v1 :: v_dual_mov_b32 v2, v0
	v_cmp_gt_i32_e64 s2, s20, v16
	v_ashrrev_i32_e32 v17, 31, v16
	s_delay_alu instid0(VALU_DEP_2) | instskip(NEXT) | instid1(SALU_CYCLE_1)
	s_and_b32 s19, s1, s2
	s_and_saveexec_b32 s3, s19
	s_cbranch_execz .LBB181_5
; %bb.4:                                ;   in Loop: Header=BB181_3 Depth=1
	s_delay_alu instid0(VALU_DEP_1) | instskip(NEXT) | instid1(VALU_DEP_1)
	v_lshlrev_b64 v[0:1], 4, v[16:17]
	v_add_co_u32 v0, vcc_lo, s4, v0
	s_delay_alu instid0(VALU_DEP_2)
	v_add_co_ci_u32_e32 v1, vcc_lo, s5, v1, vcc_lo
	global_load_b128 v[0:3], v[0:1], off
.LBB181_5:                              ;   in Loop: Header=BB181_3 Depth=1
	s_or_b32 exec_lo, exec_lo, s3
	v_mov_b32_e32 v26, v14
	v_mov_b32_e32 v18, v25
	;; [unrolled: 1-line block ×3, first 2 shown]
	s_and_not1_b32 vcc_lo, exec_lo, s14
	s_mov_b32 s19, s16
	s_cbranch_vccz .LBB181_12
.LBB181_6:                              ;   in Loop: Header=BB181_3 Depth=1
	s_and_not1_b32 vcc_lo, exec_lo, s15
	s_mov_b32 s3, s26
	s_waitcnt vmcnt(0)
	ds_store_2addr_b64 v23, v[0:1], v[2:3] offset1:1
	s_waitcnt lgkmcnt(0)
	s_waitcnt_vscnt null, 0x0
	s_barrier
	buffer_gl0_inv
	s_cbranch_vccnz .LBB181_18
	.p2align	6
; %bb.7:                                ;   in Loop: Header=BB181_3 Depth=1
	s_lshr_b32 s19, s3, 1
	s_mov_b32 s23, exec_lo
	v_cmpx_gt_u32_e64 s19, v13
	s_cbranch_execz .LBB181_9
.LBB181_8:                              ;   in Loop: Header=BB181_3 Depth=1
	v_add_nc_u32_e32 v4, s19, v13
	s_delay_alu instid0(VALU_DEP_1) | instskip(NEXT) | instid1(VALU_DEP_1)
	v_mul_u32_u24_e32 v4, s12, v4
	v_lshl_add_u32 v4, v4, 4, v22
	ds_load_2addr_b64 v[4:7], v4 offset1:1
	s_waitcnt lgkmcnt(0)
	v_add_f64 v[0:1], v[0:1], v[4:5]
	v_add_f64 v[2:3], v[2:3], v[6:7]
	ds_store_2addr_b64 v23, v[0:1], v[2:3] offset1:1
.LBB181_9:                              ;   Parent Loop BB181_3 Depth=1
                                        ; =>  This Inner Loop Header: Depth=2
	s_or_b32 exec_lo, exec_lo, s23
	s_cmp_lt_u32 s3, 4
	s_waitcnt lgkmcnt(0)
	s_barrier
	buffer_gl0_inv
	s_cbranch_scc1 .LBB181_18
; %bb.10:                               ;   in Loop: Header=BB181_9 Depth=2
	s_mov_b32 s3, s19
	s_delay_alu instid0(SALU_CYCLE_1)
	s_lshr_b32 s19, s3, 1
	s_mov_b32 s23, exec_lo
	v_cmpx_gt_u32_e64 s19, v13
	s_cbranch_execnz .LBB181_8
	s_branch .LBB181_9
.LBB181_11:                             ;   in Loop: Header=BB181_12 Depth=2
	s_or_b32 exec_lo, exec_lo, s3
	v_add_nc_u32_e32 v20, s7, v20
	v_add_nc_u32_e32 v18, s17, v18
	;; [unrolled: 1-line block ×3, first 2 shown]
	s_add_i32 s19, s19, -1
	s_delay_alu instid0(SALU_CYCLE_1)
	s_cmp_eq_u32 s19, 0
	s_cbranch_scc1 .LBB181_6
.LBB181_12:                             ;   Parent Loop BB181_3 Depth=1
                                        ; =>  This Inner Loop Header: Depth=2
	v_mov_b32_e32 v6, 0
	v_mov_b32_e32 v7, 0
	v_cmp_gt_i32_e32 vcc_lo, s21, v26
	s_delay_alu instid0(VALU_DEP_2)
	v_dual_mov_b32 v9, v7 :: v_dual_mov_b32 v8, v6
	v_dual_mov_b32 v11, v7 :: v_dual_mov_b32 v10, v6
	s_and_saveexec_b32 s23, vcc_lo
	s_cbranch_execz .LBB181_14
; %bb.13:                               ;   in Loop: Header=BB181_12 Depth=2
	v_ashrrev_i32_e32 v19, 31, v18
	s_delay_alu instid0(VALU_DEP_1) | instskip(NEXT) | instid1(VALU_DEP_1)
	v_lshlrev_b64 v[4:5], 4, v[18:19]
	v_add_co_u32 v4, s3, s9, v4
	s_delay_alu instid0(VALU_DEP_1)
	v_add_co_ci_u32_e64 v5, s3, s10, v5, s3
	global_load_b128 v[8:11], v[4:5], off
	s_waitcnt vmcnt(0)
	v_xor_b32_e32 v11, 0x80000000, v11
.LBB181_14:                             ;   in Loop: Header=BB181_12 Depth=2
	s_or_b32 exec_lo, exec_lo, s23
	v_dual_mov_b32 v4, v6 :: v_dual_mov_b32 v5, v7
	s_and_saveexec_b32 s23, vcc_lo
	s_cbranch_execz .LBB181_16
; %bb.15:                               ;   in Loop: Header=BB181_12 Depth=2
	v_ashrrev_i32_e32 v21, 31, v20
	s_delay_alu instid0(VALU_DEP_1) | instskip(NEXT) | instid1(VALU_DEP_1)
	v_lshlrev_b64 v[4:5], 4, v[20:21]
	v_add_co_u32 v4, s3, s6, v4
	s_delay_alu instid0(VALU_DEP_1)
	v_add_co_ci_u32_e64 v5, s3, s8, v5, s3
	global_load_b128 v[4:7], v[4:5], off
	s_waitcnt vmcnt(0)
	v_xor_b32_e32 v7, 0x80000000, v7
.LBB181_16:                             ;   in Loop: Header=BB181_12 Depth=2
	s_or_b32 exec_lo, exec_lo, s23
	s_and_b32 s23, s2, vcc_lo
	s_delay_alu instid0(SALU_CYCLE_1)
	s_and_saveexec_b32 s3, s23
	s_cbranch_execz .LBB181_11
; %bb.17:                               ;   in Loop: Header=BB181_12 Depth=2
	v_add_nc_u32_e32 v27, v15, v20
	v_add_nc_u32_e32 v29, v15, v18
	s_delay_alu instid0(VALU_DEP_2) | instskip(NEXT) | instid1(VALU_DEP_2)
	v_ashrrev_i32_e32 v28, 31, v27
	v_ashrrev_i32_e32 v30, 31, v29
	s_delay_alu instid0(VALU_DEP_2) | instskip(NEXT) | instid1(VALU_DEP_2)
	v_lshlrev_b64 v[27:28], 4, v[27:28]
	v_lshlrev_b64 v[29:30], 4, v[29:30]
	s_delay_alu instid0(VALU_DEP_2) | instskip(NEXT) | instid1(VALU_DEP_3)
	v_add_co_u32 v27, vcc_lo, s6, v27
	v_add_co_ci_u32_e32 v28, vcc_lo, s8, v28, vcc_lo
	s_delay_alu instid0(VALU_DEP_3) | instskip(NEXT) | instid1(VALU_DEP_4)
	v_add_co_u32 v31, vcc_lo, s9, v29
	v_add_co_ci_u32_e32 v32, vcc_lo, s10, v30, vcc_lo
	global_load_b128 v[27:30], v[27:28], off
	global_load_b128 v[31:34], v[31:32], off
	s_waitcnt vmcnt(1)
	v_mul_f64 v[35:36], v[10:11], v[29:30]
	v_mul_f64 v[29:30], v[8:9], v[29:30]
	s_waitcnt vmcnt(0)
	v_mul_f64 v[37:38], v[6:7], v[33:34]
	v_mul_f64 v[33:34], v[4:5], v[33:34]
	s_delay_alu instid0(VALU_DEP_4) | instskip(NEXT) | instid1(VALU_DEP_4)
	v_fma_f64 v[8:9], v[8:9], v[27:28], -v[35:36]
	v_fma_f64 v[10:11], v[10:11], v[27:28], v[29:30]
	s_delay_alu instid0(VALU_DEP_4) | instskip(NEXT) | instid1(VALU_DEP_4)
	v_fma_f64 v[4:5], v[4:5], v[31:32], -v[37:38]
	v_fma_f64 v[6:7], v[6:7], v[31:32], v[33:34]
	s_delay_alu instid0(VALU_DEP_2) | instskip(NEXT) | instid1(VALU_DEP_2)
	v_add_f64 v[4:5], v[8:9], v[4:5]
	v_add_f64 v[6:7], v[10:11], v[6:7]
	s_delay_alu instid0(VALU_DEP_2) | instskip(NEXT) | instid1(VALU_DEP_2)
	v_add_f64 v[0:1], v[0:1], -v[4:5]
	v_add_f64 v[2:3], v[2:3], -v[6:7]
	s_branch .LBB181_11
.LBB181_18:                             ;   in Loop: Header=BB181_3 Depth=1
	s_and_b32 s3, s0, s2
	s_delay_alu instid0(SALU_CYCLE_1)
	s_and_saveexec_b32 s2, s3
	s_cbranch_execz .LBB181_2
; %bb.19:                               ;   in Loop: Header=BB181_3 Depth=1
	v_lshlrev_b64 v[4:5], 4, v[16:17]
	s_delay_alu instid0(VALU_DEP_1) | instskip(NEXT) | instid1(VALU_DEP_2)
	v_add_co_u32 v4, vcc_lo, s4, v4
	v_add_co_ci_u32_e32 v5, vcc_lo, s5, v5, vcc_lo
	global_store_b128 v[4:5], v[0:3], off
	s_branch .LBB181_2
.LBB181_20:
	s_nop 0
	s_sendmsg sendmsg(MSG_DEALLOC_VGPRS)
	s_endpgm
	.section	.rodata,"a",@progbits
	.p2align	6, 0x0
	.amdhsa_kernel _ZN9rocsolver6v33100L26latrd_lower_updateA_kernelI19rocblas_complex_numIdEPS3_EEviiT0_iilPT_iil
		.amdhsa_group_segment_fixed_size 0
		.amdhsa_private_segment_fixed_size 0
		.amdhsa_kernarg_size 312
		.amdhsa_user_sgpr_count 13
		.amdhsa_user_sgpr_dispatch_ptr 0
		.amdhsa_user_sgpr_queue_ptr 0
		.amdhsa_user_sgpr_kernarg_segment_ptr 1
		.amdhsa_user_sgpr_dispatch_id 0
		.amdhsa_user_sgpr_private_segment_size 0
		.amdhsa_wavefront_size32 1
		.amdhsa_uses_dynamic_stack 0
		.amdhsa_enable_private_segment 0
		.amdhsa_system_sgpr_workgroup_id_x 1
		.amdhsa_system_sgpr_workgroup_id_y 1
		.amdhsa_system_sgpr_workgroup_id_z 1
		.amdhsa_system_sgpr_workgroup_info 0
		.amdhsa_system_vgpr_workitem_id 1
		.amdhsa_next_free_vgpr 39
		.amdhsa_next_free_sgpr 28
		.amdhsa_reserve_vcc 1
		.amdhsa_float_round_mode_32 0
		.amdhsa_float_round_mode_16_64 0
		.amdhsa_float_denorm_mode_32 3
		.amdhsa_float_denorm_mode_16_64 3
		.amdhsa_dx10_clamp 1
		.amdhsa_ieee_mode 1
		.amdhsa_fp16_overflow 0
		.amdhsa_workgroup_processor_mode 1
		.amdhsa_memory_ordered 1
		.amdhsa_forward_progress 0
		.amdhsa_shared_vgpr_count 0
		.amdhsa_exception_fp_ieee_invalid_op 0
		.amdhsa_exception_fp_denorm_src 0
		.amdhsa_exception_fp_ieee_div_zero 0
		.amdhsa_exception_fp_ieee_overflow 0
		.amdhsa_exception_fp_ieee_underflow 0
		.amdhsa_exception_fp_ieee_inexact 0
		.amdhsa_exception_int_div_zero 0
	.end_amdhsa_kernel
	.section	.text._ZN9rocsolver6v33100L26latrd_lower_updateA_kernelI19rocblas_complex_numIdEPS3_EEviiT0_iilPT_iil,"axG",@progbits,_ZN9rocsolver6v33100L26latrd_lower_updateA_kernelI19rocblas_complex_numIdEPS3_EEviiT0_iilPT_iil,comdat
.Lfunc_end181:
	.size	_ZN9rocsolver6v33100L26latrd_lower_updateA_kernelI19rocblas_complex_numIdEPS3_EEviiT0_iilPT_iil, .Lfunc_end181-_ZN9rocsolver6v33100L26latrd_lower_updateA_kernelI19rocblas_complex_numIdEPS3_EEviiT0_iilPT_iil
                                        ; -- End function
	.section	.AMDGPU.csdata,"",@progbits
; Kernel info:
; codeLenInByte = 1740
; NumSgprs: 30
; NumVgprs: 39
; ScratchSize: 0
; MemoryBound: 1
; FloatMode: 240
; IeeeMode: 1
; LDSByteSize: 0 bytes/workgroup (compile time only)
; SGPRBlocks: 3
; VGPRBlocks: 4
; NumSGPRsForWavesPerEU: 30
; NumVGPRsForWavesPerEU: 39
; Occupancy: 16
; WaveLimiterHint : 0
; COMPUTE_PGM_RSRC2:SCRATCH_EN: 0
; COMPUTE_PGM_RSRC2:USER_SGPR: 13
; COMPUTE_PGM_RSRC2:TRAP_HANDLER: 0
; COMPUTE_PGM_RSRC2:TGID_X_EN: 1
; COMPUTE_PGM_RSRC2:TGID_Y_EN: 1
; COMPUTE_PGM_RSRC2:TGID_Z_EN: 1
; COMPUTE_PGM_RSRC2:TIDIG_COMP_CNT: 1
	.section	.text._ZN9rocsolver6v33100L33latrd_lower_computeW_gemvt_kernelILi256E19rocblas_complex_numIdEPS3_EEviiT1_iilPT0_iilS7_iilS7_l,"axG",@progbits,_ZN9rocsolver6v33100L33latrd_lower_computeW_gemvt_kernelILi256E19rocblas_complex_numIdEPS3_EEviiT1_iilPT0_iilS7_iilS7_l,comdat
	.globl	_ZN9rocsolver6v33100L33latrd_lower_computeW_gemvt_kernelILi256E19rocblas_complex_numIdEPS3_EEviiT1_iilPT0_iilS7_iilS7_l ; -- Begin function _ZN9rocsolver6v33100L33latrd_lower_computeW_gemvt_kernelILi256E19rocblas_complex_numIdEPS3_EEviiT1_iilPT0_iilS7_iilS7_l
	.p2align	8
	.type	_ZN9rocsolver6v33100L33latrd_lower_computeW_gemvt_kernelILi256E19rocblas_complex_numIdEPS3_EEviiT1_iilPT0_iilS7_iilS7_l,@function
_ZN9rocsolver6v33100L33latrd_lower_computeW_gemvt_kernelILi256E19rocblas_complex_numIdEPS3_EEviiT1_iilPT0_iilS7_iilS7_l: ; @_ZN9rocsolver6v33100L33latrd_lower_computeW_gemvt_kernelILi256E19rocblas_complex_numIdEPS3_EEviiT1_iilPT0_iilS7_iilS7_l
; %bb.0:
	s_clause 0x1
	s_load_b64 s[20:21], s[0:1], 0x0
	s_load_b128 s[16:19], s[0:1], 0x30
	s_ashr_i32 s27, s15, 31
	v_mov_b32_e32 v3, 0
	v_mov_b32_e32 v4, 0
	s_delay_alu instid0(VALU_DEP_2) | instskip(SKIP_1) | instid1(VALU_DEP_2)
	v_mov_b32_e32 v1, v3
	s_mov_b32 s4, -1
	v_mov_b32_e32 v2, v4
	s_waitcnt lgkmcnt(0)
	s_cmp_lt_i32 s14, s21
	s_cselect_b32 s26, -1, 0
	s_delay_alu instid0(SALU_CYCLE_1) | instskip(SKIP_1) | instid1(SALU_CYCLE_1)
	s_and_b32 s2, s26, exec_lo
	s_cselect_b32 s2, 0, s21
	s_sub_i32 s2, s14, s2
	s_delay_alu instid0(SALU_CYCLE_1)
	s_ashr_i32 s3, s2, 31
	s_cmp_eq_u32 s2, s21
	s_cbranch_scc1 .LBB182_11
; %bb.1:
	s_clause 0x1
	s_load_b256 s[4:11], s[0:1], 0x8
	s_load_b64 s[28:29], s[0:1], 0x28
	s_mul_i32 s30, s15, s17
	s_mul_hi_u32 s31, s15, s16
	s_waitcnt lgkmcnt(0)
	s_mul_i32 s9, s15, s9
	s_mul_hi_u32 s12, s15, s8
	s_mul_i32 s13, s27, s8
	s_add_i32 s9, s12, s9
	s_mul_i32 s8, s15, s8
	s_add_i32 s9, s9, s13
	s_ashr_i32 s13, s6, 31
	s_lshl_b64 s[22:23], s[8:9], 4
	s_mov_b32 s12, s6
	s_add_u32 s6, s4, s22
	s_addc_u32 s8, s5, s23
	s_lshl_b64 s[24:25], s[12:13], 4
	s_mul_i32 s9, s27, s16
	s_add_u32 s14, s6, s24
	s_addc_u32 s17, s8, s25
	s_add_i32 s6, s31, s30
	s_mul_i32 s8, s15, s16
	s_add_i32 s9, s6, s9
	s_mov_b32 s12, s28
	s_lshl_b64 s[8:9], s[8:9], 4
	s_ashr_i32 s13, s28, 31
	s_add_u32 s6, s10, s8
	s_addc_u32 s11, s11, s9
	s_lshl_b64 s[8:9], s[12:13], 4
	s_mov_b32 s10, s21
	s_add_u32 s6, s6, s8
	s_addc_u32 s8, s11, s9
	s_not_b32 s16, s21
	s_ashr_i32 s13, s7, 31
	s_add_i32 s16, s16, s20
	s_ashr_i32 s11, s21, 31
	s_and_b32 s9, s26, exec_lo
	v_cmp_gt_i32_e32 vcc_lo, s16, v0
	s_cselect_b32 s12, s8, s17
	s_cselect_b32 s6, s6, s14
	s_lshl_b64 s[8:9], s[10:11], 4
	s_delay_alu instid0(SALU_CYCLE_1) | instskip(SKIP_4) | instid1(SALU_CYCLE_1)
	s_add_u32 s6, s6, s8
	s_addc_u32 s12, s12, s9
	s_and_b32 s20, s26, exec_lo
	v_cndmask_b32_e32 v1, 0, v0, vcc_lo
	s_cselect_b32 s20, s29, s7
	s_mul_hi_i32 s21, s20, s2
	s_mul_i32 s20, s20, s2
	s_delay_alu instid0(VALU_DEP_1)
	v_lshlrev_b32_e32 v3, 4, v1
	s_lshl_b64 s[20:21], s[20:21], 4
	v_mov_b32_e32 v1, 0
	v_mov_b32_e32 v2, 0
	s_add_u32 s6, s20, s6
	s_addc_u32 s12, s21, s12
	s_ashr_i32 s20, s16, 31
	v_add_co_u32 v7, s6, s6, v3
	s_lshr_b32 s20, s20, 24
	v_add_co_ci_u32_e64 v8, null, s12, 0, s6
	s_add_i32 s6, s16, s20
	v_dual_mov_b32 v4, v2 :: v_dual_mov_b32 v3, v1
	s_and_b32 s6, s6, 0xffffff00
	s_cmpk_lt_i32 s16, 0x100
	s_mov_b32 s12, s7
	s_cbranch_scc1 .LBB182_4
; %bb.2:
	s_lshl_b64 s[20:21], s[12:13], 4
	v_lshlrev_b32_e32 v3, 4, v0
	s_add_u32 s7, s20, 16
	s_addc_u32 s13, s21, 0
	s_mul_i32 s11, s7, s11
	s_mul_hi_u32 s20, s7, s10
	s_mul_i32 s13, s13, s10
	s_add_i32 s11, s20, s11
	s_mul_i32 s7, s7, s10
	s_add_i32 s11, s11, s13
	s_add_u32 s7, s22, s7
	s_addc_u32 s11, s23, s11
	s_add_u32 s7, s7, s24
	v_mov_b32_e32 v1, 0
	v_mov_b32_e32 v2, 0
	s_addc_u32 s11, s11, s25
	s_add_u32 s4, s4, s7
	s_addc_u32 s5, s5, s11
	v_add_co_u32 v5, s4, s4, v3
	s_delay_alu instid0(VALU_DEP_1)
	v_add_co_ci_u32_e64 v6, null, s5, 0, s4
	v_dual_mov_b32 v4, v2 :: v_dual_mov_b32 v3, v1
	s_mov_b64 s[4:5], 0
	s_mov_b32 s7, 0
	.p2align	6
.LBB182_3:                              ; =>This Inner Loop Header: Depth=1
	v_add_co_u32 v9, vcc_lo, v7, s4
	v_add_co_ci_u32_e32 v10, vcc_lo, s5, v8, vcc_lo
	v_add_co_u32 v13, vcc_lo, v5, s4
	v_add_co_ci_u32_e32 v14, vcc_lo, s5, v6, vcc_lo
	s_addk_i32 s7, 0x100
	global_load_b128 v[9:12], v[9:10], off offset:16
	global_load_b128 v[13:16], v[13:14], off offset:16
	s_add_u32 s4, s4, 0x1000
	s_addc_u32 s5, s5, 0
	s_cmp_ge_i32 s7, s6
	s_waitcnt vmcnt(0)
	v_mul_f64 v[17:18], v[11:12], v[15:16]
	v_mul_f64 v[11:12], v[11:12], v[13:14]
	s_delay_alu instid0(VALU_DEP_2) | instskip(NEXT) | instid1(VALU_DEP_2)
	v_fma_f64 v[13:14], v[9:10], v[13:14], v[17:18]
	v_fma_f64 v[9:10], v[9:10], v[15:16], -v[11:12]
	s_delay_alu instid0(VALU_DEP_2) | instskip(NEXT) | instid1(VALU_DEP_2)
	v_add_f64 v[3:4], v[3:4], v[13:14]
	v_add_f64 v[1:2], v[1:2], v[9:10]
	s_cbranch_scc0 .LBB182_3
.LBB182_4:
	v_add_nc_u32_e32 v5, s6, v0
	s_mov_b32 s4, exec_lo
	s_delay_alu instid0(VALU_DEP_1)
	v_cmpx_gt_i32_e64 s16, v5
	s_cbranch_execz .LBB182_6
; %bb.5:
	s_mul_hi_i32 s11, s12, s10
	s_mul_i32 s10, s12, s10
	v_ashrrev_i32_e32 v6, 31, v5
	s_lshl_b64 s[10:11], s[10:11], 4
	s_delay_alu instid0(SALU_CYCLE_1)
	s_add_u32 s5, s14, s10
	s_addc_u32 s7, s17, s11
	s_add_u32 s5, s5, s8
	s_addc_u32 s8, s7, s9
	s_ashr_i32 s7, s6, 31
	v_lshlrev_b64 v[5:6], 4, v[5:6]
	s_lshl_b64 s[6:7], s[6:7], 4
	s_delay_alu instid0(SALU_CYCLE_1) | instskip(SKIP_1) | instid1(VALU_DEP_3)
	v_add_co_u32 v7, vcc_lo, v7, s6
	v_add_co_ci_u32_e32 v8, vcc_lo, s7, v8, vcc_lo
	v_add_co_u32 v9, vcc_lo, s5, v5
	s_delay_alu instid0(VALU_DEP_4)
	v_add_co_ci_u32_e32 v10, vcc_lo, s8, v6, vcc_lo
	global_load_b128 v[5:8], v[7:8], off offset:16
	global_load_b128 v[9:12], v[9:10], off offset:16
	s_waitcnt vmcnt(0)
	v_mul_f64 v[13:14], v[7:8], v[11:12]
	v_mul_f64 v[7:8], v[7:8], v[9:10]
	s_delay_alu instid0(VALU_DEP_2) | instskip(NEXT) | instid1(VALU_DEP_2)
	v_fma_f64 v[9:10], v[5:6], v[9:10], v[13:14]
	v_fma_f64 v[5:6], v[5:6], v[11:12], -v[7:8]
	s_delay_alu instid0(VALU_DEP_2) | instskip(NEXT) | instid1(VALU_DEP_2)
	v_add_f64 v[3:4], v[3:4], v[9:10]
	v_add_f64 v[1:2], v[1:2], v[5:6]
.LBB182_6:
	s_or_b32 exec_lo, exec_lo, s4
	v_mbcnt_lo_u32_b32 v9, -1, 0
	s_mov_b32 s4, 0
	s_mov_b32 s5, exec_lo
	s_delay_alu instid0(VALU_DEP_1) | instskip(SKIP_2) | instid1(VALU_DEP_2)
	v_cmp_ne_u32_e32 vcc_lo, 31, v9
	v_add_co_ci_u32_e32 v5, vcc_lo, 0, v9, vcc_lo
	v_cmp_gt_u32_e32 vcc_lo, 30, v9
	v_lshlrev_b32_e32 v8, 2, v5
	ds_bpermute_b32 v5, v8, v3
	ds_bpermute_b32 v6, v8, v4
	ds_bpermute_b32 v7, v8, v1
	ds_bpermute_b32 v8, v8, v2
	s_waitcnt lgkmcnt(2)
	v_add_f64 v[3:4], v[3:4], v[5:6]
	v_cndmask_b32_e64 v5, 0, 1, vcc_lo
	s_waitcnt lgkmcnt(0)
	v_add_f64 v[1:2], v[1:2], v[7:8]
	v_cmp_gt_u32_e32 vcc_lo, 28, v9
	s_delay_alu instid0(VALU_DEP_3) | instskip(NEXT) | instid1(VALU_DEP_1)
	v_lshlrev_b32_e32 v5, 1, v5
	v_add_lshl_u32 v8, v5, v9, 2
	ds_bpermute_b32 v5, v8, v3
	ds_bpermute_b32 v6, v8, v4
	ds_bpermute_b32 v7, v8, v1
	ds_bpermute_b32 v8, v8, v2
	s_waitcnt lgkmcnt(2)
	v_add_f64 v[3:4], v[3:4], v[5:6]
	v_cndmask_b32_e64 v5, 0, 1, vcc_lo
	s_waitcnt lgkmcnt(0)
	v_add_f64 v[1:2], v[1:2], v[7:8]
	v_cmp_gt_u32_e32 vcc_lo, 24, v9
	s_delay_alu instid0(VALU_DEP_3) | instskip(NEXT) | instid1(VALU_DEP_1)
	v_lshlrev_b32_e32 v5, 2, v5
	v_add_lshl_u32 v8, v5, v9, 2
	;; [unrolled: 13-line block ×3, first 2 shown]
	ds_bpermute_b32 v5, v8, v3
	ds_bpermute_b32 v6, v8, v4
	;; [unrolled: 1-line block ×4, first 2 shown]
	s_waitcnt lgkmcnt(2)
	v_add_f64 v[3:4], v[3:4], v[5:6]
	v_cndmask_b32_e64 v5, 0, 1, vcc_lo
	s_waitcnt lgkmcnt(0)
	v_add_f64 v[1:2], v[1:2], v[7:8]
	s_delay_alu instid0(VALU_DEP_2) | instskip(NEXT) | instid1(VALU_DEP_1)
	v_lshlrev_b32_e32 v5, 4, v5
	v_add_lshl_u32 v8, v5, v9, 2
	ds_bpermute_b32 v5, v8, v3
	ds_bpermute_b32 v6, v8, v4
	;; [unrolled: 1-line block ×4, first 2 shown]
	s_waitcnt lgkmcnt(2)
	v_add_f64 v[5:6], v[3:4], v[5:6]
	s_waitcnt lgkmcnt(0)
	v_add_f64 v[7:8], v[1:2], v[7:8]
	v_and_b32_e32 v1, 31, v0
	s_delay_alu instid0(VALU_DEP_1)
	v_cmpx_eq_u32_e32 0, v1
	s_cbranch_execz .LBB182_8
; %bb.7:
	v_lshrrev_b32_e32 v1, 1, v0
	ds_store_b128 v1, v[5:8]
.LBB182_8:
	s_or_b32 exec_lo, exec_lo, s5
	v_mov_b32_e32 v3, 0
	v_mov_b32_e32 v4, 0
	s_delay_alu instid0(VALU_DEP_2)
	v_mov_b32_e32 v1, v3
	s_mov_b32 s5, exec_lo
	s_waitcnt lgkmcnt(0)
	s_barrier
	v_mov_b32_e32 v2, v4
	buffer_gl0_inv
	v_cmpx_eq_u32_e32 0, v0
	s_cbranch_execz .LBB182_10
; %bb.9:
	v_mov_b32_e32 v13, 0
	s_mov_b32 s4, exec_lo
	ds_load_b128 v[1:4], v13 offset:16
	ds_load_b128 v[9:12], v13 offset:32
	s_waitcnt lgkmcnt(1)
	v_add_f64 v[1:2], v[5:6], v[1:2]
	v_add_f64 v[3:4], v[7:8], v[3:4]
	s_waitcnt lgkmcnt(0)
	s_delay_alu instid0(VALU_DEP_2) | instskip(NEXT) | instid1(VALU_DEP_2)
	v_add_f64 v[9:10], v[1:2], v[9:10]
	v_add_f64 v[11:12], v[3:4], v[11:12]
	ds_load_b128 v[1:4], v13 offset:48
	ds_load_b128 v[5:8], v13 offset:64
	s_waitcnt lgkmcnt(1)
	v_add_f64 v[1:2], v[9:10], v[1:2]
	v_add_f64 v[3:4], v[11:12], v[3:4]
	s_waitcnt lgkmcnt(0)
	s_delay_alu instid0(VALU_DEP_2) | instskip(NEXT) | instid1(VALU_DEP_2)
	v_add_f64 v[9:10], v[1:2], v[5:6]
	v_add_f64 v[11:12], v[3:4], v[7:8]
	;; [unrolled: 9-line block ×3, first 2 shown]
	ds_load_b128 v[1:4], v13 offset:112
	s_waitcnt lgkmcnt(0)
	v_add_f64 v[1:2], v[5:6], v[1:2]
	v_add_f64 v[3:4], v[7:8], v[3:4]
.LBB182_10:
	s_or_b32 exec_lo, exec_lo, s5
.LBB182_11:
	s_and_saveexec_b32 s5, s4
	s_cbranch_execz .LBB182_14
; %bb.12:
	v_cmp_eq_u32_e32 vcc_lo, 0, v0
	s_and_b32 exec_lo, exec_lo, vcc_lo
	s_cbranch_execz .LBB182_14
; %bb.13:
	s_clause 0x2
	s_load_b32 s8, s[0:1], 0x40
	s_load_b64 s[10:11], s[0:1], 0x58
	s_load_b128 s[4:7], s[0:1], 0x48
	v_mov_b32_e32 v0, 0
	s_waitcnt lgkmcnt(0)
	s_ashr_i32 s9, s8, 31
	s_mul_i32 s1, s15, s11
	s_mul_hi_u32 s11, s15, s10
	s_mul_i32 s12, s27, s10
	s_add_i32 s1, s11, s1
	s_mul_i32 s0, s15, s10
	s_add_i32 s1, s1, s12
	s_mul_i32 s5, s15, s5
	s_lshl_b64 s[0:1], s[0:1], 4
	s_mul_hi_u32 s10, s15, s4
	s_add_u32 s6, s6, s0
	s_mul_i32 s11, s27, s4
	s_addc_u32 s7, s7, s1
	s_add_i32 s1, s10, s5
	s_mul_i32 s0, s15, s4
	s_add_i32 s1, s1, s11
	s_delay_alu instid0(SALU_CYCLE_1) | instskip(NEXT) | instid1(SALU_CYCLE_1)
	s_lshl_b64 s[0:1], s[0:1], 4
	s_add_u32 s4, s18, s0
	s_addc_u32 s5, s19, s1
	s_lshl_b64 s[0:1], s[8:9], 4
	s_delay_alu instid0(SALU_CYCLE_1)
	s_add_u32 s0, s4, s0
	s_addc_u32 s1, s5, s1
	s_and_b32 s4, s26, exec_lo
	s_cselect_b32 s4, s7, s1
	s_cselect_b32 s5, s6, s0
	s_lshl_b64 s[0:1], s[2:3], 4
	s_delay_alu instid0(SALU_CYCLE_1)
	s_add_u32 s0, s5, s0
	s_addc_u32 s1, s4, s1
	global_store_b128 v0, v[1:4], s[0:1]
.LBB182_14:
	s_nop 0
	s_sendmsg sendmsg(MSG_DEALLOC_VGPRS)
	s_endpgm
	.section	.rodata,"a",@progbits
	.p2align	6, 0x0
	.amdhsa_kernel _ZN9rocsolver6v33100L33latrd_lower_computeW_gemvt_kernelILi256E19rocblas_complex_numIdEPS3_EEviiT1_iilPT0_iilS7_iilS7_l
		.amdhsa_group_segment_fixed_size 4096
		.amdhsa_private_segment_fixed_size 0
		.amdhsa_kernarg_size 96
		.amdhsa_user_sgpr_count 14
		.amdhsa_user_sgpr_dispatch_ptr 0
		.amdhsa_user_sgpr_queue_ptr 0
		.amdhsa_user_sgpr_kernarg_segment_ptr 1
		.amdhsa_user_sgpr_dispatch_id 0
		.amdhsa_user_sgpr_private_segment_size 0
		.amdhsa_wavefront_size32 1
		.amdhsa_uses_dynamic_stack 0
		.amdhsa_enable_private_segment 0
		.amdhsa_system_sgpr_workgroup_id_x 1
		.amdhsa_system_sgpr_workgroup_id_y 0
		.amdhsa_system_sgpr_workgroup_id_z 1
		.amdhsa_system_sgpr_workgroup_info 0
		.amdhsa_system_vgpr_workitem_id 0
		.amdhsa_next_free_vgpr 19
		.amdhsa_next_free_sgpr 32
		.amdhsa_reserve_vcc 1
		.amdhsa_float_round_mode_32 0
		.amdhsa_float_round_mode_16_64 0
		.amdhsa_float_denorm_mode_32 3
		.amdhsa_float_denorm_mode_16_64 3
		.amdhsa_dx10_clamp 1
		.amdhsa_ieee_mode 1
		.amdhsa_fp16_overflow 0
		.amdhsa_workgroup_processor_mode 1
		.amdhsa_memory_ordered 1
		.amdhsa_forward_progress 0
		.amdhsa_shared_vgpr_count 0
		.amdhsa_exception_fp_ieee_invalid_op 0
		.amdhsa_exception_fp_denorm_src 0
		.amdhsa_exception_fp_ieee_div_zero 0
		.amdhsa_exception_fp_ieee_overflow 0
		.amdhsa_exception_fp_ieee_underflow 0
		.amdhsa_exception_fp_ieee_inexact 0
		.amdhsa_exception_int_div_zero 0
	.end_amdhsa_kernel
	.section	.text._ZN9rocsolver6v33100L33latrd_lower_computeW_gemvt_kernelILi256E19rocblas_complex_numIdEPS3_EEviiT1_iilPT0_iilS7_iilS7_l,"axG",@progbits,_ZN9rocsolver6v33100L33latrd_lower_computeW_gemvt_kernelILi256E19rocblas_complex_numIdEPS3_EEviiT1_iilPT0_iilS7_iilS7_l,comdat
.Lfunc_end182:
	.size	_ZN9rocsolver6v33100L33latrd_lower_computeW_gemvt_kernelILi256E19rocblas_complex_numIdEPS3_EEviiT1_iilPT0_iilS7_iilS7_l, .Lfunc_end182-_ZN9rocsolver6v33100L33latrd_lower_computeW_gemvt_kernelILi256E19rocblas_complex_numIdEPS3_EEviiT1_iilPT0_iilS7_iilS7_l
                                        ; -- End function
	.section	.AMDGPU.csdata,"",@progbits
; Kernel info:
; codeLenInByte = 1728
; NumSgprs: 34
; NumVgprs: 19
; ScratchSize: 0
; MemoryBound: 0
; FloatMode: 240
; IeeeMode: 1
; LDSByteSize: 4096 bytes/workgroup (compile time only)
; SGPRBlocks: 4
; VGPRBlocks: 2
; NumSGPRsForWavesPerEU: 34
; NumVGPRsForWavesPerEU: 19
; Occupancy: 16
; WaveLimiterHint : 0
; COMPUTE_PGM_RSRC2:SCRATCH_EN: 0
; COMPUTE_PGM_RSRC2:USER_SGPR: 14
; COMPUTE_PGM_RSRC2:TRAP_HANDLER: 0
; COMPUTE_PGM_RSRC2:TGID_X_EN: 1
; COMPUTE_PGM_RSRC2:TGID_Y_EN: 0
; COMPUTE_PGM_RSRC2:TGID_Z_EN: 1
; COMPUTE_PGM_RSRC2:TIDIG_COMP_CNT: 0
	.section	.text._ZN9rocsolver6v33100L26latrd_lower_updateW_kernelI19rocblas_complex_numIdEPS3_EEviiT0_iilPT_iilS7_lS7_l,"axG",@progbits,_ZN9rocsolver6v33100L26latrd_lower_updateW_kernelI19rocblas_complex_numIdEPS3_EEviiT0_iilPT_iilS7_lS7_l,comdat
	.globl	_ZN9rocsolver6v33100L26latrd_lower_updateW_kernelI19rocblas_complex_numIdEPS3_EEviiT0_iilPT_iilS7_lS7_l ; -- Begin function _ZN9rocsolver6v33100L26latrd_lower_updateW_kernelI19rocblas_complex_numIdEPS3_EEviiT0_iilPT_iilS7_lS7_l
	.p2align	8
	.type	_ZN9rocsolver6v33100L26latrd_lower_updateW_kernelI19rocblas_complex_numIdEPS3_EEviiT0_iilPT_iilS7_lS7_l,@function
_ZN9rocsolver6v33100L26latrd_lower_updateW_kernelI19rocblas_complex_numIdEPS3_EEviiT0_iilPT_iilS7_lS7_l: ; @_ZN9rocsolver6v33100L26latrd_lower_updateW_kernelI19rocblas_complex_numIdEPS3_EEviiT0_iilPT_iilS7_lS7_l
; %bb.0:
	s_clause 0x2
	s_load_b32 s30, s[0:1], 0x64
	s_load_b64 s[26:27], s[0:1], 0x58
	s_load_b64 s[24:25], s[0:1], 0x0
	s_mov_b32 s29, 0
	s_waitcnt lgkmcnt(0)
	s_and_b32 s12, s30, 0xffff
	s_not_b32 s3, s25
	v_cvt_f32_u32_e32 v1, s12
	s_sub_i32 s4, 0, s12
	s_add_i32 s24, s3, s24
	s_delay_alu instid0(SALU_CYCLE_1) | instskip(NEXT) | instid1(VALU_DEP_1)
	s_add_i32 s3, s24, -1
	v_rcp_iflag_f32_e32 v1, v1
	s_abs_i32 s5, s3
	s_ashr_i32 s3, s3, 31
	s_waitcnt_depctr 0xfff
	v_mul_f32_e32 v1, 0x4f7ffffe, v1
	s_delay_alu instid0(VALU_DEP_1) | instskip(NEXT) | instid1(VALU_DEP_1)
	v_cvt_u32_f32_e32 v1, v1
	v_readfirstlane_b32 s2, v1
	s_delay_alu instid0(VALU_DEP_1) | instskip(NEXT) | instid1(SALU_CYCLE_1)
	s_mul_i32 s4, s4, s2
	s_mul_hi_u32 s4, s2, s4
	s_delay_alu instid0(SALU_CYCLE_1) | instskip(NEXT) | instid1(SALU_CYCLE_1)
	s_add_i32 s2, s2, s4
	s_mul_hi_u32 s2, s5, s2
	s_delay_alu instid0(SALU_CYCLE_1) | instskip(NEXT) | instid1(SALU_CYCLE_1)
	s_mul_i32 s4, s2, s12
	s_sub_i32 s4, s5, s4
	s_add_i32 s5, s2, 1
	s_sub_i32 s6, s4, s12
	s_cmp_ge_u32 s4, s12
	s_cselect_b32 s2, s5, s2
	s_cselect_b32 s4, s6, s4
	s_add_i32 s5, s2, 1
	s_cmp_ge_u32 s4, s12
	s_cselect_b32 s2, s5, s2
	s_abs_i32 s4, s26
	s_xor_b32 s2, s2, s3
	v_cvt_f32_u32_e32 v1, s4
	s_sub_i32 s6, 0, s4
	s_sub_i32 s2, s2, s3
	s_delay_alu instid0(VALU_DEP_1) | instskip(SKIP_2) | instid1(VALU_DEP_1)
	v_rcp_iflag_f32_e32 v1, v1
	s_waitcnt_depctr 0xfff
	v_mul_f32_e32 v1, 0x4f7ffffe, v1
	v_cvt_u32_f32_e32 v1, v1
	s_delay_alu instid0(VALU_DEP_1) | instskip(NEXT) | instid1(VALU_DEP_1)
	v_readfirstlane_b32 s5, v1
	s_mul_i32 s6, s6, s5
	s_delay_alu instid0(SALU_CYCLE_1)
	s_mul_hi_u32 s3, s5, s6
	s_abs_i32 s6, s2
	s_add_i32 s5, s5, s3
	s_xor_b32 s2, s2, s26
	s_mul_hi_u32 s3, s6, s5
	s_ashr_i32 s2, s2, 31
	s_mul_i32 s5, s3, s4
	s_delay_alu instid0(SALU_CYCLE_1)
	s_sub_i32 s5, s6, s5
	s_add_i32 s6, s3, 1
	s_sub_i32 s7, s5, s4
	s_cmp_ge_u32 s5, s4
	s_cselect_b32 s3, s6, s3
	s_cselect_b32 s5, s7, s5
	s_add_i32 s6, s3, 1
	s_cmp_ge_u32 s5, s4
	s_cselect_b32 s3, s6, s3
	s_delay_alu instid0(SALU_CYCLE_1) | instskip(NEXT) | instid1(SALU_CYCLE_1)
	s_xor_b32 s3, s3, s2
	s_sub_i32 s28, s3, s2
	s_delay_alu instid0(SALU_CYCLE_1)
	s_cmp_lt_i32 s28, 0
	s_cbranch_scc1 .LBB183_20
; %bb.1:
	s_clause 0x2
	s_load_b256 s[4:11], s[0:1], 0x8
	s_load_b64 s[2:3], s[0:1], 0x28
	s_load_b256 s[16:23], s[0:1], 0x30
	s_ashr_i32 s31, s15, 31
	s_lshr_b32 s30, s30, 16
	s_load_b64 s[0:1], s[0:1], 0x50
	v_cvt_f32_u32_e32 v1, s30
	v_dual_mov_b32 v23, 0 :: v_dual_and_b32 v12, 0x3ff, v0
	v_bfe_u32 v13, v0, 10, 10
	s_delay_alu instid0(VALU_DEP_3) | instskip(NEXT) | instid1(VALU_DEP_2)
	v_rcp_iflag_f32_e32 v1, v1
	v_lshl_add_u32 v24, v12, 4, 0
	s_delay_alu instid0(VALU_DEP_2)
	v_mad_u64_u32 v[14:15], null, s14, s30, v[13:14]
	s_waitcnt lgkmcnt(0)
	s_ashr_i32 s35, s6, 31
	s_mov_b32 s34, s6
	s_mul_i32 s6, s15, s9
	s_mul_hi_u32 s9, s15, s8
	s_mul_i32 s33, s31, s8
	s_add_i32 s6, s9, s6
	s_mul_i32 s8, s15, s8
	s_add_i32 s9, s6, s33
	s_mul_i32 s17, s15, s17
	s_lshl_b64 s[8:9], s[8:9], 4
	s_mul_hi_u32 s37, s15, s16
	s_add_u32 s8, s4, s8
	s_addc_u32 s9, s5, s9
	s_lshl_b64 s[4:5], s[34:35], 4
	s_mul_i32 s6, s31, s16
	s_add_u32 s33, s8, s4
	s_addc_u32 s34, s9, s5
	s_add_i32 s4, s37, s17
	s_mul_i32 s16, s15, s16
	s_add_i32 s17, s4, s6
	s_mov_b32 s36, s2
	s_lshl_b64 s[4:5], s[16:17], 4
	s_ashr_i32 s37, s2, 31
	s_add_u32 s2, s10, s4
	s_addc_u32 s10, s11, s5
	s_lshl_b64 s[4:5], s[36:37], 4
	s_mul_i32 s21, s15, s21
	s_mul_hi_u32 s9, s15, s20
	s_add_u32 s2, s2, s4
	s_mul_i32 s6, s31, s20
	s_addc_u32 s11, s10, s5
	s_add_i32 s4, s9, s21
	s_mul_i32 s8, s15, s20
	s_add_i32 s9, s4, s6
	s_mul_i32 s1, s15, s1
	s_lshl_b64 s[4:5], s[8:9], 4
	s_mul_hi_u32 s10, s15, s0
	s_add_u32 s6, s18, s4
	s_mul_i32 s31, s31, s0
	s_addc_u32 s8, s19, s5
	s_add_i32 s1, s10, s1
	s_mul_i32 s0, s15, s0
	s_add_i32 s1, s1, s31
	s_mul_hi_i32 s5, s3, s25
	s_lshl_b64 s[0:1], s[0:1], 4
	s_mul_i32 s4, s3, s25
	s_add_u32 s15, s22, s0
	s_addc_u32 s16, s23, s1
	s_lshl_b64 s[4:5], s[4:5], 4
	s_waitcnt_depctr 0xfff
	v_mul_f32_e32 v1, 0x4f7ffffe, v1
	s_ashr_i32 s1, s25, 31
	s_mov_b32 s0, s25
	s_add_u32 s9, s2, s4
	s_addc_u32 s10, s11, s5
	s_lshl_b64 s[0:1], s[0:1], 4
	v_cvt_u32_f32_e32 v1, v1
	s_add_u32 s17, s9, s0
	s_addc_u32 s18, s10, s1
	s_add_u32 s19, s33, s0
	s_addc_u32 s20, s34, s1
	;; [unrolled: 2-line block ×3, first 2 shown]
	v_readfirstlane_b32 s11, v1
	s_add_u32 s4, s15, s0
	s_addc_u32 s5, s16, s1
	s_sub_i32 s0, 0, s30
	s_add_i32 s1, s25, -1
	s_mul_i32 s0, s0, s11
	s_abs_i32 s15, s1
	s_mul_hi_u32 s0, s11, s0
	s_ashr_i32 s1, s1, 31
	s_add_i32 s11, s11, s0
	s_mul_i32 s31, s13, s12
	s_mul_hi_u32 s0, s15, s11
	s_delay_alu instid0(SALU_CYCLE_1) | instskip(NEXT) | instid1(SALU_CYCLE_1)
	s_mul_i32 s11, s0, s30
	s_sub_i32 s11, s15, s11
	s_add_i32 s15, s0, 1
	s_sub_i32 s16, s11, s30
	s_cmp_ge_u32 s11, s30
	s_cselect_b32 s0, s15, s0
	s_cselect_b32 s11, s16, s11
	s_add_i32 s15, s0, 1
	s_cmp_ge_u32 s11, s30
	v_cmp_gt_u16_e64 s16, s30, 1
	s_cselect_b32 s21, s15, s0
	s_abs_i32 s23, s27
	s_xor_b32 s21, s21, s1
	v_cvt_f32_u32_e32 v1, s23
	s_sub_i32 s33, 0, s23
	s_sub_i32 s1, s21, s1
	s_mul_i32 s15, s27, s30
	v_cmp_eq_u32_e64 s0, 0, v13
	v_rcp_iflag_f32_e32 v1, v1
	s_mul_i32 s11, s26, s12
	s_waitcnt_depctr 0xfff
	v_mul_f32_e32 v0, 0x4f7ffffe, v1
	v_mul_u32_u24_e32 v1, s12, v13
	s_delay_alu instid0(VALU_DEP_2) | instskip(NEXT) | instid1(VALU_DEP_2)
	v_cvt_u32_f32_e32 v0, v0
	v_lshl_add_u32 v25, v1, 4, v24
	v_mul_lo_u32 v1, s3, v14
	s_delay_alu instid0(VALU_DEP_3) | instskip(SKIP_2) | instid1(VALU_DEP_2)
	v_readfirstlane_b32 s14, v0
	v_mul_lo_u32 v0, s7, v14
	s_mul_i32 s7, s15, s7
	s_mul_i32 s33, s33, s14
	s_delay_alu instid0(VALU_DEP_3)
	v_add3_u32 v27, v12, v1, s31
	s_mul_hi_u32 s21, s14, s33
	s_abs_i32 s33, s1
	s_add_i32 s14, s14, s21
	s_xor_b32 s1, s1, s27
	s_mul_hi_u32 s14, s33, s14
	s_ashr_i32 s27, s1, 31
	s_mul_i32 s21, s14, s23
	v_add3_u32 v26, v12, v0, s31
	s_sub_i32 s1, s33, s21
	s_add_i32 s21, s14, 1
	s_sub_i32 s33, s1, s23
	s_cmp_ge_u32 s1, s23
	s_cselect_b32 s14, s21, s14
	s_cselect_b32 s1, s33, s1
	s_add_i32 s21, s14, 1
	s_cmp_ge_u32 s1, s23
	v_cmp_eq_u32_e64 s1, 0, v14
	s_cselect_b32 s14, s21, s14
	s_delay_alu instid0(SALU_CYCLE_1) | instskip(NEXT) | instid1(SALU_CYCLE_1)
	s_xor_b32 s14, s14, s27
	s_sub_i32 s23, s14, s27
	s_mul_i32 s27, s15, s3
	s_cmp_gt_i32 s23, -1
	s_cselect_b32 s14, -1, 0
	s_add_u32 s17, s17, 16
	s_addc_u32 s18, s18, 0
	s_add_u32 s19, s19, 16
	s_addc_u32 s20, s20, 0
	;; [unrolled: 2-line block ×3, first 2 shown]
	s_add_i32 s23, s23, 1
	s_branch .LBB183_3
.LBB183_2:                              ;   in Loop: Header=BB183_3 Depth=1
	s_or_b32 exec_lo, exec_lo, s2
	v_add_nc_u32_e32 v26, s11, v26
	v_add_nc_u32_e32 v27, s11, v27
	s_add_i32 s2, s29, 1
	s_cmp_eq_u32 s29, s28
	s_mov_b32 s29, s2
	s_cbranch_scc1 .LBB183_20
.LBB183_3:                              ; =>This Loop Header: Depth=1
                                        ;     Child Loop BB183_12 Depth 2
                                        ;     Child Loop BB183_9 Depth 2
	s_mul_i32 s2, s29, s26
	v_mov_b32_e32 v0, 0
	s_add_i32 s2, s2, s13
	v_mov_b32_e32 v1, 0
	v_mad_u64_u32 v[15:16], null, s2, s12, v[12:13]
	s_delay_alu instid0(VALU_DEP_2) | instskip(NEXT) | instid1(VALU_DEP_2)
	v_dual_mov_b32 v3, v1 :: v_dual_mov_b32 v2, v0
	v_cmp_gt_i32_e64 s2, s24, v15
	v_ashrrev_i32_e32 v16, 31, v15
	s_delay_alu instid0(VALU_DEP_2) | instskip(NEXT) | instid1(SALU_CYCLE_1)
	s_and_b32 s31, s1, s2
	s_and_saveexec_b32 s3, s31
	s_cbranch_execz .LBB183_5
; %bb.4:                                ;   in Loop: Header=BB183_3 Depth=1
	s_delay_alu instid0(VALU_DEP_1) | instskip(NEXT) | instid1(VALU_DEP_1)
	v_lshlrev_b64 v[0:1], 4, v[15:16]
	v_add_co_u32 v0, vcc_lo, s17, v0
	s_delay_alu instid0(VALU_DEP_2)
	v_add_co_ci_u32_e32 v1, vcc_lo, s18, v1, vcc_lo
	global_load_b128 v[0:3], v[0:1], off
.LBB183_5:                              ;   in Loop: Header=BB183_3 Depth=1
	s_or_b32 exec_lo, exec_lo, s3
	v_mov_b32_e32 v17, v14
	v_mov_b32_e32 v19, v27
	;; [unrolled: 1-line block ×3, first 2 shown]
	s_and_not1_b32 vcc_lo, exec_lo, s14
	s_mov_b32 s31, s23
	s_cbranch_vccz .LBB183_12
.LBB183_6:                              ;   in Loop: Header=BB183_3 Depth=1
	s_and_not1_b32 vcc_lo, exec_lo, s16
	s_mov_b32 s3, s30
	s_waitcnt vmcnt(0)
	ds_store_2addr_b64 v25, v[0:1], v[2:3] offset1:1
	s_waitcnt lgkmcnt(0)
	s_waitcnt_vscnt null, 0x0
	s_barrier
	buffer_gl0_inv
	s_cbranch_vccnz .LBB183_18
	.p2align	6
; %bb.7:                                ;   in Loop: Header=BB183_3 Depth=1
	s_lshr_b32 s31, s3, 1
	s_mov_b32 s33, exec_lo
	v_cmpx_gt_u32_e64 s31, v13
	s_cbranch_execz .LBB183_9
.LBB183_8:                              ;   in Loop: Header=BB183_3 Depth=1
	v_add_nc_u32_e32 v4, s31, v13
	s_delay_alu instid0(VALU_DEP_1) | instskip(NEXT) | instid1(VALU_DEP_1)
	v_mul_u32_u24_e32 v4, s12, v4
	v_lshl_add_u32 v4, v4, 4, v24
	ds_load_2addr_b64 v[4:7], v4 offset1:1
	s_waitcnt lgkmcnt(0)
	v_add_f64 v[0:1], v[0:1], v[4:5]
	v_add_f64 v[2:3], v[2:3], v[6:7]
	ds_store_2addr_b64 v25, v[0:1], v[2:3] offset1:1
.LBB183_9:                              ;   Parent Loop BB183_3 Depth=1
                                        ; =>  This Inner Loop Header: Depth=2
	s_or_b32 exec_lo, exec_lo, s33
	s_cmp_lt_u32 s3, 4
	s_waitcnt lgkmcnt(0)
	s_barrier
	buffer_gl0_inv
	s_cbranch_scc1 .LBB183_18
; %bb.10:                               ;   in Loop: Header=BB183_9 Depth=2
	s_mov_b32 s3, s31
	s_delay_alu instid0(SALU_CYCLE_1)
	s_lshr_b32 s31, s3, 1
	s_mov_b32 s33, exec_lo
	v_cmpx_gt_u32_e64 s31, v13
	s_cbranch_execnz .LBB183_8
	s_branch .LBB183_9
.LBB183_11:                             ;   in Loop: Header=BB183_12 Depth=2
	s_or_b32 exec_lo, exec_lo, s3
	v_add_nc_u32_e32 v21, s7, v21
	v_add_nc_u32_e32 v19, s27, v19
	;; [unrolled: 1-line block ×3, first 2 shown]
	s_add_i32 s31, s31, -1
	s_delay_alu instid0(SALU_CYCLE_1)
	s_cmp_eq_u32 s31, 0
	s_cbranch_scc1 .LBB183_6
.LBB183_12:                             ;   Parent Loop BB183_3 Depth=1
                                        ; =>  This Inner Loop Header: Depth=2
	s_waitcnt vmcnt(0)
	v_mov_b32_e32 v6, 0
	v_mov_b32_e32 v7, 0
	v_cmp_gt_i32_e32 vcc_lo, s25, v17
	v_ashrrev_i32_e32 v18, 31, v17
	s_delay_alu instid0(VALU_DEP_3)
	v_dual_mov_b32 v9, v7 :: v_dual_mov_b32 v8, v6
	v_dual_mov_b32 v11, v7 :: v_dual_mov_b32 v10, v6
	s_and_saveexec_b32 s33, vcc_lo
	s_cbranch_execz .LBB183_14
; %bb.13:                               ;   in Loop: Header=BB183_12 Depth=2
	v_lshlrev_b64 v[4:5], 4, v[17:18]
	s_delay_alu instid0(VALU_DEP_1) | instskip(NEXT) | instid1(VALU_DEP_1)
	v_add_co_u32 v4, s3, s6, v4
	v_add_co_ci_u32_e64 v5, s3, s8, v5, s3
	global_load_b128 v[8:11], v[4:5], off
.LBB183_14:                             ;   in Loop: Header=BB183_12 Depth=2
	s_or_b32 exec_lo, exec_lo, s33
	v_dual_mov_b32 v4, v6 :: v_dual_mov_b32 v5, v7
	s_and_saveexec_b32 s33, vcc_lo
	s_cbranch_execz .LBB183_16
; %bb.15:                               ;   in Loop: Header=BB183_12 Depth=2
	v_lshlrev_b64 v[4:5], 4, v[17:18]
	s_delay_alu instid0(VALU_DEP_1) | instskip(NEXT) | instid1(VALU_DEP_1)
	v_add_co_u32 v4, s3, s9, v4
	v_add_co_ci_u32_e64 v5, s3, s10, v5, s3
	global_load_b128 v[4:7], v[4:5], off
.LBB183_16:                             ;   in Loop: Header=BB183_12 Depth=2
	s_or_b32 exec_lo, exec_lo, s33
	s_and_b32 s33, s2, vcc_lo
	s_delay_alu instid0(SALU_CYCLE_1)
	s_and_saveexec_b32 s3, s33
	s_cbranch_execz .LBB183_11
; %bb.17:                               ;   in Loop: Header=BB183_12 Depth=2
	v_ashrrev_i32_e32 v22, 31, v21
	v_ashrrev_i32_e32 v20, 31, v19
	s_delay_alu instid0(VALU_DEP_2) | instskip(NEXT) | instid1(VALU_DEP_2)
	v_lshlrev_b64 v[28:29], 4, v[21:22]
	v_lshlrev_b64 v[30:31], 4, v[19:20]
	s_delay_alu instid0(VALU_DEP_2) | instskip(NEXT) | instid1(VALU_DEP_3)
	v_add_co_u32 v28, vcc_lo, s19, v28
	v_add_co_ci_u32_e32 v29, vcc_lo, s20, v29, vcc_lo
	s_delay_alu instid0(VALU_DEP_3) | instskip(NEXT) | instid1(VALU_DEP_4)
	v_add_co_u32 v32, vcc_lo, s21, v30
	v_add_co_ci_u32_e32 v33, vcc_lo, s22, v31, vcc_lo
	global_load_b128 v[28:31], v[28:29], off
	global_load_b128 v[32:35], v[32:33], off
	s_waitcnt vmcnt(1)
	v_mul_f64 v[36:37], v[10:11], v[30:31]
	v_mul_f64 v[30:31], v[8:9], v[30:31]
	s_waitcnt vmcnt(0)
	v_mul_f64 v[38:39], v[6:7], v[34:35]
	v_mul_f64 v[34:35], v[4:5], v[34:35]
	s_delay_alu instid0(VALU_DEP_4) | instskip(NEXT) | instid1(VALU_DEP_4)
	v_fma_f64 v[8:9], v[8:9], v[28:29], -v[36:37]
	v_fma_f64 v[10:11], v[10:11], v[28:29], v[30:31]
	s_delay_alu instid0(VALU_DEP_4) | instskip(NEXT) | instid1(VALU_DEP_4)
	v_fma_f64 v[4:5], v[4:5], v[32:33], -v[38:39]
	v_fma_f64 v[6:7], v[6:7], v[32:33], v[34:35]
	s_delay_alu instid0(VALU_DEP_2) | instskip(NEXT) | instid1(VALU_DEP_2)
	v_add_f64 v[4:5], v[8:9], v[4:5]
	v_add_f64 v[6:7], v[10:11], v[6:7]
	s_delay_alu instid0(VALU_DEP_2) | instskip(NEXT) | instid1(VALU_DEP_2)
	v_add_f64 v[0:1], v[0:1], -v[4:5]
	v_add_f64 v[2:3], v[2:3], -v[6:7]
	s_branch .LBB183_11
.LBB183_18:                             ;   in Loop: Header=BB183_3 Depth=1
	s_and_b32 s3, s0, s2
	s_delay_alu instid0(SALU_CYCLE_1)
	s_and_saveexec_b32 s2, s3
	s_cbranch_execz .LBB183_2
; %bb.19:                               ;   in Loop: Header=BB183_3 Depth=1
	global_load_b128 v[4:7], v23, s[4:5]
	s_waitcnt vmcnt(0)
	v_mul_f64 v[8:9], v[2:3], v[6:7]
	v_mul_f64 v[6:7], v[0:1], v[6:7]
	s_delay_alu instid0(VALU_DEP_2) | instskip(NEXT) | instid1(VALU_DEP_2)
	v_fma_f64 v[0:1], v[0:1], v[4:5], -v[8:9]
	v_fma_f64 v[2:3], v[2:3], v[4:5], v[6:7]
	v_lshlrev_b64 v[4:5], 4, v[15:16]
	s_delay_alu instid0(VALU_DEP_1) | instskip(NEXT) | instid1(VALU_DEP_2)
	v_add_co_u32 v4, vcc_lo, s17, v4
	v_add_co_ci_u32_e32 v5, vcc_lo, s18, v5, vcc_lo
	global_store_b128 v[4:5], v[0:3], off
	s_branch .LBB183_2
.LBB183_20:
	s_nop 0
	s_sendmsg sendmsg(MSG_DEALLOC_VGPRS)
	s_endpgm
	.section	.rodata,"a",@progbits
	.p2align	6, 0x0
	.amdhsa_kernel _ZN9rocsolver6v33100L26latrd_lower_updateW_kernelI19rocblas_complex_numIdEPS3_EEviiT0_iilPT_iilS7_lS7_l
		.amdhsa_group_segment_fixed_size 0
		.amdhsa_private_segment_fixed_size 0
		.amdhsa_kernarg_size 344
		.amdhsa_user_sgpr_count 13
		.amdhsa_user_sgpr_dispatch_ptr 0
		.amdhsa_user_sgpr_queue_ptr 0
		.amdhsa_user_sgpr_kernarg_segment_ptr 1
		.amdhsa_user_sgpr_dispatch_id 0
		.amdhsa_user_sgpr_private_segment_size 0
		.amdhsa_wavefront_size32 1
		.amdhsa_uses_dynamic_stack 0
		.amdhsa_enable_private_segment 0
		.amdhsa_system_sgpr_workgroup_id_x 1
		.amdhsa_system_sgpr_workgroup_id_y 1
		.amdhsa_system_sgpr_workgroup_id_z 1
		.amdhsa_system_sgpr_workgroup_info 0
		.amdhsa_system_vgpr_workitem_id 1
		.amdhsa_next_free_vgpr 40
		.amdhsa_next_free_sgpr 38
		.amdhsa_reserve_vcc 1
		.amdhsa_float_round_mode_32 0
		.amdhsa_float_round_mode_16_64 0
		.amdhsa_float_denorm_mode_32 3
		.amdhsa_float_denorm_mode_16_64 3
		.amdhsa_dx10_clamp 1
		.amdhsa_ieee_mode 1
		.amdhsa_fp16_overflow 0
		.amdhsa_workgroup_processor_mode 1
		.amdhsa_memory_ordered 1
		.amdhsa_forward_progress 0
		.amdhsa_shared_vgpr_count 0
		.amdhsa_exception_fp_ieee_invalid_op 0
		.amdhsa_exception_fp_denorm_src 0
		.amdhsa_exception_fp_ieee_div_zero 0
		.amdhsa_exception_fp_ieee_overflow 0
		.amdhsa_exception_fp_ieee_underflow 0
		.amdhsa_exception_fp_ieee_inexact 0
		.amdhsa_exception_int_div_zero 0
	.end_amdhsa_kernel
	.section	.text._ZN9rocsolver6v33100L26latrd_lower_updateW_kernelI19rocblas_complex_numIdEPS3_EEviiT0_iilPT_iilS7_lS7_l,"axG",@progbits,_ZN9rocsolver6v33100L26latrd_lower_updateW_kernelI19rocblas_complex_numIdEPS3_EEviiT0_iilPT_iilS7_lS7_l,comdat
.Lfunc_end183:
	.size	_ZN9rocsolver6v33100L26latrd_lower_updateW_kernelI19rocblas_complex_numIdEPS3_EEviiT0_iilPT_iilS7_lS7_l, .Lfunc_end183-_ZN9rocsolver6v33100L26latrd_lower_updateW_kernelI19rocblas_complex_numIdEPS3_EEviiT0_iilPT_iilS7_lS7_l
                                        ; -- End function
	.section	.AMDGPU.csdata,"",@progbits
; Kernel info:
; codeLenInByte = 1872
; NumSgprs: 40
; NumVgprs: 40
; ScratchSize: 0
; MemoryBound: 1
; FloatMode: 240
; IeeeMode: 1
; LDSByteSize: 0 bytes/workgroup (compile time only)
; SGPRBlocks: 4
; VGPRBlocks: 4
; NumSGPRsForWavesPerEU: 40
; NumVGPRsForWavesPerEU: 40
; Occupancy: 16
; WaveLimiterHint : 0
; COMPUTE_PGM_RSRC2:SCRATCH_EN: 0
; COMPUTE_PGM_RSRC2:USER_SGPR: 13
; COMPUTE_PGM_RSRC2:TRAP_HANDLER: 0
; COMPUTE_PGM_RSRC2:TGID_X_EN: 1
; COMPUTE_PGM_RSRC2:TGID_Y_EN: 1
; COMPUTE_PGM_RSRC2:TGID_Z_EN: 1
; COMPUTE_PGM_RSRC2:TIDIG_COMP_CNT: 1
	.section	.text._ZN9rocsolver6v33100L20latrd_dot_scale_axpyILi1024E19rocblas_complex_numIdEiPS3_EEvT1_T2_llPT0_llS8_l,"axG",@progbits,_ZN9rocsolver6v33100L20latrd_dot_scale_axpyILi1024E19rocblas_complex_numIdEiPS3_EEvT1_T2_llPT0_llS8_l,comdat
	.globl	_ZN9rocsolver6v33100L20latrd_dot_scale_axpyILi1024E19rocblas_complex_numIdEiPS3_EEvT1_T2_llPT0_llS8_l ; -- Begin function _ZN9rocsolver6v33100L20latrd_dot_scale_axpyILi1024E19rocblas_complex_numIdEiPS3_EEvT1_T2_llPT0_llS8_l
	.p2align	8
	.type	_ZN9rocsolver6v33100L20latrd_dot_scale_axpyILi1024E19rocblas_complex_numIdEiPS3_EEvT1_T2_llPT0_llS8_l,@function
_ZN9rocsolver6v33100L20latrd_dot_scale_axpyILi1024E19rocblas_complex_numIdEiPS3_EEvT1_T2_llPT0_llS8_l: ; @_ZN9rocsolver6v33100L20latrd_dot_scale_axpyILi1024E19rocblas_complex_numIdEiPS3_EEvT1_T2_llPT0_llS8_l
; %bb.0:
	s_clause 0x1
	s_load_b512 s[16:31], s[0:1], 0x8
	s_load_b32 s1, s[0:1], 0x0
	s_ashr_i32 s10, s15, 31
	v_mov_b32_e32 v1, 0
	v_dual_mov_b32 v2, 0 :: v_dual_lshlrev_b32 v5, 4, v0
	v_or_b32_e32 v6, 0x400, v0
	s_delay_alu instid0(VALU_DEP_2)
	v_dual_mov_b32 v4, v2 :: v_dual_mov_b32 v3, v1
	s_waitcnt lgkmcnt(0)
	s_mul_i32 s0, s15, s21
	s_mul_hi_u32 s2, s15, s20
	s_mul_i32 s3, s10, s20
	s_add_i32 s0, s2, s0
	s_mul_i32 s2, s15, s20
	s_add_i32 s3, s0, s3
	s_mul_i32 s0, s15, s27
	s_lshl_b64 s[2:3], s[2:3], 4
	s_mul_hi_u32 s4, s15, s26
	s_add_u32 s5, s16, s2
	s_addc_u32 s6, s17, s3
	s_lshl_b64 s[2:3], s[18:19], 4
	s_mul_i32 s7, s10, s26
	s_add_u32 s2, s5, s2
	s_addc_u32 s3, s6, s3
	s_add_i32 s0, s4, s0
	s_mul_i32 s4, s15, s26
	s_add_i32 s5, s0, s7
	v_cmp_gt_i32_e32 vcc_lo, s1, v0
	s_lshl_b64 s[4:5], s[4:5], 4
	s_delay_alu instid0(SALU_CYCLE_1) | instskip(SKIP_2) | instid1(SALU_CYCLE_1)
	s_add_u32 s0, s22, s4
	s_addc_u32 s6, s23, s5
	s_lshl_b64 s[4:5], s[24:25], 4
	s_add_u32 s4, s0, s4
	s_addc_u32 s5, s6, s5
	s_and_saveexec_b32 s11, vcc_lo
	s_cbranch_execz .LBB184_6
; %bb.1:
	s_clause 0x1
	global_load_b128 v[8:11], v5, s[2:3]
	global_load_b128 v[12:15], v5, s[4:5]
	v_or_b32_e32 v7, 0x400, v0
	s_mov_b32 s12, exec_lo
	s_waitcnt vmcnt(1)
	ds_store_b128 v5, v[8:11]
	s_waitcnt vmcnt(0)
	ds_store_b128 v5, v[12:15] offset:16384
	v_mul_f64 v[1:2], v[10:11], v[14:15]
	v_mul_f64 v[3:4], v[8:9], v[14:15]
	s_delay_alu instid0(VALU_DEP_2) | instskip(NEXT) | instid1(VALU_DEP_2)
	v_fma_f64 v[1:2], v[8:9], v[12:13], v[1:2]
	v_fma_f64 v[3:4], v[10:11], v[12:13], -v[3:4]
	s_delay_alu instid0(VALU_DEP_2) | instskip(NEXT) | instid1(VALU_DEP_2)
	v_add_f64 v[1:2], v[1:2], 0
	v_add_f64 v[3:4], v[3:4], 0
	v_cmpx_gt_u32_e64 s1, v7
	s_cbranch_execz .LBB184_5
; %bb.2:
	s_mov_b32 s13, 0
	s_mov_b64 s[6:7], s[4:5]
	s_mov_b64 s[8:9], s[2:3]
	s_set_inst_prefetch_distance 0x1
	.p2align	6
.LBB184_3:                              ; =>This Inner Loop Header: Depth=1
	s_add_u32 s6, s6, 0x4000
	s_addc_u32 s7, s7, 0
	v_add_co_u32 v8, s0, s6, v5
	s_add_u32 s8, s8, 0x4000
	v_add_co_ci_u32_e64 v9, null, s7, 0, s0
	s_addc_u32 s9, s9, 0
	v_add_co_u32 v12, s0, s8, v5
	s_delay_alu instid0(VALU_DEP_1) | instskip(SKIP_3) | instid1(VALU_DEP_1)
	v_add_co_ci_u32_e64 v13, null, s9, 0, s0
	global_load_b128 v[8:11], v[8:9], off
	global_load_b128 v[12:15], v[12:13], off
	v_add_nc_u32_e32 v7, 0x400, v7
	v_cmp_le_i32_e64 s0, s1, v7
	s_delay_alu instid0(VALU_DEP_1) | instskip(SKIP_3) | instid1(VALU_DEP_2)
	s_or_b32 s13, s0, s13
	s_waitcnt vmcnt(0)
	v_mul_f64 v[16:17], v[14:15], v[10:11]
	v_mul_f64 v[10:11], v[12:13], v[10:11]
	v_fma_f64 v[12:13], v[12:13], v[8:9], v[16:17]
	s_delay_alu instid0(VALU_DEP_2) | instskip(NEXT) | instid1(VALU_DEP_2)
	v_fma_f64 v[8:9], v[14:15], v[8:9], -v[10:11]
	v_add_f64 v[1:2], v[1:2], v[12:13]
	s_delay_alu instid0(VALU_DEP_2)
	v_add_f64 v[3:4], v[3:4], v[8:9]
	s_and_not1_b32 exec_lo, exec_lo, s13
	s_cbranch_execnz .LBB184_3
; %bb.4:
	s_set_inst_prefetch_distance 0x2
	s_or_b32 exec_lo, exec_lo, s13
.LBB184_5:
	s_delay_alu instid0(SALU_CYCLE_1)
	s_or_b32 exec_lo, exec_lo, s12
.LBB184_6:
	s_delay_alu instid0(SALU_CYCLE_1) | instskip(SKIP_2) | instid1(VALU_DEP_1)
	s_or_b32 exec_lo, exec_lo, s11
	v_mbcnt_lo_u32_b32 v11, -1, 0
	s_mov_b32 s6, exec_lo
	v_cmp_ne_u32_e64 s0, 31, v11
	s_delay_alu instid0(VALU_DEP_1) | instskip(SKIP_1) | instid1(VALU_DEP_2)
	v_add_co_ci_u32_e64 v7, s0, 0, v11, s0
	v_cmp_gt_u32_e64 s0, 30, v11
	v_lshlrev_b32_e32 v10, 2, v7
	ds_bpermute_b32 v7, v10, v1
	ds_bpermute_b32 v8, v10, v2
	ds_bpermute_b32 v9, v10, v3
	ds_bpermute_b32 v10, v10, v4
	s_waitcnt lgkmcnt(2)
	v_add_f64 v[1:2], v[1:2], v[7:8]
	v_cndmask_b32_e64 v7, 0, 1, s0
	s_waitcnt lgkmcnt(0)
	v_add_f64 v[3:4], v[3:4], v[9:10]
	v_cmp_gt_u32_e64 s0, 28, v11
	s_delay_alu instid0(VALU_DEP_3) | instskip(NEXT) | instid1(VALU_DEP_1)
	v_lshlrev_b32_e32 v7, 1, v7
	v_add_lshl_u32 v10, v7, v11, 2
	ds_bpermute_b32 v7, v10, v1
	ds_bpermute_b32 v8, v10, v2
	ds_bpermute_b32 v9, v10, v3
	ds_bpermute_b32 v10, v10, v4
	s_waitcnt lgkmcnt(2)
	v_add_f64 v[1:2], v[1:2], v[7:8]
	v_cndmask_b32_e64 v7, 0, 1, s0
	s_waitcnt lgkmcnt(0)
	v_add_f64 v[3:4], v[3:4], v[9:10]
	v_cmp_gt_u32_e64 s0, 24, v11
	s_delay_alu instid0(VALU_DEP_3) | instskip(NEXT) | instid1(VALU_DEP_1)
	v_lshlrev_b32_e32 v7, 2, v7
	v_add_lshl_u32 v10, v7, v11, 2
	;; [unrolled: 13-line block ×3, first 2 shown]
	ds_bpermute_b32 v7, v10, v1
	ds_bpermute_b32 v8, v10, v2
	;; [unrolled: 1-line block ×4, first 2 shown]
	s_waitcnt lgkmcnt(2)
	v_add_f64 v[1:2], v[1:2], v[7:8]
	v_cndmask_b32_e64 v7, 0, 1, s0
	s_waitcnt lgkmcnt(0)
	v_add_f64 v[3:4], v[3:4], v[9:10]
	s_delay_alu instid0(VALU_DEP_2) | instskip(NEXT) | instid1(VALU_DEP_1)
	v_lshlrev_b32_e32 v7, 4, v7
	v_add_lshl_u32 v10, v7, v11, 2
	ds_bpermute_b32 v7, v10, v1
	ds_bpermute_b32 v8, v10, v2
	ds_bpermute_b32 v9, v10, v3
	ds_bpermute_b32 v10, v10, v4
	s_waitcnt lgkmcnt(2)
	v_add_f64 v[1:2], v[1:2], v[7:8]
	v_and_b32_e32 v7, 31, v0
	s_waitcnt lgkmcnt(0)
	v_add_f64 v[3:4], v[3:4], v[9:10]
	s_delay_alu instid0(VALU_DEP_2)
	v_cmpx_eq_u32_e32 0, v7
	s_cbranch_execz .LBB184_8
; %bb.7:
	v_lshrrev_b32_e32 v7, 1, v0
	ds_store_b128 v7, v[1:4] offset:32768
.LBB184_8:
	s_or_b32 exec_lo, exec_lo, s6
	s_delay_alu instid0(SALU_CYCLE_1)
	s_mov_b32 s6, exec_lo
	s_waitcnt lgkmcnt(0)
	s_barrier
	buffer_gl0_inv
	v_cmpx_eq_u32_e32 0, v0
	s_cbranch_execz .LBB184_10
; %bb.9:
	v_mov_b32_e32 v0, 0
	s_mul_i32 s0, s15, s31
	s_mul_hi_u32 s7, s15, s30
	s_mul_i32 s9, s10, s30
	s_add_i32 s0, s7, s0
	ds_load_b128 v[7:10], v0 offset:32784
	ds_load_b128 v[11:14], v0 offset:32800
	s_mul_i32 s8, s15, s30
	s_add_i32 s9, s0, s9
	s_delay_alu instid0(SALU_CYCLE_1) | instskip(NEXT) | instid1(SALU_CYCLE_1)
	s_lshl_b64 s[8:9], s[8:9], 4
	s_add_u32 s8, s28, s8
	s_addc_u32 s9, s29, s9
	s_waitcnt lgkmcnt(1)
	v_add_f64 v[3:4], v[3:4], v[9:10]
	v_add_f64 v[1:2], v[1:2], v[7:8]
	s_waitcnt lgkmcnt(0)
	s_delay_alu instid0(VALU_DEP_2) | instskip(NEXT) | instid1(VALU_DEP_2)
	v_add_f64 v[13:14], v[3:4], v[13:14]
	v_add_f64 v[11:12], v[1:2], v[11:12]
	ds_load_b128 v[1:4], v0 offset:32816
	ds_load_b128 v[7:10], v0 offset:32832
	s_waitcnt lgkmcnt(1)
	v_add_f64 v[3:4], v[13:14], v[3:4]
	v_add_f64 v[1:2], v[11:12], v[1:2]
	s_waitcnt lgkmcnt(0)
	s_delay_alu instid0(VALU_DEP_2) | instskip(NEXT) | instid1(VALU_DEP_2)
	v_add_f64 v[11:12], v[3:4], v[9:10]
	v_add_f64 v[13:14], v[1:2], v[7:8]
	ds_load_b128 v[1:4], v0 offset:32848
	ds_load_b128 v[7:10], v0 offset:32864
	;; [unrolled: 9-line block ×14, first 2 shown]
	s_load_b128 s[8:11], s[8:9], 0x0
	s_waitcnt lgkmcnt(0)
	v_add_f64 v[3:4], v[11:12], v[3:4]
	v_add_f64 v[1:2], v[13:14], v[1:2]
	v_mul_f64 v[11:12], s[10:11], -0.5
	s_delay_alu instid0(VALU_DEP_3) | instskip(NEXT) | instid1(VALU_DEP_3)
	v_add_f64 v[9:10], v[3:4], v[9:10]
	v_add_f64 v[7:8], v[1:2], v[7:8]
	ds_load_b128 v[1:4], v0 offset:33264
	s_waitcnt lgkmcnt(0)
	v_add_f64 v[3:4], v[9:10], v[3:4]
	v_add_f64 v[1:2], v[7:8], v[1:2]
	v_mul_f64 v[7:8], s[8:9], -0.5
	s_delay_alu instid0(VALU_DEP_3) | instskip(NEXT) | instid1(VALU_DEP_3)
	v_mul_f64 v[9:10], v[3:4], v[11:12]
	v_mul_f64 v[11:12], v[1:2], v[11:12]
	s_delay_alu instid0(VALU_DEP_2) | instskip(NEXT) | instid1(VALU_DEP_2)
	v_fma_f64 v[1:2], v[1:2], v[7:8], -v[9:10]
	v_fma_f64 v[3:4], v[3:4], v[7:8], v[11:12]
	ds_store_b128 v0, v[1:4] offset:32768
.LBB184_10:
	s_or_b32 exec_lo, exec_lo, s6
	s_waitcnt lgkmcnt(0)
	s_barrier
	buffer_gl0_inv
	s_and_saveexec_b32 s0, vcc_lo
	s_cbranch_execz .LBB184_14
; %bb.11:
	v_mov_b32_e32 v0, 0
	v_cmp_gt_i32_e32 vcc_lo, s1, v6
	ds_load_b128 v[0:3], v0 offset:32768
	ds_load_b128 v[7:10], v5
	s_waitcnt lgkmcnt(0)
	v_mul_f64 v[11:12], v[9:10], v[2:3]
	v_mul_f64 v[13:14], v[7:8], v[2:3]
	s_delay_alu instid0(VALU_DEP_2) | instskip(NEXT) | instid1(VALU_DEP_2)
	v_fma_f64 v[11:12], v[7:8], v[0:1], -v[11:12]
	v_fma_f64 v[13:14], v[9:10], v[0:1], v[13:14]
	ds_load_b128 v[7:10], v5 offset:16384
	s_waitcnt lgkmcnt(0)
	v_add_f64 v[7:8], v[7:8], v[11:12]
	v_add_f64 v[9:10], v[9:10], v[13:14]
	global_store_b128 v5, v[7:10], s[4:5]
	s_and_b32 exec_lo, exec_lo, vcc_lo
	s_cbranch_execz .LBB184_14
; %bb.12:
	s_mov_b32 s0, 0
	s_set_inst_prefetch_distance 0x1
	.p2align	6
.LBB184_13:                             ; =>This Inner Loop Header: Depth=1
	s_add_u32 s4, s4, 0x4000
	s_addc_u32 s5, s5, 0
	s_add_u32 s2, s2, 0x4000
	s_addc_u32 s3, s3, 0
	v_add_co_u32 v7, s6, s2, v5
	s_delay_alu instid0(VALU_DEP_1) | instskip(SKIP_1) | instid1(VALU_DEP_1)
	v_add_co_ci_u32_e64 v8, null, s3, 0, s6
	v_add_co_u32 v15, s6, s4, v5
	v_add_co_ci_u32_e64 v16, null, s5, 0, s6
	global_load_b128 v[7:10], v[7:8], off
	v_add_nc_u32_e32 v6, 0x400, v6
	global_load_b128 v[11:14], v[15:16], off
	v_cmp_le_i32_e32 vcc_lo, s1, v6
	s_or_b32 s0, vcc_lo, s0
	s_waitcnt vmcnt(1)
	v_mul_f64 v[17:18], v[9:10], v[2:3]
	v_mul_f64 v[19:20], v[7:8], v[2:3]
	s_delay_alu instid0(VALU_DEP_2) | instskip(NEXT) | instid1(VALU_DEP_2)
	v_fma_f64 v[7:8], v[7:8], v[0:1], -v[17:18]
	v_fma_f64 v[9:10], v[9:10], v[0:1], v[19:20]
	s_waitcnt vmcnt(0)
	s_delay_alu instid0(VALU_DEP_2) | instskip(NEXT) | instid1(VALU_DEP_2)
	v_add_f64 v[7:8], v[11:12], v[7:8]
	v_add_f64 v[9:10], v[13:14], v[9:10]
	global_store_b128 v[15:16], v[7:10], off
	s_and_not1_b32 exec_lo, exec_lo, s0
	s_cbranch_execnz .LBB184_13
.LBB184_14:
	s_set_inst_prefetch_distance 0x2
	s_nop 0
	s_sendmsg sendmsg(MSG_DEALLOC_VGPRS)
	s_endpgm
	.section	.rodata,"a",@progbits
	.p2align	6, 0x0
	.amdhsa_kernel _ZN9rocsolver6v33100L20latrd_dot_scale_axpyILi1024E19rocblas_complex_numIdEiPS3_EEvT1_T2_llPT0_llS8_l
		.amdhsa_group_segment_fixed_size 33280
		.amdhsa_private_segment_fixed_size 0
		.amdhsa_kernarg_size 72
		.amdhsa_user_sgpr_count 14
		.amdhsa_user_sgpr_dispatch_ptr 0
		.amdhsa_user_sgpr_queue_ptr 0
		.amdhsa_user_sgpr_kernarg_segment_ptr 1
		.amdhsa_user_sgpr_dispatch_id 0
		.amdhsa_user_sgpr_private_segment_size 0
		.amdhsa_wavefront_size32 1
		.amdhsa_uses_dynamic_stack 0
		.amdhsa_enable_private_segment 0
		.amdhsa_system_sgpr_workgroup_id_x 1
		.amdhsa_system_sgpr_workgroup_id_y 0
		.amdhsa_system_sgpr_workgroup_id_z 1
		.amdhsa_system_sgpr_workgroup_info 0
		.amdhsa_system_vgpr_workitem_id 0
		.amdhsa_next_free_vgpr 21
		.amdhsa_next_free_sgpr 32
		.amdhsa_reserve_vcc 1
		.amdhsa_float_round_mode_32 0
		.amdhsa_float_round_mode_16_64 0
		.amdhsa_float_denorm_mode_32 3
		.amdhsa_float_denorm_mode_16_64 3
		.amdhsa_dx10_clamp 1
		.amdhsa_ieee_mode 1
		.amdhsa_fp16_overflow 0
		.amdhsa_workgroup_processor_mode 1
		.amdhsa_memory_ordered 1
		.amdhsa_forward_progress 0
		.amdhsa_shared_vgpr_count 0
		.amdhsa_exception_fp_ieee_invalid_op 0
		.amdhsa_exception_fp_denorm_src 0
		.amdhsa_exception_fp_ieee_div_zero 0
		.amdhsa_exception_fp_ieee_overflow 0
		.amdhsa_exception_fp_ieee_underflow 0
		.amdhsa_exception_fp_ieee_inexact 0
		.amdhsa_exception_int_div_zero 0
	.end_amdhsa_kernel
	.section	.text._ZN9rocsolver6v33100L20latrd_dot_scale_axpyILi1024E19rocblas_complex_numIdEiPS3_EEvT1_T2_llPT0_llS8_l,"axG",@progbits,_ZN9rocsolver6v33100L20latrd_dot_scale_axpyILi1024E19rocblas_complex_numIdEiPS3_EEvT1_T2_llPT0_llS8_l,comdat
.Lfunc_end184:
	.size	_ZN9rocsolver6v33100L20latrd_dot_scale_axpyILi1024E19rocblas_complex_numIdEiPS3_EEvT1_T2_llPT0_llS8_l, .Lfunc_end184-_ZN9rocsolver6v33100L20latrd_dot_scale_axpyILi1024E19rocblas_complex_numIdEiPS3_EEvT1_T2_llPT0_llS8_l
                                        ; -- End function
	.section	.AMDGPU.csdata,"",@progbits
; Kernel info:
; codeLenInByte = 2384
; NumSgprs: 34
; NumVgprs: 21
; ScratchSize: 0
; MemoryBound: 0
; FloatMode: 240
; IeeeMode: 1
; LDSByteSize: 33280 bytes/workgroup (compile time only)
; SGPRBlocks: 4
; VGPRBlocks: 2
; NumSGPRsForWavesPerEU: 34
; NumVGPRsForWavesPerEU: 21
; Occupancy: 16
; WaveLimiterHint : 0
; COMPUTE_PGM_RSRC2:SCRATCH_EN: 0
; COMPUTE_PGM_RSRC2:USER_SGPR: 14
; COMPUTE_PGM_RSRC2:TRAP_HANDLER: 0
; COMPUTE_PGM_RSRC2:TGID_X_EN: 1
; COMPUTE_PGM_RSRC2:TGID_Y_EN: 0
; COMPUTE_PGM_RSRC2:TGID_Z_EN: 1
; COMPUTE_PGM_RSRC2:TIDIG_COMP_CNT: 0
	.section	.text._ZN9rocsolver6v33100L26latrd_upper_updateA_kernelI19rocblas_complex_numIdEPS3_EEviiiT0_iilPT_iil,"axG",@progbits,_ZN9rocsolver6v33100L26latrd_upper_updateA_kernelI19rocblas_complex_numIdEPS3_EEviiiT0_iilPT_iil,comdat
	.globl	_ZN9rocsolver6v33100L26latrd_upper_updateA_kernelI19rocblas_complex_numIdEPS3_EEviiiT0_iilPT_iil ; -- Begin function _ZN9rocsolver6v33100L26latrd_upper_updateA_kernelI19rocblas_complex_numIdEPS3_EEviiiT0_iilPT_iil
	.p2align	8
	.type	_ZN9rocsolver6v33100L26latrd_upper_updateA_kernelI19rocblas_complex_numIdEPS3_EEviiiT0_iilPT_iil,@function
_ZN9rocsolver6v33100L26latrd_upper_updateA_kernelI19rocblas_complex_numIdEPS3_EEviiiT0_iilPT_iil: ; @_ZN9rocsolver6v33100L26latrd_upper_updateA_kernelI19rocblas_complex_numIdEPS3_EEviiiT0_iilPT_iil
; %bb.0:
	s_clause 0x2
	s_load_b32 s2, s[0:1], 0x4c
	s_load_b128 s[16:19], s[0:1], 0x0
	s_load_b64 s[24:25], s[0:1], 0x40
	s_mov_b32 s27, 0
	s_waitcnt lgkmcnt(0)
	s_and_b32 s12, s2, 0xffff
	s_abs_i32 s5, s18
	v_cvt_f32_u32_e32 v1, s12
	s_sub_i32 s4, 0, s12
	s_ashr_i32 s19, s18, 31
	s_delay_alu instid0(VALU_DEP_1) | instskip(SKIP_2) | instid1(VALU_DEP_1)
	v_rcp_iflag_f32_e32 v1, v1
	s_waitcnt_depctr 0xfff
	v_mul_f32_e32 v1, 0x4f7ffffe, v1
	v_cvt_u32_f32_e32 v1, v1
	s_delay_alu instid0(VALU_DEP_1) | instskip(NEXT) | instid1(VALU_DEP_1)
	v_readfirstlane_b32 s3, v1
	s_mul_i32 s4, s4, s3
	s_delay_alu instid0(SALU_CYCLE_1) | instskip(NEXT) | instid1(SALU_CYCLE_1)
	s_mul_hi_u32 s4, s3, s4
	s_add_i32 s3, s3, s4
	s_delay_alu instid0(SALU_CYCLE_1) | instskip(NEXT) | instid1(SALU_CYCLE_1)
	s_mul_hi_u32 s3, s5, s3
	s_mul_i32 s4, s3, s12
	s_delay_alu instid0(SALU_CYCLE_1)
	s_sub_i32 s4, s5, s4
	s_add_i32 s5, s3, 1
	s_sub_i32 s6, s4, s12
	s_cmp_ge_u32 s4, s12
	s_cselect_b32 s3, s5, s3
	s_cselect_b32 s4, s6, s4
	s_add_i32 s5, s3, 1
	s_cmp_ge_u32 s4, s12
	s_cselect_b32 s3, s5, s3
	s_abs_i32 s4, s24
	s_xor_b32 s3, s3, s19
	v_cvt_f32_u32_e32 v1, s4
	s_sub_i32 s6, 0, s4
	s_sub_i32 s3, s3, s19
	s_delay_alu instid0(SALU_CYCLE_1) | instskip(NEXT) | instid1(VALU_DEP_1)
	s_abs_i32 s7, s3
	v_rcp_iflag_f32_e32 v1, v1
	s_xor_b32 s3, s3, s24
	s_delay_alu instid0(SALU_CYCLE_1) | instskip(SKIP_2) | instid1(VALU_DEP_1)
	s_ashr_i32 s3, s3, 31
	s_waitcnt_depctr 0xfff
	v_mul_f32_e32 v1, 0x4f7ffffe, v1
	v_cvt_u32_f32_e32 v1, v1
	s_delay_alu instid0(VALU_DEP_1) | instskip(NEXT) | instid1(VALU_DEP_1)
	v_readfirstlane_b32 s5, v1
	s_mul_i32 s6, s6, s5
	s_delay_alu instid0(SALU_CYCLE_1) | instskip(NEXT) | instid1(SALU_CYCLE_1)
	s_mul_hi_u32 s6, s5, s6
	s_add_i32 s5, s5, s6
	s_delay_alu instid0(SALU_CYCLE_1) | instskip(NEXT) | instid1(SALU_CYCLE_1)
	s_mul_hi_u32 s5, s7, s5
	s_mul_i32 s6, s5, s4
	s_delay_alu instid0(SALU_CYCLE_1)
	s_sub_i32 s6, s7, s6
	s_add_i32 s7, s5, 1
	s_sub_i32 s8, s6, s4
	s_cmp_ge_u32 s6, s4
	s_cselect_b32 s5, s7, s5
	s_cselect_b32 s6, s8, s6
	s_add_i32 s7, s5, 1
	s_cmp_ge_u32 s6, s4
	s_cselect_b32 s4, s7, s5
	s_delay_alu instid0(SALU_CYCLE_1) | instskip(NEXT) | instid1(SALU_CYCLE_1)
	s_xor_b32 s4, s4, s3
	s_sub_i32 s26, s4, s3
	s_delay_alu instid0(SALU_CYCLE_1)
	s_cmp_lt_i32 s26, 0
	s_cbranch_scc1 .LBB185_20
; %bb.1:
	s_clause 0x1
	s_load_b256 s[4:11], s[0:1], 0x10
	s_load_b128 s[20:23], s[0:1], 0x30
	s_ashr_i32 s29, s15, 31
	s_lshr_b32 s28, s2, 16
	v_bfe_u32 v13, v0, 10, 10
	v_cvt_f32_u32_e32 v1, s28
	v_and_b32_e32 v12, 0x3ff, v0
	s_delay_alu instid0(VALU_DEP_3) | instskip(NEXT) | instid1(VALU_DEP_3)
	v_mad_u64_u32 v[14:15], null, s14, s28, v[13:14]
	v_rcp_iflag_f32_e32 v1, v1
	v_mul_u32_u24_e32 v0, s12, v13
	s_delay_alu instid0(VALU_DEP_3) | instskip(SKIP_1) | instid1(VALU_DEP_2)
	v_lshl_add_u32 v22, v12, 4, 0
	v_mad_u64_u32 v[15:16], null, s13, s12, v[12:13]
	v_lshl_add_u32 v23, v0, 4, v22
	s_waitcnt lgkmcnt(0)
	s_ashr_i32 s1, s6, 31
	s_mov_b32 s0, s6
	s_mul_i32 s3, s15, s9
	s_mul_hi_u32 s6, s15, s8
	s_mul_i32 s9, s29, s8
	s_add_i32 s3, s6, s3
	s_mul_i32 s2, s15, s8
	s_add_i32 s3, s3, s9
	s_mul_i32 s6, s15, s23
	s_lshl_b64 s[2:3], s[2:3], 4
	s_mul_hi_u32 s9, s15, s22
	s_add_u32 s2, s4, s2
	s_addc_u32 s3, s5, s3
	s_lshl_b64 s[0:1], s[0:1], 4
	s_mul_i32 s29, s29, s22
	s_add_u32 s4, s2, s0
	s_addc_u32 s23, s3, s1
	s_add_i32 s1, s9, s6
	s_mul_i32 s0, s15, s22
	s_add_i32 s1, s1, s29
	s_mov_b32 s8, s20
	s_lshl_b64 s[0:1], s[0:1], 4
	s_ashr_i32 s9, s20, 31
	s_add_u32 s5, s10, s0
	s_addc_u32 s6, s11, s1
	s_lshl_b64 s[0:1], s[8:9], 4
	s_mul_hi_i32 s3, s7, s18
	s_mul_i32 s2, s7, s18
	s_add_u32 s11, s5, s0
	s_addc_u32 s15, s6, s1
	s_not_b32 s5, s18
	s_add_i32 s20, s18, 1
	s_lshl_b64 s[0:1], s[2:3], 4
	s_add_i32 s5, s5, s16
	s_mul_hi_i32 s3, s7, s20
	s_mul_i32 s2, s7, s20
	s_add_u32 s6, s4, s0
	s_addc_u32 s8, s23, s1
	s_lshl_b64 s[0:1], s[2:3], 4
	s_waitcnt_depctr 0xfff
	v_mul_f32_e32 v1, 0x4f7ffffe, v1
	s_add_u32 s9, s4, s0
	s_addc_u32 s10, s23, s1
	s_sub_i32 s0, s17, s16
	s_mul_i32 s22, s25, s28
	s_add_i32 s20, s20, s0
	v_cvt_u32_f32_e32 v1, v1
	s_mul_hi_i32 s1, s21, s20
	s_mul_i32 s0, s21, s20
	v_mul_lo_u32 v24, s7, v14
	s_lshl_b64 s[0:1], s[0:1], 4
	v_readfirstlane_b32 s2, v1
	s_add_u32 s11, s11, s0
	s_addc_u32 s15, s15, s1
	s_lshl_b64 s[0:1], s[18:19], 4
	v_mul_lo_u32 v25, s21, v14
	s_add_u32 s16, s11, s0
	s_addc_u32 s17, s15, s1
	s_add_u32 s19, s9, s0
	s_addc_u32 s20, s10, s1
	s_sub_i32 s0, 0, s28
	s_add_i32 s1, s5, -1
	s_mul_i32 s0, s0, s2
	s_abs_i32 s3, s1
	s_mul_hi_u32 s0, s2, s0
	s_ashr_i32 s1, s1, 31
	s_add_i32 s2, s2, s0
	v_cmp_gt_u16_e64 s23, s28, 1
	s_mul_hi_u32 s0, s3, s2
	s_mul_i32 s29, s24, s12
	s_mul_i32 s2, s0, s28
	;; [unrolled: 1-line block ×3, first 2 shown]
	s_sub_i32 s2, s3, s2
	s_add_i32 s3, s0, 1
	s_sub_i32 s4, s2, s28
	s_cmp_ge_u32 s2, s28
	s_mul_i32 s21, s22, s21
	s_cselect_b32 s0, s3, s0
	s_cselect_b32 s2, s4, s2
	s_add_i32 s3, s0, 1
	s_cmp_ge_u32 s2, s28
	s_cselect_b32 s0, s3, s0
	s_abs_i32 s2, s25
	s_xor_b32 s0, s0, s1
	v_cvt_f32_u32_e32 v1, s2
	s_sub_i32 s4, 0, s2
	s_sub_i32 s0, s0, s1
	s_delay_alu instid0(VALU_DEP_1) | instskip(SKIP_2) | instid1(VALU_DEP_1)
	v_rcp_iflag_f32_e32 v1, v1
	s_waitcnt_depctr 0xfff
	v_mul_f32_e32 v1, 0x4f7ffffe, v1
	v_cvt_u32_f32_e32 v1, v1
	s_delay_alu instid0(VALU_DEP_1) | instskip(NEXT) | instid1(VALU_DEP_1)
	v_readfirstlane_b32 s3, v1
	s_mul_i32 s4, s4, s3
	s_delay_alu instid0(SALU_CYCLE_1)
	s_mul_hi_u32 s1, s3, s4
	s_abs_i32 s4, s0
	s_add_i32 s3, s3, s1
	s_xor_b32 s0, s0, s25
	s_mul_hi_u32 s1, s4, s3
	s_ashr_i32 s14, s0, 31
	s_mul_i32 s3, s1, s2
	v_cmp_ne_u32_e64 s0, 0, v13
	s_sub_i32 s3, s4, s3
	s_add_i32 s4, s1, 1
	s_sub_i32 s25, s3, s2
	s_cmp_ge_u32 s3, s2
	s_cselect_b32 s1, s4, s1
	s_cselect_b32 s3, s25, s3
	s_add_i32 s4, s1, 1
	s_cmp_ge_u32 s3, s2
	s_cselect_b32 s1, s4, s1
	s_delay_alu instid0(SALU_CYCLE_1) | instskip(SKIP_2) | instid1(SALU_CYCLE_1)
	s_xor_b32 s2, s1, s14
	v_cmp_ne_u32_e64 s1, 0, v14
	s_sub_i32 s25, s2, s14
	s_cmp_gt_i32 s25, -1
	s_cselect_b32 s14, -1, 0
	s_add_i32 s25, s25, 1
	s_branch .LBB185_3
.LBB185_2:                              ;   in Loop: Header=BB185_3 Depth=1
	s_or_b32 exec_lo, exec_lo, s2
	v_add_nc_u32_e32 v15, s29, v15
	s_add_i32 s2, s27, 1
	s_cmp_eq_u32 s27, s26
	s_mov_b32 s27, s2
	s_cbranch_scc1 .LBB185_20
.LBB185_3:                              ; =>This Loop Header: Depth=1
                                        ;     Child Loop BB185_12 Depth 2
                                        ;     Child Loop BB185_9 Depth 2
	s_mul_i32 s2, s27, s24
	v_mov_b32_e32 v0, 0
	s_add_i32 s2, s2, s13
	v_mov_b32_e32 v1, 0
	v_mad_u64_u32 v[16:17], null, s2, s12, v[12:13]
	s_delay_alu instid0(VALU_DEP_2) | instskip(NEXT) | instid1(VALU_DEP_2)
	v_dual_mov_b32 v3, v1 :: v_dual_mov_b32 v2, v0
	v_cmp_lt_i32_e64 s2, s18, v16
	v_ashrrev_i32_e32 v17, 31, v16
	s_delay_alu instid0(VALU_DEP_2) | instskip(NEXT) | instid1(SALU_CYCLE_1)
	s_or_b32 s3, s1, s2
	s_xor_b32 s4, s3, -1
	s_delay_alu instid0(SALU_CYCLE_1)
	s_and_saveexec_b32 s3, s4
	s_cbranch_execz .LBB185_5
; %bb.4:                                ;   in Loop: Header=BB185_3 Depth=1
	v_lshlrev_b64 v[0:1], 4, v[16:17]
	s_delay_alu instid0(VALU_DEP_1) | instskip(NEXT) | instid1(VALU_DEP_2)
	v_add_co_u32 v0, vcc_lo, s6, v0
	v_add_co_ci_u32_e32 v1, vcc_lo, s8, v1, vcc_lo
	global_load_b128 v[0:3], v[0:1], off
.LBB185_5:                              ;   in Loop: Header=BB185_3 Depth=1
	s_or_b32 exec_lo, exec_lo, s3
	v_mov_b32_e32 v26, v14
	v_mov_b32_e32 v18, v25
	;; [unrolled: 1-line block ×3, first 2 shown]
	s_and_not1_b32 vcc_lo, exec_lo, s14
	s_mov_b32 s30, s25
	s_cbranch_vccz .LBB185_12
.LBB185_6:                              ;   in Loop: Header=BB185_3 Depth=1
	s_and_not1_b32 vcc_lo, exec_lo, s23
	s_mov_b32 s3, s28
	s_waitcnt vmcnt(0)
	ds_store_2addr_b64 v23, v[0:1], v[2:3] offset1:1
	s_waitcnt lgkmcnt(0)
	s_waitcnt_vscnt null, 0x0
	s_barrier
	buffer_gl0_inv
	s_cbranch_vccnz .LBB185_18
	.p2align	6
; %bb.7:                                ;   in Loop: Header=BB185_3 Depth=1
	s_lshr_b32 s4, s3, 1
	s_mov_b32 s30, exec_lo
	v_cmpx_gt_u32_e64 s4, v13
	s_cbranch_execz .LBB185_9
.LBB185_8:                              ;   in Loop: Header=BB185_3 Depth=1
	v_add_nc_u32_e32 v4, s4, v13
	s_delay_alu instid0(VALU_DEP_1) | instskip(NEXT) | instid1(VALU_DEP_1)
	v_mul_u32_u24_e32 v4, s12, v4
	v_lshl_add_u32 v4, v4, 4, v22
	ds_load_2addr_b64 v[4:7], v4 offset1:1
	s_waitcnt lgkmcnt(0)
	v_add_f64 v[0:1], v[0:1], v[4:5]
	v_add_f64 v[2:3], v[2:3], v[6:7]
	ds_store_2addr_b64 v23, v[0:1], v[2:3] offset1:1
.LBB185_9:                              ;   Parent Loop BB185_3 Depth=1
                                        ; =>  This Inner Loop Header: Depth=2
	s_or_b32 exec_lo, exec_lo, s30
	s_cmp_lt_u32 s3, 4
	s_waitcnt lgkmcnt(0)
	s_barrier
	buffer_gl0_inv
	s_cbranch_scc1 .LBB185_18
; %bb.10:                               ;   in Loop: Header=BB185_9 Depth=2
	s_mov_b32 s3, s4
	s_delay_alu instid0(SALU_CYCLE_1)
	s_lshr_b32 s4, s3, 1
	s_mov_b32 s30, exec_lo
	v_cmpx_gt_u32_e64 s4, v13
	s_cbranch_execnz .LBB185_8
	s_branch .LBB185_9
.LBB185_11:                             ;   in Loop: Header=BB185_12 Depth=2
	s_or_b32 exec_lo, exec_lo, s3
	v_add_nc_u32_e32 v20, s7, v20
	v_add_nc_u32_e32 v18, s21, v18
	;; [unrolled: 1-line block ×3, first 2 shown]
	s_add_i32 s30, s30, -1
	s_delay_alu instid0(SALU_CYCLE_1)
	s_cmp_eq_u32 s30, 0
	s_cbranch_scc1 .LBB185_6
.LBB185_12:                             ;   Parent Loop BB185_3 Depth=1
                                        ; =>  This Inner Loop Header: Depth=2
	v_mov_b32_e32 v6, 0
	v_mov_b32_e32 v7, 0
	v_cmp_le_i32_e32 vcc_lo, s5, v26
	v_cmp_gt_i32_e64 s3, s5, v26
	s_delay_alu instid0(VALU_DEP_3) | instskip(SKIP_1) | instid1(VALU_DEP_3)
	v_dual_mov_b32 v9, v7 :: v_dual_mov_b32 v8, v6
	v_dual_mov_b32 v11, v7 :: v_dual_mov_b32 v10, v6
	s_and_saveexec_b32 s31, s3
	s_cbranch_execz .LBB185_14
; %bb.13:                               ;   in Loop: Header=BB185_12 Depth=2
	v_ashrrev_i32_e32 v19, 31, v18
	s_delay_alu instid0(VALU_DEP_1) | instskip(NEXT) | instid1(VALU_DEP_1)
	v_lshlrev_b64 v[4:5], 4, v[18:19]
	v_add_co_u32 v4, s4, s16, v4
	s_delay_alu instid0(VALU_DEP_1)
	v_add_co_ci_u32_e64 v5, s4, s17, v5, s4
	global_load_b128 v[8:11], v[4:5], off
	s_waitcnt vmcnt(0)
	v_xor_b32_e32 v11, 0x80000000, v11
.LBB185_14:                             ;   in Loop: Header=BB185_12 Depth=2
	s_or_b32 exec_lo, exec_lo, s31
	v_dual_mov_b32 v4, v6 :: v_dual_mov_b32 v5, v7
	s_and_saveexec_b32 s4, s3
	s_cbranch_execz .LBB185_16
; %bb.15:                               ;   in Loop: Header=BB185_12 Depth=2
	v_ashrrev_i32_e32 v21, 31, v20
	s_delay_alu instid0(VALU_DEP_1) | instskip(NEXT) | instid1(VALU_DEP_1)
	v_lshlrev_b64 v[4:5], 4, v[20:21]
	v_add_co_u32 v4, s3, s19, v4
	s_delay_alu instid0(VALU_DEP_1)
	v_add_co_ci_u32_e64 v5, s3, s20, v5, s3
	global_load_b128 v[4:7], v[4:5], off
	s_waitcnt vmcnt(0)
	v_xor_b32_e32 v7, 0x80000000, v7
.LBB185_16:                             ;   in Loop: Header=BB185_12 Depth=2
	s_or_b32 exec_lo, exec_lo, s4
	s_or_b32 s3, s2, vcc_lo
	s_delay_alu instid0(SALU_CYCLE_1) | instskip(NEXT) | instid1(SALU_CYCLE_1)
	s_xor_b32 s4, s3, -1
	s_and_saveexec_b32 s3, s4
	s_cbranch_execz .LBB185_11
; %bb.17:                               ;   in Loop: Header=BB185_12 Depth=2
	v_add_nc_u32_e32 v27, v15, v20
	v_add_nc_u32_e32 v29, v15, v18
	s_delay_alu instid0(VALU_DEP_2) | instskip(NEXT) | instid1(VALU_DEP_2)
	v_ashrrev_i32_e32 v28, 31, v27
	v_ashrrev_i32_e32 v30, 31, v29
	s_delay_alu instid0(VALU_DEP_2) | instskip(NEXT) | instid1(VALU_DEP_2)
	v_lshlrev_b64 v[27:28], 4, v[27:28]
	v_lshlrev_b64 v[29:30], 4, v[29:30]
	s_delay_alu instid0(VALU_DEP_2) | instskip(NEXT) | instid1(VALU_DEP_3)
	v_add_co_u32 v27, vcc_lo, s9, v27
	v_add_co_ci_u32_e32 v28, vcc_lo, s10, v28, vcc_lo
	s_delay_alu instid0(VALU_DEP_3) | instskip(NEXT) | instid1(VALU_DEP_4)
	v_add_co_u32 v31, vcc_lo, s11, v29
	v_add_co_ci_u32_e32 v32, vcc_lo, s15, v30, vcc_lo
	global_load_b128 v[27:30], v[27:28], off
	global_load_b128 v[31:34], v[31:32], off
	s_waitcnt vmcnt(1)
	v_mul_f64 v[35:36], v[10:11], v[29:30]
	v_mul_f64 v[29:30], v[8:9], v[29:30]
	s_waitcnt vmcnt(0)
	v_mul_f64 v[37:38], v[6:7], v[33:34]
	v_mul_f64 v[33:34], v[4:5], v[33:34]
	s_delay_alu instid0(VALU_DEP_4) | instskip(NEXT) | instid1(VALU_DEP_4)
	v_fma_f64 v[8:9], v[8:9], v[27:28], -v[35:36]
	v_fma_f64 v[10:11], v[10:11], v[27:28], v[29:30]
	s_delay_alu instid0(VALU_DEP_4) | instskip(NEXT) | instid1(VALU_DEP_4)
	v_fma_f64 v[4:5], v[4:5], v[31:32], -v[37:38]
	v_fma_f64 v[6:7], v[6:7], v[31:32], v[33:34]
	s_delay_alu instid0(VALU_DEP_2) | instskip(NEXT) | instid1(VALU_DEP_2)
	v_add_f64 v[4:5], v[8:9], v[4:5]
	v_add_f64 v[6:7], v[10:11], v[6:7]
	s_delay_alu instid0(VALU_DEP_2) | instskip(NEXT) | instid1(VALU_DEP_2)
	v_add_f64 v[0:1], v[0:1], -v[4:5]
	v_add_f64 v[2:3], v[2:3], -v[6:7]
	s_branch .LBB185_11
.LBB185_18:                             ;   in Loop: Header=BB185_3 Depth=1
	s_or_b32 s2, s0, s2
	s_delay_alu instid0(SALU_CYCLE_1) | instskip(NEXT) | instid1(SALU_CYCLE_1)
	s_xor_b32 s3, s2, -1
	s_and_saveexec_b32 s2, s3
	s_cbranch_execz .LBB185_2
; %bb.19:                               ;   in Loop: Header=BB185_3 Depth=1
	v_lshlrev_b64 v[4:5], 4, v[16:17]
	s_delay_alu instid0(VALU_DEP_1) | instskip(NEXT) | instid1(VALU_DEP_2)
	v_add_co_u32 v4, vcc_lo, s6, v4
	v_add_co_ci_u32_e32 v5, vcc_lo, s8, v5, vcc_lo
	global_store_b128 v[4:5], v[0:3], off
	s_branch .LBB185_2
.LBB185_20:
	s_nop 0
	s_sendmsg sendmsg(MSG_DEALLOC_VGPRS)
	s_endpgm
	.section	.rodata,"a",@progbits
	.p2align	6, 0x0
	.amdhsa_kernel _ZN9rocsolver6v33100L26latrd_upper_updateA_kernelI19rocblas_complex_numIdEPS3_EEviiiT0_iilPT_iil
		.amdhsa_group_segment_fixed_size 0
		.amdhsa_private_segment_fixed_size 0
		.amdhsa_kernarg_size 320
		.amdhsa_user_sgpr_count 13
		.amdhsa_user_sgpr_dispatch_ptr 0
		.amdhsa_user_sgpr_queue_ptr 0
		.amdhsa_user_sgpr_kernarg_segment_ptr 1
		.amdhsa_user_sgpr_dispatch_id 0
		.amdhsa_user_sgpr_private_segment_size 0
		.amdhsa_wavefront_size32 1
		.amdhsa_uses_dynamic_stack 0
		.amdhsa_enable_private_segment 0
		.amdhsa_system_sgpr_workgroup_id_x 1
		.amdhsa_system_sgpr_workgroup_id_y 1
		.amdhsa_system_sgpr_workgroup_id_z 1
		.amdhsa_system_sgpr_workgroup_info 0
		.amdhsa_system_vgpr_workitem_id 1
		.amdhsa_next_free_vgpr 39
		.amdhsa_next_free_sgpr 32
		.amdhsa_reserve_vcc 1
		.amdhsa_float_round_mode_32 0
		.amdhsa_float_round_mode_16_64 0
		.amdhsa_float_denorm_mode_32 3
		.amdhsa_float_denorm_mode_16_64 3
		.amdhsa_dx10_clamp 1
		.amdhsa_ieee_mode 1
		.amdhsa_fp16_overflow 0
		.amdhsa_workgroup_processor_mode 1
		.amdhsa_memory_ordered 1
		.amdhsa_forward_progress 0
		.amdhsa_shared_vgpr_count 0
		.amdhsa_exception_fp_ieee_invalid_op 0
		.amdhsa_exception_fp_denorm_src 0
		.amdhsa_exception_fp_ieee_div_zero 0
		.amdhsa_exception_fp_ieee_overflow 0
		.amdhsa_exception_fp_ieee_underflow 0
		.amdhsa_exception_fp_ieee_inexact 0
		.amdhsa_exception_int_div_zero 0
	.end_amdhsa_kernel
	.section	.text._ZN9rocsolver6v33100L26latrd_upper_updateA_kernelI19rocblas_complex_numIdEPS3_EEviiiT0_iilPT_iil,"axG",@progbits,_ZN9rocsolver6v33100L26latrd_upper_updateA_kernelI19rocblas_complex_numIdEPS3_EEviiiT0_iilPT_iil,comdat
.Lfunc_end185:
	.size	_ZN9rocsolver6v33100L26latrd_upper_updateA_kernelI19rocblas_complex_numIdEPS3_EEviiiT0_iilPT_iil, .Lfunc_end185-_ZN9rocsolver6v33100L26latrd_upper_updateA_kernelI19rocblas_complex_numIdEPS3_EEviiiT0_iilPT_iil
                                        ; -- End function
	.section	.AMDGPU.csdata,"",@progbits
; Kernel info:
; codeLenInByte = 1784
; NumSgprs: 34
; NumVgprs: 39
; ScratchSize: 0
; MemoryBound: 1
; FloatMode: 240
; IeeeMode: 1
; LDSByteSize: 0 bytes/workgroup (compile time only)
; SGPRBlocks: 4
; VGPRBlocks: 4
; NumSGPRsForWavesPerEU: 34
; NumVGPRsForWavesPerEU: 39
; Occupancy: 16
; WaveLimiterHint : 0
; COMPUTE_PGM_RSRC2:SCRATCH_EN: 0
; COMPUTE_PGM_RSRC2:USER_SGPR: 13
; COMPUTE_PGM_RSRC2:TRAP_HANDLER: 0
; COMPUTE_PGM_RSRC2:TGID_X_EN: 1
; COMPUTE_PGM_RSRC2:TGID_Y_EN: 1
; COMPUTE_PGM_RSRC2:TGID_Z_EN: 1
; COMPUTE_PGM_RSRC2:TIDIG_COMP_CNT: 1
	.section	.text._ZN9rocsolver6v33100L33latrd_upper_computeW_gemvt_kernelILi256E19rocblas_complex_numIdEPS3_EEviiiT1_iilPT0_iilS7_iilS7_l,"axG",@progbits,_ZN9rocsolver6v33100L33latrd_upper_computeW_gemvt_kernelILi256E19rocblas_complex_numIdEPS3_EEviiiT1_iilPT0_iilS7_iilS7_l,comdat
	.globl	_ZN9rocsolver6v33100L33latrd_upper_computeW_gemvt_kernelILi256E19rocblas_complex_numIdEPS3_EEviiiT1_iilPT0_iilS7_iilS7_l ; -- Begin function _ZN9rocsolver6v33100L33latrd_upper_computeW_gemvt_kernelILi256E19rocblas_complex_numIdEPS3_EEviiiT1_iilPT0_iilS7_iilS7_l
	.p2align	8
	.type	_ZN9rocsolver6v33100L33latrd_upper_computeW_gemvt_kernelILi256E19rocblas_complex_numIdEPS3_EEviiiT1_iilPT0_iilS7_iilS7_l,@function
_ZN9rocsolver6v33100L33latrd_upper_computeW_gemvt_kernelILi256E19rocblas_complex_numIdEPS3_EEviiiT1_iilPT0_iilS7_iilS7_l: ; @_ZN9rocsolver6v33100L33latrd_upper_computeW_gemvt_kernelILi256E19rocblas_complex_numIdEPS3_EEviiiT1_iilPT0_iilS7_iilS7_l
; %bb.0:
	s_clause 0x1
	s_load_b128 s[20:23], s[0:1], 0x0
	s_load_b128 s[16:19], s[0:1], 0x38
	s_ashr_i32 s26, s15, 31
	v_mov_b32_e32 v3, 0
	v_mov_b32_e32 v4, 0
	s_delay_alu instid0(VALU_DEP_2) | instskip(SKIP_1) | instid1(VALU_DEP_2)
	v_mov_b32_e32 v1, v3
	s_mov_b32 s4, -1
	v_mov_b32_e32 v2, v4
	s_waitcnt lgkmcnt(0)
	s_cmp_lt_i32 s14, s20
	s_cselect_b32 s23, -1, 0
	s_delay_alu instid0(SALU_CYCLE_1) | instskip(SKIP_1) | instid1(SALU_CYCLE_1)
	s_and_b32 s2, s23, exec_lo
	s_cselect_b32 s2, 0, s20
	s_sub_i32 s2, s14, s2
	s_delay_alu instid0(SALU_CYCLE_1)
	s_ashr_i32 s3, s2, 31
	s_cmp_eq_u32 s2, s22
	s_cbranch_scc1 .LBB186_11
; %bb.1:
	s_clause 0x1
	s_load_b256 s[4:11], s[0:1], 0x10
	s_load_b64 s[28:29], s[0:1], 0x30
	s_mul_i32 s17, s15, s17
	s_mul_hi_u32 s27, s15, s16
	s_mul_i32 s30, s26, s16
	s_mul_i32 s16, s15, s16
	v_cmp_gt_i32_e32 vcc_lo, s22, v0
	v_mov_b32_e32 v1, 0
	v_dual_mov_b32 v2, 0 :: v_dual_cndmask_b32 v3, 0, v0
	s_delay_alu instid0(VALU_DEP_1) | instskip(NEXT) | instid1(VALU_DEP_3)
	v_dual_mov_b32 v4, v2 :: v_dual_lshlrev_b32 v9, 4, v3
	v_mov_b32_e32 v3, v1
	s_waitcnt lgkmcnt(0)
	s_mul_i32 s9, s15, s9
	s_mul_hi_u32 s12, s15, s8
	s_mul_i32 s13, s26, s8
	s_add_i32 s9, s12, s9
	s_mul_i32 s8, s15, s8
	s_add_i32 s9, s9, s13
	s_ashr_i32 s25, s6, 31
	s_lshl_b64 s[12:13], s[8:9], 4
	s_mov_b32 s24, s6
	s_add_u32 s6, s4, s12
	s_addc_u32 s8, s5, s13
	s_lshl_b64 s[24:25], s[24:25], 4
	s_delay_alu instid0(SALU_CYCLE_1)
	s_add_u32 s9, s6, s24
	s_addc_u32 s14, s8, s25
	s_add_i32 s6, s27, s17
	s_ashr_i32 s31, s28, 31
	s_add_i32 s17, s6, s30
	s_mov_b32 s30, s28
	s_lshl_b64 s[16:17], s[16:17], 4
	s_delay_alu instid0(SALU_CYCLE_1) | instskip(SKIP_2) | instid1(SALU_CYCLE_1)
	s_add_u32 s6, s10, s16
	s_addc_u32 s8, s11, s17
	s_lshl_b64 s[10:11], s[30:31], 4
	s_add_u32 s6, s6, s10
	s_addc_u32 s8, s8, s11
	s_sub_i32 s10, s21, s20
	s_delay_alu instid0(SALU_CYCLE_1) | instskip(NEXT) | instid1(SALU_CYCLE_1)
	s_add_i32 s10, s10, s22
	s_add_i32 s10, s10, 1
	s_delay_alu instid0(SALU_CYCLE_1) | instskip(SKIP_1) | instid1(SALU_CYCLE_1)
	s_mul_hi_i32 s11, s29, s10
	s_mul_i32 s10, s29, s10
	s_lshl_b64 s[16:17], s[10:11], 4
	s_mul_hi_i32 s11, s7, s22
	s_add_u32 s6, s6, s16
	s_addc_u32 s8, s8, s17
	s_and_b32 s10, s23, exec_lo
	s_cselect_b32 s16, s14, s8
	s_cselect_b32 s17, s9, s6
	;; [unrolled: 1-line block ×3, first 2 shown]
	s_ashr_i32 s8, s22, 31
	s_mul_i32 s10, s7, s22
	s_lshr_b32 s8, s8, 24
	s_mul_hi_i32 s7, s6, s2
	s_add_i32 s8, s22, s8
	s_mul_i32 s6, s6, s2
	s_and_b32 s8, s8, 0xffffff00
	s_cmpk_lt_i32 s22, 0x100
	s_cbranch_scc1 .LBB186_4
; %bb.2:
	s_lshl_b64 s[20:21], s[6:7], 4
	v_lshlrev_b32_e32 v1, 4, v0
	s_add_u32 s27, s17, s20
	s_addc_u32 s28, s16, s21
	s_lshl_b64 s[20:21], s[10:11], 4
	v_add_co_u32 v3, s27, s27, v9
	s_add_u32 s12, s12, s20
	s_addc_u32 s13, s13, s21
	s_add_u32 s12, s12, s24
	s_addc_u32 s13, s13, s25
	s_add_u32 s4, s4, s12
	v_add_co_ci_u32_e64 v4, null, s28, 0, s27
	s_addc_u32 s5, s5, s13
	v_add_co_u32 v7, s4, s4, v1
	v_mov_b32_e32 v1, 0
	v_add_co_ci_u32_e64 v8, null, s5, 0, s4
	v_mov_b32_e32 v2, 0
	v_add_co_u32 v5, vcc_lo, v3, 8
	v_add_co_ci_u32_e32 v6, vcc_lo, 0, v4, vcc_lo
	v_add_co_u32 v7, vcc_lo, v7, 8
	v_add_co_ci_u32_e32 v8, vcc_lo, 0, v8, vcc_lo
	v_dual_mov_b32 v4, v2 :: v_dual_mov_b32 v3, v1
	s_mov_b32 s4, 0
	.p2align	6
.LBB186_3:                              ; =>This Inner Loop Header: Depth=1
	global_load_b128 v[10:13], v[5:6], off offset:-8
	global_load_b128 v[14:17], v[7:8], off offset:-8
	v_add_co_u32 v5, vcc_lo, 0x1000, v5
	v_add_co_ci_u32_e32 v6, vcc_lo, 0, v6, vcc_lo
	v_add_co_u32 v7, vcc_lo, 0x1000, v7
	v_add_co_ci_u32_e32 v8, vcc_lo, 0, v8, vcc_lo
	s_addk_i32 s4, 0x100
	s_delay_alu instid0(SALU_CYCLE_1) | instskip(SKIP_3) | instid1(VALU_DEP_2)
	s_cmp_ge_i32 s4, s8
	s_waitcnt vmcnt(0)
	v_mul_f64 v[18:19], v[12:13], v[16:17]
	v_mul_f64 v[12:13], v[12:13], v[14:15]
	v_fma_f64 v[14:15], v[10:11], v[14:15], v[18:19]
	s_delay_alu instid0(VALU_DEP_2) | instskip(NEXT) | instid1(VALU_DEP_2)
	v_fma_f64 v[10:11], v[10:11], v[16:17], -v[12:13]
	v_add_f64 v[3:4], v[3:4], v[14:15]
	s_delay_alu instid0(VALU_DEP_2)
	v_add_f64 v[1:2], v[1:2], v[10:11]
	s_cbranch_scc0 .LBB186_3
.LBB186_4:
	v_add_nc_u32_e32 v5, s8, v0
	s_mov_b32 s4, exec_lo
	s_delay_alu instid0(VALU_DEP_1)
	v_cmpx_gt_i32_e64 s22, v5
	s_cbranch_execz .LBB186_6
; %bb.5:
	v_ashrrev_i32_e32 v6, 31, v5
	s_lshl_b64 s[10:11], s[10:11], 4
	s_delay_alu instid0(SALU_CYCLE_1) | instskip(SKIP_1) | instid1(VALU_DEP_1)
	s_add_u32 s5, s9, s10
	s_addc_u32 s10, s14, s11
	v_lshlrev_b64 v[5:6], 4, v[5:6]
	s_ashr_i32 s9, s8, 31
	s_lshl_b64 s[6:7], s[6:7], 4
	s_lshl_b64 s[8:9], s[8:9], 4
	s_delay_alu instid0(SALU_CYCLE_1) | instskip(NEXT) | instid1(VALU_DEP_1)
	s_add_u32 s6, s8, s6
	v_add_co_u32 v10, vcc_lo, s5, v5
	s_addc_u32 s7, s9, s7
	v_add_co_ci_u32_e32 v11, vcc_lo, s10, v6, vcc_lo
	s_add_u32 s6, s6, s17
	s_addc_u32 s7, s7, s16
	global_load_b128 v[5:8], v9, s[6:7]
	global_load_b128 v[9:12], v[10:11], off
	s_waitcnt vmcnt(0)
	v_mul_f64 v[13:14], v[7:8], v[11:12]
	v_mul_f64 v[7:8], v[7:8], v[9:10]
	s_delay_alu instid0(VALU_DEP_2) | instskip(NEXT) | instid1(VALU_DEP_2)
	v_fma_f64 v[9:10], v[5:6], v[9:10], v[13:14]
	v_fma_f64 v[5:6], v[5:6], v[11:12], -v[7:8]
	s_delay_alu instid0(VALU_DEP_2) | instskip(NEXT) | instid1(VALU_DEP_2)
	v_add_f64 v[3:4], v[3:4], v[9:10]
	v_add_f64 v[1:2], v[1:2], v[5:6]
.LBB186_6:
	s_or_b32 exec_lo, exec_lo, s4
	v_mbcnt_lo_u32_b32 v9, -1, 0
	s_mov_b32 s4, 0
	s_mov_b32 s5, exec_lo
	s_delay_alu instid0(VALU_DEP_1) | instskip(SKIP_2) | instid1(VALU_DEP_2)
	v_cmp_ne_u32_e32 vcc_lo, 31, v9
	v_add_co_ci_u32_e32 v5, vcc_lo, 0, v9, vcc_lo
	v_cmp_gt_u32_e32 vcc_lo, 30, v9
	v_lshlrev_b32_e32 v8, 2, v5
	ds_bpermute_b32 v5, v8, v3
	ds_bpermute_b32 v6, v8, v4
	ds_bpermute_b32 v7, v8, v1
	ds_bpermute_b32 v8, v8, v2
	s_waitcnt lgkmcnt(2)
	v_add_f64 v[3:4], v[3:4], v[5:6]
	v_cndmask_b32_e64 v5, 0, 1, vcc_lo
	s_waitcnt lgkmcnt(0)
	v_add_f64 v[1:2], v[1:2], v[7:8]
	v_cmp_gt_u32_e32 vcc_lo, 28, v9
	s_delay_alu instid0(VALU_DEP_3) | instskip(NEXT) | instid1(VALU_DEP_1)
	v_lshlrev_b32_e32 v5, 1, v5
	v_add_lshl_u32 v8, v5, v9, 2
	ds_bpermute_b32 v5, v8, v3
	ds_bpermute_b32 v6, v8, v4
	ds_bpermute_b32 v7, v8, v1
	ds_bpermute_b32 v8, v8, v2
	s_waitcnt lgkmcnt(2)
	v_add_f64 v[3:4], v[3:4], v[5:6]
	v_cndmask_b32_e64 v5, 0, 1, vcc_lo
	s_waitcnt lgkmcnt(0)
	v_add_f64 v[1:2], v[1:2], v[7:8]
	v_cmp_gt_u32_e32 vcc_lo, 24, v9
	s_delay_alu instid0(VALU_DEP_3) | instskip(NEXT) | instid1(VALU_DEP_1)
	v_lshlrev_b32_e32 v5, 2, v5
	v_add_lshl_u32 v8, v5, v9, 2
	;; [unrolled: 13-line block ×3, first 2 shown]
	ds_bpermute_b32 v5, v8, v3
	ds_bpermute_b32 v6, v8, v4
	;; [unrolled: 1-line block ×4, first 2 shown]
	s_waitcnt lgkmcnt(2)
	v_add_f64 v[3:4], v[3:4], v[5:6]
	v_cndmask_b32_e64 v5, 0, 1, vcc_lo
	s_waitcnt lgkmcnt(0)
	v_add_f64 v[1:2], v[1:2], v[7:8]
	s_delay_alu instid0(VALU_DEP_2) | instskip(NEXT) | instid1(VALU_DEP_1)
	v_lshlrev_b32_e32 v5, 4, v5
	v_add_lshl_u32 v8, v5, v9, 2
	ds_bpermute_b32 v5, v8, v3
	ds_bpermute_b32 v6, v8, v4
	ds_bpermute_b32 v7, v8, v1
	ds_bpermute_b32 v8, v8, v2
	s_waitcnt lgkmcnt(2)
	v_add_f64 v[5:6], v[3:4], v[5:6]
	s_waitcnt lgkmcnt(0)
	v_add_f64 v[7:8], v[1:2], v[7:8]
	v_and_b32_e32 v1, 31, v0
	s_delay_alu instid0(VALU_DEP_1)
	v_cmpx_eq_u32_e32 0, v1
	s_cbranch_execz .LBB186_8
; %bb.7:
	v_lshrrev_b32_e32 v1, 1, v0
	ds_store_b128 v1, v[5:8]
.LBB186_8:
	s_or_b32 exec_lo, exec_lo, s5
	v_mov_b32_e32 v3, 0
	v_mov_b32_e32 v4, 0
	s_delay_alu instid0(VALU_DEP_2)
	v_mov_b32_e32 v1, v3
	s_mov_b32 s5, exec_lo
	s_waitcnt lgkmcnt(0)
	s_barrier
	v_mov_b32_e32 v2, v4
	buffer_gl0_inv
	v_cmpx_eq_u32_e32 0, v0
	s_cbranch_execz .LBB186_10
; %bb.9:
	v_mov_b32_e32 v13, 0
	s_mov_b32 s4, exec_lo
	ds_load_b128 v[1:4], v13 offset:16
	ds_load_b128 v[9:12], v13 offset:32
	s_waitcnt lgkmcnt(1)
	v_add_f64 v[1:2], v[5:6], v[1:2]
	v_add_f64 v[3:4], v[7:8], v[3:4]
	s_waitcnt lgkmcnt(0)
	s_delay_alu instid0(VALU_DEP_2) | instskip(NEXT) | instid1(VALU_DEP_2)
	v_add_f64 v[9:10], v[1:2], v[9:10]
	v_add_f64 v[11:12], v[3:4], v[11:12]
	ds_load_b128 v[1:4], v13 offset:48
	ds_load_b128 v[5:8], v13 offset:64
	s_waitcnt lgkmcnt(1)
	v_add_f64 v[1:2], v[9:10], v[1:2]
	v_add_f64 v[3:4], v[11:12], v[3:4]
	s_waitcnt lgkmcnt(0)
	s_delay_alu instid0(VALU_DEP_2) | instskip(NEXT) | instid1(VALU_DEP_2)
	v_add_f64 v[9:10], v[1:2], v[5:6]
	v_add_f64 v[11:12], v[3:4], v[7:8]
	ds_load_b128 v[1:4], v13 offset:80
	ds_load_b128 v[5:8], v13 offset:96
	s_waitcnt lgkmcnt(1)
	v_add_f64 v[1:2], v[9:10], v[1:2]
	v_add_f64 v[3:4], v[11:12], v[3:4]
	s_waitcnt lgkmcnt(0)
	s_delay_alu instid0(VALU_DEP_2) | instskip(NEXT) | instid1(VALU_DEP_2)
	v_add_f64 v[5:6], v[1:2], v[5:6]
	v_add_f64 v[7:8], v[3:4], v[7:8]
	ds_load_b128 v[1:4], v13 offset:112
	s_waitcnt lgkmcnt(0)
	v_add_f64 v[1:2], v[5:6], v[1:2]
	v_add_f64 v[3:4], v[7:8], v[3:4]
.LBB186_10:
	s_or_b32 exec_lo, exec_lo, s5
.LBB186_11:
	s_and_saveexec_b32 s5, s4
	s_cbranch_execz .LBB186_14
; %bb.12:
	v_cmp_eq_u32_e32 vcc_lo, 0, v0
	s_and_b32 exec_lo, exec_lo, vcc_lo
	s_cbranch_execz .LBB186_14
; %bb.13:
	s_clause 0x2
	s_load_b32 s8, s[0:1], 0x48
	s_load_b128 s[4:7], s[0:1], 0x50
	s_load_b64 s[0:1], s[0:1], 0x60
	v_mov_b32_e32 v0, 0
	s_waitcnt lgkmcnt(0)
	s_ashr_i32 s9, s8, 31
	s_mul_i32 s5, s15, s5
	s_mul_hi_u32 s10, s15, s4
	s_mul_i32 s11, s26, s4
	s_add_i32 s5, s10, s5
	s_mul_i32 s4, s15, s4
	s_add_i32 s5, s5, s11
	s_mul_i32 s1, s15, s1
	s_lshl_b64 s[4:5], s[4:5], 4
	s_mul_hi_u32 s10, s15, s0
	s_add_u32 s11, s18, s4
	s_addc_u32 s12, s19, s5
	s_lshl_b64 s[4:5], s[8:9], 4
	s_mul_i32 s8, s26, s0
	s_add_u32 s4, s11, s4
	s_addc_u32 s5, s12, s5
	s_add_i32 s1, s10, s1
	s_mul_i32 s0, s15, s0
	s_add_i32 s1, s1, s8
	s_delay_alu instid0(SALU_CYCLE_1) | instskip(NEXT) | instid1(SALU_CYCLE_1)
	s_lshl_b64 s[0:1], s[0:1], 4
	s_add_u32 s0, s6, s0
	s_addc_u32 s1, s7, s1
	s_and_b32 s6, s23, exec_lo
	s_cselect_b32 s5, s5, s1
	s_cselect_b32 s4, s4, s0
	s_lshl_b64 s[0:1], s[2:3], 4
	s_delay_alu instid0(SALU_CYCLE_1)
	s_add_u32 s0, s4, s0
	s_addc_u32 s1, s5, s1
	global_store_b128 v0, v[1:4], s[0:1]
.LBB186_14:
	s_nop 0
	s_sendmsg sendmsg(MSG_DEALLOC_VGPRS)
	s_endpgm
	.section	.rodata,"a",@progbits
	.p2align	6, 0x0
	.amdhsa_kernel _ZN9rocsolver6v33100L33latrd_upper_computeW_gemvt_kernelILi256E19rocblas_complex_numIdEPS3_EEviiiT1_iilPT0_iilS7_iilS7_l
		.amdhsa_group_segment_fixed_size 4096
		.amdhsa_private_segment_fixed_size 0
		.amdhsa_kernarg_size 104
		.amdhsa_user_sgpr_count 14
		.amdhsa_user_sgpr_dispatch_ptr 0
		.amdhsa_user_sgpr_queue_ptr 0
		.amdhsa_user_sgpr_kernarg_segment_ptr 1
		.amdhsa_user_sgpr_dispatch_id 0
		.amdhsa_user_sgpr_private_segment_size 0
		.amdhsa_wavefront_size32 1
		.amdhsa_uses_dynamic_stack 0
		.amdhsa_enable_private_segment 0
		.amdhsa_system_sgpr_workgroup_id_x 1
		.amdhsa_system_sgpr_workgroup_id_y 0
		.amdhsa_system_sgpr_workgroup_id_z 1
		.amdhsa_system_sgpr_workgroup_info 0
		.amdhsa_system_vgpr_workitem_id 0
		.amdhsa_next_free_vgpr 20
		.amdhsa_next_free_sgpr 32
		.amdhsa_reserve_vcc 1
		.amdhsa_float_round_mode_32 0
		.amdhsa_float_round_mode_16_64 0
		.amdhsa_float_denorm_mode_32 3
		.amdhsa_float_denorm_mode_16_64 3
		.amdhsa_dx10_clamp 1
		.amdhsa_ieee_mode 1
		.amdhsa_fp16_overflow 0
		.amdhsa_workgroup_processor_mode 1
		.amdhsa_memory_ordered 1
		.amdhsa_forward_progress 0
		.amdhsa_shared_vgpr_count 0
		.amdhsa_exception_fp_ieee_invalid_op 0
		.amdhsa_exception_fp_denorm_src 0
		.amdhsa_exception_fp_ieee_div_zero 0
		.amdhsa_exception_fp_ieee_overflow 0
		.amdhsa_exception_fp_ieee_underflow 0
		.amdhsa_exception_fp_ieee_inexact 0
		.amdhsa_exception_int_div_zero 0
	.end_amdhsa_kernel
	.section	.text._ZN9rocsolver6v33100L33latrd_upper_computeW_gemvt_kernelILi256E19rocblas_complex_numIdEPS3_EEviiiT1_iilPT0_iilS7_iilS7_l,"axG",@progbits,_ZN9rocsolver6v33100L33latrd_upper_computeW_gemvt_kernelILi256E19rocblas_complex_numIdEPS3_EEviiiT1_iilPT0_iilS7_iilS7_l,comdat
.Lfunc_end186:
	.size	_ZN9rocsolver6v33100L33latrd_upper_computeW_gemvt_kernelILi256E19rocblas_complex_numIdEPS3_EEviiiT1_iilPT0_iilS7_iilS7_l, .Lfunc_end186-_ZN9rocsolver6v33100L33latrd_upper_computeW_gemvt_kernelILi256E19rocblas_complex_numIdEPS3_EEviiiT1_iilPT0_iilS7_iilS7_l
                                        ; -- End function
	.section	.AMDGPU.csdata,"",@progbits
; Kernel info:
; codeLenInByte = 1708
; NumSgprs: 34
; NumVgprs: 20
; ScratchSize: 0
; MemoryBound: 0
; FloatMode: 240
; IeeeMode: 1
; LDSByteSize: 4096 bytes/workgroup (compile time only)
; SGPRBlocks: 4
; VGPRBlocks: 2
; NumSGPRsForWavesPerEU: 34
; NumVGPRsForWavesPerEU: 20
; Occupancy: 16
; WaveLimiterHint : 0
; COMPUTE_PGM_RSRC2:SCRATCH_EN: 0
; COMPUTE_PGM_RSRC2:USER_SGPR: 14
; COMPUTE_PGM_RSRC2:TRAP_HANDLER: 0
; COMPUTE_PGM_RSRC2:TGID_X_EN: 1
; COMPUTE_PGM_RSRC2:TGID_Y_EN: 0
; COMPUTE_PGM_RSRC2:TGID_Z_EN: 1
; COMPUTE_PGM_RSRC2:TIDIG_COMP_CNT: 0
	.section	.text._ZN9rocsolver6v33100L26latrd_upper_updateW_kernelI19rocblas_complex_numIdEPS3_EEviiiT0_iilPT_iilS7_lS7_l,"axG",@progbits,_ZN9rocsolver6v33100L26latrd_upper_updateW_kernelI19rocblas_complex_numIdEPS3_EEviiiT0_iilPT_iilS7_lS7_l,comdat
	.globl	_ZN9rocsolver6v33100L26latrd_upper_updateW_kernelI19rocblas_complex_numIdEPS3_EEviiiT0_iilPT_iilS7_lS7_l ; -- Begin function _ZN9rocsolver6v33100L26latrd_upper_updateW_kernelI19rocblas_complex_numIdEPS3_EEviiiT0_iilPT_iilS7_lS7_l
	.p2align	8
	.type	_ZN9rocsolver6v33100L26latrd_upper_updateW_kernelI19rocblas_complex_numIdEPS3_EEviiiT0_iilPT_iilS7_lS7_l,@function
_ZN9rocsolver6v33100L26latrd_upper_updateW_kernelI19rocblas_complex_numIdEPS3_EEviiiT0_iilPT_iilS7_lS7_l: ; @_ZN9rocsolver6v33100L26latrd_upper_updateW_kernelI19rocblas_complex_numIdEPS3_EEviiiT0_iilPT_iilS7_lS7_l
; %bb.0:
	s_clause 0x2
	s_load_b32 s33, s[0:1], 0x6c
	s_load_b128 s[24:27], s[0:1], 0x0
	s_load_b64 s[28:29], s[0:1], 0x60
	s_mov_b32 s31, 0
	s_waitcnt lgkmcnt(0)
	s_and_b32 s12, s33, 0xffff
	s_add_i32 s4, s26, -1
	v_cvt_f32_u32_e32 v1, s12
	s_sub_i32 s3, 0, s12
	s_abs_i32 s5, s4
	s_ashr_i32 s4, s4, 31
	s_delay_alu instid0(VALU_DEP_1) | instskip(SKIP_2) | instid1(VALU_DEP_1)
	v_rcp_iflag_f32_e32 v1, v1
	s_waitcnt_depctr 0xfff
	v_mul_f32_e32 v1, 0x4f7ffffe, v1
	v_cvt_u32_f32_e32 v1, v1
	s_delay_alu instid0(VALU_DEP_1) | instskip(NEXT) | instid1(VALU_DEP_1)
	v_readfirstlane_b32 s2, v1
	s_mul_i32 s3, s3, s2
	s_delay_alu instid0(SALU_CYCLE_1) | instskip(NEXT) | instid1(SALU_CYCLE_1)
	s_mul_hi_u32 s3, s2, s3
	s_add_i32 s2, s2, s3
	s_delay_alu instid0(SALU_CYCLE_1) | instskip(NEXT) | instid1(SALU_CYCLE_1)
	s_mul_hi_u32 s2, s5, s2
	s_mul_i32 s3, s2, s12
	s_delay_alu instid0(SALU_CYCLE_1)
	s_sub_i32 s3, s5, s3
	s_add_i32 s5, s2, 1
	s_sub_i32 s6, s3, s12
	s_cmp_ge_u32 s3, s12
	s_cselect_b32 s2, s5, s2
	s_cselect_b32 s3, s6, s3
	s_add_i32 s5, s2, 1
	s_cmp_ge_u32 s3, s12
	s_cselect_b32 s2, s5, s2
	s_abs_i32 s3, s28
	s_xor_b32 s2, s2, s4
	v_cvt_f32_u32_e32 v1, s3
	s_sub_i32 s6, 0, s3
	s_sub_i32 s2, s2, s4
	s_delay_alu instid0(VALU_DEP_1) | instskip(SKIP_2) | instid1(VALU_DEP_1)
	v_rcp_iflag_f32_e32 v1, v1
	s_waitcnt_depctr 0xfff
	v_mul_f32_e32 v1, 0x4f7ffffe, v1
	v_cvt_u32_f32_e32 v1, v1
	s_delay_alu instid0(VALU_DEP_1) | instskip(NEXT) | instid1(VALU_DEP_1)
	v_readfirstlane_b32 s5, v1
	s_mul_i32 s6, s6, s5
	s_delay_alu instid0(SALU_CYCLE_1)
	s_mul_hi_u32 s4, s5, s6
	s_abs_i32 s6, s2
	s_add_i32 s5, s5, s4
	s_xor_b32 s2, s2, s28
	s_mul_hi_u32 s4, s6, s5
	s_ashr_i32 s2, s2, 31
	s_mul_i32 s5, s4, s3
	s_delay_alu instid0(SALU_CYCLE_1)
	s_sub_i32 s5, s6, s5
	s_add_i32 s6, s4, 1
	s_sub_i32 s7, s5, s3
	s_cmp_ge_u32 s5, s3
	s_cselect_b32 s4, s6, s4
	s_cselect_b32 s5, s7, s5
	s_add_i32 s6, s4, 1
	s_cmp_ge_u32 s5, s3
	s_cselect_b32 s3, s6, s4
	s_delay_alu instid0(SALU_CYCLE_1) | instskip(NEXT) | instid1(SALU_CYCLE_1)
	s_xor_b32 s3, s3, s2
	s_sub_i32 s30, s3, s2
	s_delay_alu instid0(SALU_CYCLE_1)
	s_cmp_lt_i32 s30, 0
	s_cbranch_scc1 .LBB187_20
; %bb.1:
	s_clause 0x3
	s_load_b256 s[4:11], s[0:1], 0x10
	s_load_b64 s[2:3], s[0:1], 0x30
	s_load_b256 s[16:23], s[0:1], 0x38
	s_load_b64 s[0:1], s[0:1], 0x58
	s_ashr_i32 s27, s15, 31
	s_lshr_b32 s33, s33, 16
	v_dual_mov_b32 v23, 0 :: v_dual_and_b32 v12, 0x3ff, v0
	v_cvt_f32_u32_e32 v1, s33
	v_bfe_u32 v13, v0, 10, 10
	s_delay_alu instid0(VALU_DEP_3) | instskip(NEXT) | instid1(VALU_DEP_3)
	v_lshl_add_u32 v24, v12, 4, 0
	v_rcp_iflag_f32_e32 v1, v1
	s_delay_alu instid0(VALU_DEP_2)
	v_mad_u64_u32 v[14:15], null, s14, s33, v[13:14]
	s_waitcnt lgkmcnt(0)
	s_ashr_i32 s35, s6, 31
	s_mov_b32 s34, s6
	s_mul_i32 s6, s15, s9
	s_mul_hi_u32 s9, s15, s8
	s_mul_i32 s37, s27, s8
	s_add_i32 s6, s9, s6
	s_mul_i32 s8, s15, s8
	s_add_i32 s9, s6, s37
	s_mul_i32 s17, s15, s17
	s_lshl_b64 s[8:9], s[8:9], 4
	s_mul_hi_u32 s38, s15, s16
	s_add_u32 s8, s4, s8
	s_addc_u32 s9, s5, s9
	s_lshl_b64 s[4:5], s[34:35], 4
	s_mul_i32 s6, s27, s16
	s_add_u32 s34, s8, s4
	s_addc_u32 s35, s9, s5
	s_add_i32 s4, s38, s17
	s_mul_i32 s16, s15, s16
	s_add_i32 s17, s4, s6
	s_mov_b32 s36, s2
	s_lshl_b64 s[4:5], s[16:17], 4
	s_ashr_i32 s37, s2, 31
	s_add_u32 s2, s10, s4
	s_addc_u32 s10, s11, s5
	s_lshl_b64 s[4:5], s[36:37], 4
	s_mul_i32 s21, s15, s21
	s_mul_hi_u32 s9, s15, s20
	s_add_u32 s2, s2, s4
	s_mul_i32 s6, s27, s20
	s_mul_i32 s8, s15, s20
	s_addc_u32 s20, s10, s5
	s_add_i32 s4, s9, s21
	s_mul_i32 s1, s15, s1
	s_add_i32 s9, s4, s6
	s_mul_hi_u32 s10, s15, s0
	s_lshl_b64 s[4:5], s[8:9], 4
	s_mul_i32 s27, s27, s0
	s_add_u32 s6, s18, s4
	s_addc_u32 s8, s19, s5
	s_add_i32 s1, s10, s1
	s_mul_i32 s0, s15, s0
	s_add_i32 s1, s1, s27
	s_waitcnt_depctr 0xfff
	v_mul_f32_e32 v1, 0x4f7ffffe, v1
	s_lshl_b64 s[0:1], s[0:1], 4
	v_mul_lo_u32 v2, s3, v14
	s_add_u32 s4, s22, s0
	s_addc_u32 s5, s23, s1
	s_sub_i32 s0, s26, s24
	s_not_b32 s9, s26
	s_add_i32 s17, s0, s25
	s_add_i32 s9, s9, s24
	s_mul_hi_i32 s1, s3, s17
	s_mul_i32 s0, s3, s17
	v_cvt_u32_f32_e32 v1, v1
	s_lshl_b64 s[0:1], s[0:1], 4
	s_mul_i32 s23, s13, s12
	s_add_u32 s10, s2, s0
	s_addc_u32 s11, s20, s1
	s_add_i32 s0, s26, 1
	v_add3_u32 v27, v12, v2, s23
	s_mul_hi_i32 s1, s7, s0
	s_mul_i32 s0, s7, s0
	s_delay_alu instid0(SALU_CYCLE_1) | instskip(NEXT) | instid1(SALU_CYCLE_1)
	s_lshl_b64 s[0:1], s[0:1], 4
	s_add_u32 s15, s34, s0
	s_addc_u32 s16, s35, s1
	s_add_i32 s17, s17, 1
	s_delay_alu instid0(SALU_CYCLE_1) | instskip(SKIP_1) | instid1(SALU_CYCLE_1)
	s_mul_hi_i32 s1, s3, s17
	s_mul_i32 s0, s3, s17
	s_lshl_b64 s[0:1], s[0:1], 4
	s_delay_alu instid0(SALU_CYCLE_1) | instskip(SKIP_4) | instid1(SALU_CYCLE_1)
	s_add_u32 s17, s2, s0
	s_addc_u32 s18, s20, s1
	s_ashr_i32 s27, s26, 31
	v_readfirstlane_b32 s2, v1
	s_lshl_b64 s[0:1], s[26:27], 4
	s_add_u32 s21, s10, s0
	s_addc_u32 s22, s11, s1
	s_add_u32 s4, s4, s0
	s_addc_u32 s5, s5, s1
	s_sub_i32 s0, 0, s33
	s_add_i32 s1, s9, -1
	s_mul_i32 s0, s0, s2
	s_abs_i32 s19, s1
	s_mul_hi_u32 s0, s2, s0
	s_ashr_i32 s1, s1, 31
	s_add_i32 s2, s2, s0
	s_delay_alu instid0(SALU_CYCLE_1) | instskip(NEXT) | instid1(SALU_CYCLE_1)
	s_mul_hi_u32 s0, s19, s2
	s_mul_i32 s2, s0, s33
	s_delay_alu instid0(SALU_CYCLE_1)
	s_sub_i32 s2, s19, s2
	s_add_i32 s19, s0, 1
	s_sub_i32 s20, s2, s33
	s_cmp_ge_u32 s2, s33
	s_cselect_b32 s0, s19, s0
	s_cselect_b32 s2, s20, s2
	s_add_i32 s19, s0, 1
	s_cmp_ge_u32 s2, s33
	v_cmp_gt_u16_e64 s20, s33, 1
	s_cselect_b32 s0, s19, s0
	s_abs_i32 s2, s29
	s_xor_b32 s0, s0, s1
	v_cvt_f32_u32_e32 v1, s2
	s_sub_i32 s24, 0, s2
	s_sub_i32 s1, s0, s1
	s_mul_i32 s19, s29, s33
	s_delay_alu instid0(VALU_DEP_1) | instskip(SKIP_2) | instid1(VALU_DEP_1)
	v_rcp_iflag_f32_e32 v1, v1
	s_waitcnt_depctr 0xfff
	v_mul_f32_e32 v1, 0x4f7ffffe, v1
	v_cvt_u32_f32_e32 v0, v1
	v_mul_lo_u32 v1, s7, v14
	s_mul_i32 s7, s19, s7
	s_delay_alu instid0(VALU_DEP_2) | instskip(SKIP_1) | instid1(VALU_DEP_3)
	v_readfirstlane_b32 s14, v0
	v_mul_u32_u24_e32 v0, s12, v13
	v_add3_u32 v26, v12, v1, s23
	s_delay_alu instid0(VALU_DEP_3) | instskip(NEXT) | instid1(VALU_DEP_2)
	s_mul_i32 s24, s24, s14
	v_lshl_add_u32 v25, v0, 4, v24
	s_mul_hi_u32 s0, s14, s24
	s_abs_i32 s24, s1
	s_add_i32 s14, s14, s0
	s_xor_b32 s1, s1, s29
	s_mul_hi_u32 s14, s24, s14
	s_ashr_i32 s27, s1, 31
	s_mul_i32 s25, s14, s2
	v_cmp_eq_u32_e64 s0, 0, v13
	s_sub_i32 s1, s24, s25
	s_add_i32 s24, s14, 1
	s_sub_i32 s25, s1, s2
	s_cmp_ge_u32 s1, s2
	s_cselect_b32 s14, s24, s14
	s_cselect_b32 s1, s25, s1
	s_add_i32 s24, s14, 1
	s_cmp_ge_u32 s1, s2
	s_mul_i32 s25, s19, s3
	s_cselect_b32 s1, s24, s14
	s_mul_i32 s24, s28, s12
	s_xor_b32 s2, s1, s27
	v_cmp_eq_u32_e64 s1, 0, v14
	s_sub_i32 s2, s2, s27
	s_delay_alu instid0(SALU_CYCLE_1)
	s_cmp_gt_i32 s2, -1
	s_cselect_b32 s14, -1, 0
	s_add_u32 s21, s21, 16
	s_addc_u32 s22, s22, 0
	s_add_i32 s23, s2, 1
	s_branch .LBB187_3
.LBB187_2:                              ;   in Loop: Header=BB187_3 Depth=1
	s_or_b32 exec_lo, exec_lo, s2
	v_add_nc_u32_e32 v26, s24, v26
	v_add_nc_u32_e32 v27, s24, v27
	s_add_i32 s2, s31, 1
	s_cmp_eq_u32 s31, s30
	s_mov_b32 s31, s2
	s_cbranch_scc1 .LBB187_20
.LBB187_3:                              ; =>This Loop Header: Depth=1
                                        ;     Child Loop BB187_12 Depth 2
                                        ;     Child Loop BB187_9 Depth 2
	s_mul_i32 s2, s31, s28
	v_mov_b32_e32 v0, 0
	s_add_i32 s2, s2, s13
	v_mov_b32_e32 v1, 0
	v_mad_u64_u32 v[15:16], null, s2, s12, v[12:13]
	s_delay_alu instid0(VALU_DEP_2) | instskip(NEXT) | instid1(VALU_DEP_2)
	v_dual_mov_b32 v3, v1 :: v_dual_mov_b32 v2, v0
	v_cmp_gt_i32_e64 s2, s26, v15
	v_ashrrev_i32_e32 v16, 31, v15
	s_delay_alu instid0(VALU_DEP_2) | instskip(NEXT) | instid1(SALU_CYCLE_1)
	s_and_b32 s27, s1, s2
	s_and_saveexec_b32 s3, s27
	s_cbranch_execz .LBB187_5
; %bb.4:                                ;   in Loop: Header=BB187_3 Depth=1
	s_delay_alu instid0(VALU_DEP_1) | instskip(NEXT) | instid1(VALU_DEP_1)
	v_lshlrev_b64 v[0:1], 4, v[15:16]
	v_add_co_u32 v0, vcc_lo, s10, v0
	s_delay_alu instid0(VALU_DEP_2)
	v_add_co_ci_u32_e32 v1, vcc_lo, s11, v1, vcc_lo
	global_load_b128 v[0:3], v[0:1], off
.LBB187_5:                              ;   in Loop: Header=BB187_3 Depth=1
	s_or_b32 exec_lo, exec_lo, s3
	v_mov_b32_e32 v17, v14
	v_mov_b32_e32 v19, v27
	;; [unrolled: 1-line block ×3, first 2 shown]
	s_and_not1_b32 vcc_lo, exec_lo, s14
	s_mov_b32 s27, s23
	s_cbranch_vccz .LBB187_12
.LBB187_6:                              ;   in Loop: Header=BB187_3 Depth=1
	s_and_not1_b32 vcc_lo, exec_lo, s20
	s_mov_b32 s3, s33
	s_waitcnt vmcnt(0)
	ds_store_2addr_b64 v25, v[0:1], v[2:3] offset1:1
	s_waitcnt lgkmcnt(0)
	s_waitcnt_vscnt null, 0x0
	s_barrier
	buffer_gl0_inv
	s_cbranch_vccnz .LBB187_18
	.p2align	6
; %bb.7:                                ;   in Loop: Header=BB187_3 Depth=1
	s_lshr_b32 s27, s3, 1
	s_mov_b32 s29, exec_lo
	v_cmpx_gt_u32_e64 s27, v13
	s_cbranch_execz .LBB187_9
.LBB187_8:                              ;   in Loop: Header=BB187_3 Depth=1
	v_add_nc_u32_e32 v4, s27, v13
	s_delay_alu instid0(VALU_DEP_1) | instskip(NEXT) | instid1(VALU_DEP_1)
	v_mul_u32_u24_e32 v4, s12, v4
	v_lshl_add_u32 v4, v4, 4, v24
	ds_load_2addr_b64 v[4:7], v4 offset1:1
	s_waitcnt lgkmcnt(0)
	v_add_f64 v[0:1], v[0:1], v[4:5]
	v_add_f64 v[2:3], v[2:3], v[6:7]
	ds_store_2addr_b64 v25, v[0:1], v[2:3] offset1:1
.LBB187_9:                              ;   Parent Loop BB187_3 Depth=1
                                        ; =>  This Inner Loop Header: Depth=2
	s_or_b32 exec_lo, exec_lo, s29
	s_cmp_lt_u32 s3, 4
	s_waitcnt lgkmcnt(0)
	s_barrier
	buffer_gl0_inv
	s_cbranch_scc1 .LBB187_18
; %bb.10:                               ;   in Loop: Header=BB187_9 Depth=2
	s_mov_b32 s3, s27
	s_delay_alu instid0(SALU_CYCLE_1)
	s_lshr_b32 s27, s3, 1
	s_mov_b32 s29, exec_lo
	v_cmpx_gt_u32_e64 s27, v13
	s_cbranch_execnz .LBB187_8
	s_branch .LBB187_9
.LBB187_11:                             ;   in Loop: Header=BB187_12 Depth=2
	s_or_b32 exec_lo, exec_lo, s3
	v_add_nc_u32_e32 v21, s7, v21
	v_add_nc_u32_e32 v19, s25, v19
	;; [unrolled: 1-line block ×3, first 2 shown]
	s_add_i32 s27, s27, -1
	s_delay_alu instid0(SALU_CYCLE_1)
	s_cmp_eq_u32 s27, 0
	s_cbranch_scc1 .LBB187_6
.LBB187_12:                             ;   Parent Loop BB187_3 Depth=1
                                        ; =>  This Inner Loop Header: Depth=2
	s_waitcnt vmcnt(0)
	v_mov_b32_e32 v6, 0
	v_mov_b32_e32 v7, 0
	v_cmp_gt_i32_e32 vcc_lo, s9, v17
	v_ashrrev_i32_e32 v18, 31, v17
	s_delay_alu instid0(VALU_DEP_3)
	v_dual_mov_b32 v9, v7 :: v_dual_mov_b32 v8, v6
	v_dual_mov_b32 v11, v7 :: v_dual_mov_b32 v10, v6
	s_and_saveexec_b32 s29, vcc_lo
	s_cbranch_execz .LBB187_14
; %bb.13:                               ;   in Loop: Header=BB187_12 Depth=2
	v_lshlrev_b64 v[4:5], 4, v[17:18]
	s_delay_alu instid0(VALU_DEP_1) | instskip(NEXT) | instid1(VALU_DEP_1)
	v_add_co_u32 v4, s3, s6, v4
	v_add_co_ci_u32_e64 v5, s3, s8, v5, s3
	global_load_b128 v[8:11], v[4:5], off
.LBB187_14:                             ;   in Loop: Header=BB187_12 Depth=2
	s_or_b32 exec_lo, exec_lo, s29
	v_dual_mov_b32 v4, v6 :: v_dual_mov_b32 v5, v7
	s_and_saveexec_b32 s29, vcc_lo
	s_cbranch_execz .LBB187_16
; %bb.15:                               ;   in Loop: Header=BB187_12 Depth=2
	v_lshlrev_b64 v[4:5], 4, v[17:18]
	s_delay_alu instid0(VALU_DEP_1) | instskip(NEXT) | instid1(VALU_DEP_1)
	v_add_co_u32 v4, s3, s21, v4
	v_add_co_ci_u32_e64 v5, s3, s22, v5, s3
	global_load_b128 v[4:7], v[4:5], off
.LBB187_16:                             ;   in Loop: Header=BB187_12 Depth=2
	s_or_b32 exec_lo, exec_lo, s29
	s_and_b32 s29, s2, vcc_lo
	s_delay_alu instid0(SALU_CYCLE_1)
	s_and_saveexec_b32 s3, s29
	s_cbranch_execz .LBB187_11
; %bb.17:                               ;   in Loop: Header=BB187_12 Depth=2
	v_ashrrev_i32_e32 v22, 31, v21
	v_ashrrev_i32_e32 v20, 31, v19
	s_delay_alu instid0(VALU_DEP_2) | instskip(NEXT) | instid1(VALU_DEP_2)
	v_lshlrev_b64 v[28:29], 4, v[21:22]
	v_lshlrev_b64 v[30:31], 4, v[19:20]
	s_delay_alu instid0(VALU_DEP_2) | instskip(NEXT) | instid1(VALU_DEP_3)
	v_add_co_u32 v28, vcc_lo, s15, v28
	v_add_co_ci_u32_e32 v29, vcc_lo, s16, v29, vcc_lo
	s_delay_alu instid0(VALU_DEP_3) | instskip(NEXT) | instid1(VALU_DEP_4)
	v_add_co_u32 v32, vcc_lo, s17, v30
	v_add_co_ci_u32_e32 v33, vcc_lo, s18, v31, vcc_lo
	global_load_b128 v[28:31], v[28:29], off
	global_load_b128 v[32:35], v[32:33], off
	s_waitcnt vmcnt(1)
	v_mul_f64 v[36:37], v[10:11], v[30:31]
	v_mul_f64 v[30:31], v[8:9], v[30:31]
	s_waitcnt vmcnt(0)
	v_mul_f64 v[38:39], v[6:7], v[34:35]
	v_mul_f64 v[34:35], v[4:5], v[34:35]
	s_delay_alu instid0(VALU_DEP_4) | instskip(NEXT) | instid1(VALU_DEP_4)
	v_fma_f64 v[8:9], v[8:9], v[28:29], -v[36:37]
	v_fma_f64 v[10:11], v[10:11], v[28:29], v[30:31]
	s_delay_alu instid0(VALU_DEP_4) | instskip(NEXT) | instid1(VALU_DEP_4)
	v_fma_f64 v[4:5], v[4:5], v[32:33], -v[38:39]
	v_fma_f64 v[6:7], v[6:7], v[32:33], v[34:35]
	s_delay_alu instid0(VALU_DEP_2) | instskip(NEXT) | instid1(VALU_DEP_2)
	v_add_f64 v[4:5], v[8:9], v[4:5]
	v_add_f64 v[6:7], v[10:11], v[6:7]
	s_delay_alu instid0(VALU_DEP_2) | instskip(NEXT) | instid1(VALU_DEP_2)
	v_add_f64 v[0:1], v[0:1], -v[4:5]
	v_add_f64 v[2:3], v[2:3], -v[6:7]
	s_branch .LBB187_11
.LBB187_18:                             ;   in Loop: Header=BB187_3 Depth=1
	s_and_b32 s3, s0, s2
	s_delay_alu instid0(SALU_CYCLE_1)
	s_and_saveexec_b32 s2, s3
	s_cbranch_execz .LBB187_2
; %bb.19:                               ;   in Loop: Header=BB187_3 Depth=1
	global_load_b128 v[4:7], v23, s[4:5] offset:-16
	s_waitcnt vmcnt(0)
	v_mul_f64 v[8:9], v[2:3], v[6:7]
	v_mul_f64 v[6:7], v[0:1], v[6:7]
	s_delay_alu instid0(VALU_DEP_2) | instskip(NEXT) | instid1(VALU_DEP_2)
	v_fma_f64 v[0:1], v[0:1], v[4:5], -v[8:9]
	v_fma_f64 v[2:3], v[2:3], v[4:5], v[6:7]
	v_lshlrev_b64 v[4:5], 4, v[15:16]
	s_delay_alu instid0(VALU_DEP_1) | instskip(NEXT) | instid1(VALU_DEP_2)
	v_add_co_u32 v4, vcc_lo, s10, v4
	v_add_co_ci_u32_e32 v5, vcc_lo, s11, v5, vcc_lo
	global_store_b128 v[4:5], v[0:3], off
	s_branch .LBB187_2
.LBB187_20:
	s_nop 0
	s_sendmsg sendmsg(MSG_DEALLOC_VGPRS)
	s_endpgm
	.section	.rodata,"a",@progbits
	.p2align	6, 0x0
	.amdhsa_kernel _ZN9rocsolver6v33100L26latrd_upper_updateW_kernelI19rocblas_complex_numIdEPS3_EEviiiT0_iilPT_iilS7_lS7_l
		.amdhsa_group_segment_fixed_size 0
		.amdhsa_private_segment_fixed_size 0
		.amdhsa_kernarg_size 352
		.amdhsa_user_sgpr_count 13
		.amdhsa_user_sgpr_dispatch_ptr 0
		.amdhsa_user_sgpr_queue_ptr 0
		.amdhsa_user_sgpr_kernarg_segment_ptr 1
		.amdhsa_user_sgpr_dispatch_id 0
		.amdhsa_user_sgpr_private_segment_size 0
		.amdhsa_wavefront_size32 1
		.amdhsa_uses_dynamic_stack 0
		.amdhsa_enable_private_segment 0
		.amdhsa_system_sgpr_workgroup_id_x 1
		.amdhsa_system_sgpr_workgroup_id_y 1
		.amdhsa_system_sgpr_workgroup_id_z 1
		.amdhsa_system_sgpr_workgroup_info 0
		.amdhsa_system_vgpr_workitem_id 1
		.amdhsa_next_free_vgpr 40
		.amdhsa_next_free_sgpr 39
		.amdhsa_reserve_vcc 1
		.amdhsa_float_round_mode_32 0
		.amdhsa_float_round_mode_16_64 0
		.amdhsa_float_denorm_mode_32 3
		.amdhsa_float_denorm_mode_16_64 3
		.amdhsa_dx10_clamp 1
		.amdhsa_ieee_mode 1
		.amdhsa_fp16_overflow 0
		.amdhsa_workgroup_processor_mode 1
		.amdhsa_memory_ordered 1
		.amdhsa_forward_progress 0
		.amdhsa_shared_vgpr_count 0
		.amdhsa_exception_fp_ieee_invalid_op 0
		.amdhsa_exception_fp_denorm_src 0
		.amdhsa_exception_fp_ieee_div_zero 0
		.amdhsa_exception_fp_ieee_overflow 0
		.amdhsa_exception_fp_ieee_underflow 0
		.amdhsa_exception_fp_ieee_inexact 0
		.amdhsa_exception_int_div_zero 0
	.end_amdhsa_kernel
	.section	.text._ZN9rocsolver6v33100L26latrd_upper_updateW_kernelI19rocblas_complex_numIdEPS3_EEviiiT0_iilPT_iilS7_lS7_l,"axG",@progbits,_ZN9rocsolver6v33100L26latrd_upper_updateW_kernelI19rocblas_complex_numIdEPS3_EEviiiT0_iilPT_iilS7_lS7_l,comdat
.Lfunc_end187:
	.size	_ZN9rocsolver6v33100L26latrd_upper_updateW_kernelI19rocblas_complex_numIdEPS3_EEviiiT0_iilPT_iilS7_lS7_l, .Lfunc_end187-_ZN9rocsolver6v33100L26latrd_upper_updateW_kernelI19rocblas_complex_numIdEPS3_EEviiiT0_iilPT_iilS7_lS7_l
                                        ; -- End function
	.section	.AMDGPU.csdata,"",@progbits
; Kernel info:
; codeLenInByte = 1908
; NumSgprs: 41
; NumVgprs: 40
; ScratchSize: 0
; MemoryBound: 1
; FloatMode: 240
; IeeeMode: 1
; LDSByteSize: 0 bytes/workgroup (compile time only)
; SGPRBlocks: 5
; VGPRBlocks: 4
; NumSGPRsForWavesPerEU: 41
; NumVGPRsForWavesPerEU: 40
; Occupancy: 16
; WaveLimiterHint : 0
; COMPUTE_PGM_RSRC2:SCRATCH_EN: 0
; COMPUTE_PGM_RSRC2:USER_SGPR: 13
; COMPUTE_PGM_RSRC2:TRAP_HANDLER: 0
; COMPUTE_PGM_RSRC2:TGID_X_EN: 1
; COMPUTE_PGM_RSRC2:TGID_Y_EN: 1
; COMPUTE_PGM_RSRC2:TGID_Z_EN: 1
; COMPUTE_PGM_RSRC2:TIDIG_COMP_CNT: 1
	.section	.text._ZN9rocsolver6v33100L11set_tridiagI19rocblas_complex_numIdEdPS3_TnNSt9enable_ifIX18rocblas_is_complexIT_EEiE4typeELi0EEEv13rocblas_fill_iT1_iilPT0_lSC_l,"axG",@progbits,_ZN9rocsolver6v33100L11set_tridiagI19rocblas_complex_numIdEdPS3_TnNSt9enable_ifIX18rocblas_is_complexIT_EEiE4typeELi0EEEv13rocblas_fill_iT1_iilPT0_lSC_l,comdat
	.globl	_ZN9rocsolver6v33100L11set_tridiagI19rocblas_complex_numIdEdPS3_TnNSt9enable_ifIX18rocblas_is_complexIT_EEiE4typeELi0EEEv13rocblas_fill_iT1_iilPT0_lSC_l ; -- Begin function _ZN9rocsolver6v33100L11set_tridiagI19rocblas_complex_numIdEdPS3_TnNSt9enable_ifIX18rocblas_is_complexIT_EEiE4typeELi0EEEv13rocblas_fill_iT1_iilPT0_lSC_l
	.p2align	8
	.type	_ZN9rocsolver6v33100L11set_tridiagI19rocblas_complex_numIdEdPS3_TnNSt9enable_ifIX18rocblas_is_complexIT_EEiE4typeELi0EEEv13rocblas_fill_iT1_iilPT0_lSC_l,@function
_ZN9rocsolver6v33100L11set_tridiagI19rocblas_complex_numIdEdPS3_TnNSt9enable_ifIX18rocblas_is_complexIT_EEiE4typeELi0EEEv13rocblas_fill_iT1_iilPT0_lSC_l: ; @_ZN9rocsolver6v33100L11set_tridiagI19rocblas_complex_numIdEdPS3_TnNSt9enable_ifIX18rocblas_is_complexIT_EEiE4typeELi0EEEv13rocblas_fill_iT1_iilPT0_lSC_l
; %bb.0:
	s_clause 0x1
	s_load_b32 s4, s[0:1], 0x4c
	s_load_b64 s[2:3], s[0:1], 0x0
	s_waitcnt lgkmcnt(0)
	s_and_b32 s4, s4, 0xffff
	s_delay_alu instid0(SALU_CYCLE_1) | instskip(SKIP_1) | instid1(VALU_DEP_1)
	v_mad_u64_u32 v[4:5], null, s14, s4, v[0:1]
	s_mov_b32 s4, exec_lo
	v_cmpx_gt_i32_e64 s3, v4
	s_cbranch_execz .LBB188_7
; %bb.1:
	s_clause 0x1
	s_load_b128 s[16:19], s[0:1], 0x8
	s_load_b256 s[4:11], s[0:1], 0x18
	s_ashr_i32 s12, s15, 31
	v_mov_b32_e32 v8, 0
	s_delay_alu instid0(VALU_DEP_1)
	v_mov_b32_e32 v9, v8
	s_waitcnt lgkmcnt(0)
	v_mad_u64_u32 v[2:3], null, v4, s19, v[4:5]
	s_mul_i32 s5, s15, s5
	s_mul_hi_u32 s13, s15, s4
	s_mul_i32 s14, s12, s4
	s_add_i32 s5, s13, s5
	s_mul_i32 s4, s15, s4
	s_add_i32 s5, s5, s14
	s_delay_alu instid0(VALU_DEP_1)
	v_ashrrev_i32_e32 v3, 31, v2
	s_lshl_b64 s[4:5], s[4:5], 4
	s_ashr_i32 s21, s18, 31
	s_mov_b32 s20, s18
	s_add_u32 s13, s16, s4
	v_lshlrev_b64 v[0:1], 4, v[2:3]
	s_addc_u32 s14, s17, s5
	s_lshl_b64 s[4:5], s[20:21], 4
	v_ashrrev_i32_e32 v5, 31, v4
	s_add_u32 s4, s13, s4
	s_addc_u32 s5, s14, s5
	v_add_co_u32 v10, vcc_lo, s4, v0
	v_add_co_ci_u32_e32 v11, vcc_lo, s5, v1, vcc_lo
	s_mul_i32 s9, s15, s9
	s_mul_hi_u32 s13, s15, s8
	s_mul_i32 s14, s12, s8
	global_load_b64 v[6:7], v[10:11], off
	s_add_i32 s9, s13, s9
	s_mul_i32 s8, s15, s8
	s_add_i32 s9, s9, s14
	v_lshlrev_b64 v[0:1], 3, v[4:5]
	s_lshl_b64 s[8:9], s[8:9], 3
	s_delay_alu instid0(SALU_CYCLE_1) | instskip(SKIP_2) | instid1(VALU_DEP_1)
	s_add_u32 s6, s6, s8
	s_addc_u32 s7, s7, s9
	s_add_i32 s3, s3, -1
	v_add_co_u32 v12, vcc_lo, s6, v0
	v_add_co_ci_u32_e32 v13, vcc_lo, s7, v1, vcc_lo
	v_cmp_gt_i32_e32 vcc_lo, s3, v4
	s_mov_b32 s3, -1
	s_waitcnt vmcnt(0)
	global_store_b64 v[12:13], v[6:7], off
	global_store_b128 v[10:11], v[6:9], off
	s_and_b32 exec_lo, exec_lo, vcc_lo
	s_cbranch_execz .LBB188_7
; %bb.2:
	s_load_b64 s[0:1], s[0:1], 0x38
	s_waitcnt lgkmcnt(0)
	s_mul_i32 s1, s15, s1
	s_mul_hi_u32 s6, s15, s0
	s_mul_i32 s7, s12, s0
	s_add_i32 s1, s6, s1
	s_mul_i32 s0, s15, s0
	s_add_i32 s1, s1, s7
	s_delay_alu instid0(SALU_CYCLE_1) | instskip(NEXT) | instid1(SALU_CYCLE_1)
	s_lshl_b64 s[0:1], s[0:1], 3
	s_add_u32 s0, s10, s0
	s_addc_u32 s1, s11, s1
	v_add_co_u32 v0, vcc_lo, s0, v0
	v_add_co_ci_u32_e32 v1, vcc_lo, s1, v1, vcc_lo
	s_cmpk_lg_i32 s2, 0x7a
	global_load_b64 v[0:1], v[0:1], off
	s_cbranch_scc0 .LBB188_4
; %bb.3:
	v_add_nc_u32_e32 v3, s19, v2
	s_cbranch_execz .LBB188_5
	s_branch .LBB188_6
.LBB188_4:
                                        ; implicit-def: $vgpr3
	s_and_not1_b32 vcc_lo, exec_lo, s3
	s_cbranch_vccnz .LBB188_6
.LBB188_5:
	v_add_nc_u32_e32 v3, 1, v2
.LBB188_6:
	s_delay_alu instid0(VALU_DEP_1) | instskip(SKIP_1) | instid1(VALU_DEP_2)
	v_ashrrev_i32_e32 v4, 31, v3
	v_mov_b32_e32 v2, 0
	v_lshlrev_b64 v[3:4], 4, v[3:4]
	s_delay_alu instid0(VALU_DEP_1) | instskip(NEXT) | instid1(VALU_DEP_2)
	v_add_co_u32 v5, vcc_lo, s4, v3
	v_add_co_ci_u32_e32 v6, vcc_lo, s5, v4, vcc_lo
	s_delay_alu instid0(VALU_DEP_4)
	v_mov_b32_e32 v3, v2
	s_waitcnt vmcnt(0)
	global_store_b128 v[5:6], v[0:3], off
.LBB188_7:
	s_nop 0
	s_sendmsg sendmsg(MSG_DEALLOC_VGPRS)
	s_endpgm
	.section	.rodata,"a",@progbits
	.p2align	6, 0x0
	.amdhsa_kernel _ZN9rocsolver6v33100L11set_tridiagI19rocblas_complex_numIdEdPS3_TnNSt9enable_ifIX18rocblas_is_complexIT_EEiE4typeELi0EEEv13rocblas_fill_iT1_iilPT0_lSC_l
		.amdhsa_group_segment_fixed_size 0
		.amdhsa_private_segment_fixed_size 0
		.amdhsa_kernarg_size 320
		.amdhsa_user_sgpr_count 14
		.amdhsa_user_sgpr_dispatch_ptr 0
		.amdhsa_user_sgpr_queue_ptr 0
		.amdhsa_user_sgpr_kernarg_segment_ptr 1
		.amdhsa_user_sgpr_dispatch_id 0
		.amdhsa_user_sgpr_private_segment_size 0
		.amdhsa_wavefront_size32 1
		.amdhsa_uses_dynamic_stack 0
		.amdhsa_enable_private_segment 0
		.amdhsa_system_sgpr_workgroup_id_x 1
		.amdhsa_system_sgpr_workgroup_id_y 1
		.amdhsa_system_sgpr_workgroup_id_z 0
		.amdhsa_system_sgpr_workgroup_info 0
		.amdhsa_system_vgpr_workitem_id 0
		.amdhsa_next_free_vgpr 14
		.amdhsa_next_free_sgpr 22
		.amdhsa_reserve_vcc 1
		.amdhsa_float_round_mode_32 0
		.amdhsa_float_round_mode_16_64 0
		.amdhsa_float_denorm_mode_32 3
		.amdhsa_float_denorm_mode_16_64 3
		.amdhsa_dx10_clamp 1
		.amdhsa_ieee_mode 1
		.amdhsa_fp16_overflow 0
		.amdhsa_workgroup_processor_mode 1
		.amdhsa_memory_ordered 1
		.amdhsa_forward_progress 0
		.amdhsa_shared_vgpr_count 0
		.amdhsa_exception_fp_ieee_invalid_op 0
		.amdhsa_exception_fp_denorm_src 0
		.amdhsa_exception_fp_ieee_div_zero 0
		.amdhsa_exception_fp_ieee_overflow 0
		.amdhsa_exception_fp_ieee_underflow 0
		.amdhsa_exception_fp_ieee_inexact 0
		.amdhsa_exception_int_div_zero 0
	.end_amdhsa_kernel
	.section	.text._ZN9rocsolver6v33100L11set_tridiagI19rocblas_complex_numIdEdPS3_TnNSt9enable_ifIX18rocblas_is_complexIT_EEiE4typeELi0EEEv13rocblas_fill_iT1_iilPT0_lSC_l,"axG",@progbits,_ZN9rocsolver6v33100L11set_tridiagI19rocblas_complex_numIdEdPS3_TnNSt9enable_ifIX18rocblas_is_complexIT_EEiE4typeELi0EEEv13rocblas_fill_iT1_iilPT0_lSC_l,comdat
.Lfunc_end188:
	.size	_ZN9rocsolver6v33100L11set_tridiagI19rocblas_complex_numIdEdPS3_TnNSt9enable_ifIX18rocblas_is_complexIT_EEiE4typeELi0EEEv13rocblas_fill_iT1_iilPT0_lSC_l, .Lfunc_end188-_ZN9rocsolver6v33100L11set_tridiagI19rocblas_complex_numIdEdPS3_TnNSt9enable_ifIX18rocblas_is_complexIT_EEiE4typeELi0EEEv13rocblas_fill_iT1_iilPT0_lSC_l
                                        ; -- End function
	.section	.AMDGPU.csdata,"",@progbits
; Kernel info:
; codeLenInByte = 476
; NumSgprs: 24
; NumVgprs: 14
; ScratchSize: 0
; MemoryBound: 0
; FloatMode: 240
; IeeeMode: 1
; LDSByteSize: 0 bytes/workgroup (compile time only)
; SGPRBlocks: 2
; VGPRBlocks: 1
; NumSGPRsForWavesPerEU: 24
; NumVGPRsForWavesPerEU: 14
; Occupancy: 16
; WaveLimiterHint : 0
; COMPUTE_PGM_RSRC2:SCRATCH_EN: 0
; COMPUTE_PGM_RSRC2:USER_SGPR: 14
; COMPUTE_PGM_RSRC2:TRAP_HANDLER: 0
; COMPUTE_PGM_RSRC2:TGID_X_EN: 1
; COMPUTE_PGM_RSRC2:TGID_Y_EN: 1
; COMPUTE_PGM_RSRC2:TGID_Z_EN: 0
; COMPUTE_PGM_RSRC2:TIDIG_COMP_CNT: 0
	.section	.text._ZN9rocsolver6v33100L10init_identI19rocblas_complex_numIdEPS3_EEviiT0_iil,"axG",@progbits,_ZN9rocsolver6v33100L10init_identI19rocblas_complex_numIdEPS3_EEviiT0_iil,comdat
	.globl	_ZN9rocsolver6v33100L10init_identI19rocblas_complex_numIdEPS3_EEviiT0_iil ; -- Begin function _ZN9rocsolver6v33100L10init_identI19rocblas_complex_numIdEPS3_EEviiT0_iil
	.p2align	8
	.type	_ZN9rocsolver6v33100L10init_identI19rocblas_complex_numIdEPS3_EEviiT0_iil,@function
_ZN9rocsolver6v33100L10init_identI19rocblas_complex_numIdEPS3_EEviiT0_iil: ; @_ZN9rocsolver6v33100L10init_identI19rocblas_complex_numIdEPS3_EEviiT0_iil
; %bb.0:
	s_clause 0x1
	s_load_b32 s4, s[0:1], 0x2c
	s_load_b64 s[2:3], s[0:1], 0x0
	v_and_b32_e32 v1, 0x3ff, v0
	v_bfe_u32 v2, v0, 10, 10
	s_waitcnt lgkmcnt(0)
	s_lshr_b32 s5, s4, 16
	s_and_b32 s4, s4, 0xffff
	s_delay_alu instid0(VALU_DEP_1) | instid1(SALU_CYCLE_1)
	v_mad_u64_u32 v[4:5], null, s13, s4, v[1:2]
	v_mad_u64_u32 v[0:1], null, s14, s5, v[2:3]
	s_delay_alu instid0(VALU_DEP_2) | instskip(NEXT) | instid1(VALU_DEP_2)
	v_cmp_gt_u32_e32 vcc_lo, s2, v4
	v_cmp_gt_u32_e64 s2, s3, v0
	s_delay_alu instid0(VALU_DEP_1) | instskip(NEXT) | instid1(SALU_CYCLE_1)
	s_and_b32 s2, vcc_lo, s2
	s_and_saveexec_b32 s3, s2
	s_cbranch_execz .LBB189_6
; %bb.1:
	s_load_b64 s[2:3], s[0:1], 0x10
	s_mov_b32 s6, exec_lo
                                        ; implicit-def: $sgpr4_sgpr5
                                        ; implicit-def: $vgpr2
	v_cmpx_ne_u32_e64 v4, v0
	s_xor_b32 s6, exec_lo, s6
	s_cbranch_execz .LBB189_3
; %bb.2:
	s_waitcnt lgkmcnt(0)
	v_mad_u64_u32 v[2:3], null, v0, s3, v[4:5]
	s_mov_b64 s[4:5], 0
                                        ; implicit-def: $vgpr4_vgpr5
.LBB189_3:
	s_or_saveexec_b32 s6, s6
	v_dual_mov_b32 v0, s4 :: v_dual_mov_b32 v1, s5
	s_xor_b32 exec_lo, exec_lo, s6
	s_cbranch_execz .LBB189_5
; %bb.4:
	s_waitcnt lgkmcnt(0)
	v_mad_u64_u32 v[2:3], null, v4, s3, v[4:5]
	v_mov_b32_e32 v0, 0
	v_mov_b32_e32 v1, 0x3ff00000
.LBB189_5:
	s_or_b32 exec_lo, exec_lo, s6
	s_clause 0x1
	s_load_b64 s[4:5], s[0:1], 0x18
	s_load_b64 s[0:1], s[0:1], 0x8
	v_mov_b32_e32 v3, 0
	s_delay_alu instid0(VALU_DEP_1)
	v_lshlrev_b64 v[4:5], 4, v[2:3]
	v_mov_b32_e32 v2, v3
	s_waitcnt lgkmcnt(0)
	s_mul_i32 s3, s15, s5
	s_mul_hi_u32 s5, s15, s4
	s_mul_i32 s4, s15, s4
	s_add_i32 s5, s5, s3
	s_ashr_i32 s3, s2, 31
	s_lshl_b64 s[4:5], s[4:5], 4
	s_delay_alu instid0(SALU_CYCLE_1) | instskip(SKIP_2) | instid1(SALU_CYCLE_1)
	s_add_u32 s4, s0, s4
	s_addc_u32 s5, s1, s5
	s_lshl_b64 s[0:1], s[2:3], 4
	s_add_u32 s0, s4, s0
	s_addc_u32 s1, s5, s1
	v_add_co_u32 v4, vcc_lo, s0, v4
	v_add_co_ci_u32_e32 v5, vcc_lo, s1, v5, vcc_lo
	global_store_b128 v[4:5], v[0:3], off
.LBB189_6:
	s_nop 0
	s_sendmsg sendmsg(MSG_DEALLOC_VGPRS)
	s_endpgm
	.section	.rodata,"a",@progbits
	.p2align	6, 0x0
	.amdhsa_kernel _ZN9rocsolver6v33100L10init_identI19rocblas_complex_numIdEPS3_EEviiT0_iil
		.amdhsa_group_segment_fixed_size 0
		.amdhsa_private_segment_fixed_size 0
		.amdhsa_kernarg_size 288
		.amdhsa_user_sgpr_count 13
		.amdhsa_user_sgpr_dispatch_ptr 0
		.amdhsa_user_sgpr_queue_ptr 0
		.amdhsa_user_sgpr_kernarg_segment_ptr 1
		.amdhsa_user_sgpr_dispatch_id 0
		.amdhsa_user_sgpr_private_segment_size 0
		.amdhsa_wavefront_size32 1
		.amdhsa_uses_dynamic_stack 0
		.amdhsa_enable_private_segment 0
		.amdhsa_system_sgpr_workgroup_id_x 1
		.amdhsa_system_sgpr_workgroup_id_y 1
		.amdhsa_system_sgpr_workgroup_id_z 1
		.amdhsa_system_sgpr_workgroup_info 0
		.amdhsa_system_vgpr_workitem_id 1
		.amdhsa_next_free_vgpr 6
		.amdhsa_next_free_sgpr 16
		.amdhsa_reserve_vcc 1
		.amdhsa_float_round_mode_32 0
		.amdhsa_float_round_mode_16_64 0
		.amdhsa_float_denorm_mode_32 3
		.amdhsa_float_denorm_mode_16_64 3
		.amdhsa_dx10_clamp 1
		.amdhsa_ieee_mode 1
		.amdhsa_fp16_overflow 0
		.amdhsa_workgroup_processor_mode 1
		.amdhsa_memory_ordered 1
		.amdhsa_forward_progress 0
		.amdhsa_shared_vgpr_count 0
		.amdhsa_exception_fp_ieee_invalid_op 0
		.amdhsa_exception_fp_denorm_src 0
		.amdhsa_exception_fp_ieee_div_zero 0
		.amdhsa_exception_fp_ieee_overflow 0
		.amdhsa_exception_fp_ieee_underflow 0
		.amdhsa_exception_fp_ieee_inexact 0
		.amdhsa_exception_int_div_zero 0
	.end_amdhsa_kernel
	.section	.text._ZN9rocsolver6v33100L10init_identI19rocblas_complex_numIdEPS3_EEviiT0_iil,"axG",@progbits,_ZN9rocsolver6v33100L10init_identI19rocblas_complex_numIdEPS3_EEviiT0_iil,comdat
.Lfunc_end189:
	.size	_ZN9rocsolver6v33100L10init_identI19rocblas_complex_numIdEPS3_EEviiT0_iil, .Lfunc_end189-_ZN9rocsolver6v33100L10init_identI19rocblas_complex_numIdEPS3_EEviiT0_iil
                                        ; -- End function
	.section	.AMDGPU.csdata,"",@progbits
; Kernel info:
; codeLenInByte = 320
; NumSgprs: 18
; NumVgprs: 6
; ScratchSize: 0
; MemoryBound: 0
; FloatMode: 240
; IeeeMode: 1
; LDSByteSize: 0 bytes/workgroup (compile time only)
; SGPRBlocks: 2
; VGPRBlocks: 0
; NumSGPRsForWavesPerEU: 18
; NumVGPRsForWavesPerEU: 6
; Occupancy: 16
; WaveLimiterHint : 0
; COMPUTE_PGM_RSRC2:SCRATCH_EN: 0
; COMPUTE_PGM_RSRC2:USER_SGPR: 13
; COMPUTE_PGM_RSRC2:TRAP_HANDLER: 0
; COMPUTE_PGM_RSRC2:TGID_X_EN: 1
; COMPUTE_PGM_RSRC2:TGID_Y_EN: 1
; COMPUTE_PGM_RSRC2:TGID_Z_EN: 1
; COMPUTE_PGM_RSRC2:TIDIG_COMP_CNT: 1
	.section	.text._ZN9rocsolver6v33100L11lasr_kernelI19rocblas_complex_numIdEdPS3_iEEv13rocblas_side_14rocblas_pivot_15rocblas_direct_T2_S8_PT0_lSA_lT1_lS8_lS8_,"axG",@progbits,_ZN9rocsolver6v33100L11lasr_kernelI19rocblas_complex_numIdEdPS3_iEEv13rocblas_side_14rocblas_pivot_15rocblas_direct_T2_S8_PT0_lSA_lT1_lS8_lS8_,comdat
	.globl	_ZN9rocsolver6v33100L11lasr_kernelI19rocblas_complex_numIdEdPS3_iEEv13rocblas_side_14rocblas_pivot_15rocblas_direct_T2_S8_PT0_lSA_lT1_lS8_lS8_ ; -- Begin function _ZN9rocsolver6v33100L11lasr_kernelI19rocblas_complex_numIdEdPS3_iEEv13rocblas_side_14rocblas_pivot_15rocblas_direct_T2_S8_PT0_lSA_lT1_lS8_lS8_
	.p2align	8
	.type	_ZN9rocsolver6v33100L11lasr_kernelI19rocblas_complex_numIdEdPS3_iEEv13rocblas_side_14rocblas_pivot_15rocblas_direct_T2_S8_PT0_lSA_lT1_lS8_lS8_,@function
_ZN9rocsolver6v33100L11lasr_kernelI19rocblas_complex_numIdEdPS3_iEEv13rocblas_side_14rocblas_pivot_15rocblas_direct_T2_S8_PT0_lSA_lT1_lS8_lS8_: ; @_ZN9rocsolver6v33100L11lasr_kernelI19rocblas_complex_numIdEdPS3_iEEv13rocblas_side_14rocblas_pivot_15rocblas_direct_T2_S8_PT0_lSA_lT1_lS8_lS8_
; %bb.0:
	s_load_b32 s33, s[0:1], 0x58
	s_waitcnt lgkmcnt(0)
	s_cmp_ge_u32 s15, s33
	s_cbranch_scc1 .LBB190_98
; %bb.1:
	s_clause 0x5
	s_load_b32 s12, s[0:1], 0x48
	s_load_b128 s[20:23], s[0:1], 0x38
	s_load_b64 s[24:25], s[0:1], 0x68
	s_load_b128 s[16:19], s[0:1], 0x0
	s_load_b32 s52, s[0:1], 0x10
	s_load_b32 s28, s[0:1], 0x60
	s_mov_b32 s43, 0
	v_mov_b32_e32 v38, 0
	s_mov_b32 s45, s43
	s_waitcnt lgkmcnt(0)
	s_ashr_i32 s13, s12, 31
	s_lshl_b64 s[2:3], s[22:23], 4
	s_and_b32 s26, s25, 0xffff
	s_add_u32 s25, s20, s2
	s_addc_u32 s53, s21, s3
	s_cmpk_lg_i32 s16, 0x8d
	v_mad_u64_u32 v[4:5], null, s14, s26, v[0:1]
	s_cselect_b32 s27, -1, 0
	s_cmpk_lg_i32 s16, 0x8e
	s_mov_b32 s22, s19
	s_cselect_b32 s30, -1, 0
	s_cmpk_lg_i32 s17, 0x119
	s_cselect_b32 s29, -1, 0
	s_cmpk_lg_i32 s17, 0x11b
	v_mad_i64_i32 v[0:1], null, s12, v4, 0
	s_cselect_b32 s31, -1, 0
	s_cmpk_lg_i32 s17, 0x11a
	s_load_b64 s[16:17], s[0:1], 0x50
	s_cselect_b32 s34, -1, 0
	s_cmpk_lg_i32 s18, 0xab
	s_mul_i32 s26, s28, s26
	s_cselect_b32 s35, -1, 0
	s_or_b32 s36, s27, s29
	s_ashr_i32 s23, s19, 31
	s_or_b32 s4, s36, s35
	s_add_i32 s42, s19, -2
	s_xor_b32 s14, s4, -1
	s_cmpk_lg_i32 s18, 0xac
	s_load_b256 s[4:11], s[0:1], 0x18
	s_cselect_b32 s37, -1, 0
	v_cmp_le_i32_e32 vcc_lo, s19, v4
	s_or_b32 s0, s36, s37
	v_lshlrev_b64 v[0:1], 4, v[0:1]
	s_xor_b32 s18, s0, -1
	s_cmp_gt_i32 s19, 1
	v_ashrrev_i32_e32 v5, 31, v4
	s_cselect_b32 s54, -1, 0
	s_or_b32 s1, s27, s34
	s_or_b32 s27, s27, s31
	;; [unrolled: 1-line block ×9, first 2 shown]
	s_xor_b32 s55, s29, -1
	s_xor_b32 s56, s1, -1
	;; [unrolled: 1-line block ×5, first 2 shown]
	s_add_i32 s60, s52, -1
	s_xor_b32 s61, s28, -1
	s_add_i32 s44, s52, -2
	s_cmp_gt_i32 s52, 1
	s_mul_i32 s36, s12, s26
	s_cselect_b32 s62, -1, 0
	s_or_b32 s27, s30, s34
	s_or_b32 s30, s30, s31
	;; [unrolled: 1-line block ×4, first 2 shown]
	s_or_b32 s31, s37, vcc_lo
	s_xor_b32 s64, s27, -1
	s_or_b32 s27, s30, s35
	v_add_co_u32 v0, vcc_lo, s25, v0
	s_xor_b32 s65, s27, -1
	s_or_b32 s27, s30, s31
	s_mul_hi_i32 s37, s12, s26
	s_lshl_b64 s[38:39], s[42:43], 3
	s_xor_b32 s63, s34, -1
	s_xor_b32 s66, s27, -1
	s_add_i32 s30, s19, -1
	s_waitcnt lgkmcnt(0)
	s_lshl_b64 s[10:11], s[10:11], 3
	s_lshl_b64 s[6:7], s[6:7], 3
	v_add_co_ci_u32_e32 v1, vcc_lo, s53, v1, vcc_lo
	s_lshl_b64 s[34:35], s[16:17], 4
	s_ashr_i32 s27, s26, 31
	s_lshl_b64 s[36:37], s[36:37], 4
	s_add_u32 s67, s4, s38
	s_addc_u32 s68, s5, s39
	v_add_co_u32 v16, vcc_lo, v0, 24
	s_add_u32 s69, s8, s38
	s_addc_u32 s70, s9, s39
	s_lshl_b64 s[38:39], s[42:43], 4
	v_add_co_ci_u32_e32 v17, vcc_lo, 0, v1, vcc_lo
	v_add_co_u32 v18, vcc_lo, v0, s38
	v_add_co_ci_u32_e32 v19, vcc_lo, s39, v1, vcc_lo
	v_add_co_u32 v20, vcc_lo, v0, 16
	;; [unrolled: 2-line block ×3, first 2 shown]
	s_mov_b32 s31, s43
	v_add_co_ci_u32_e32 v23, vcc_lo, 0, v1, vcc_lo
	s_lshl_b64 s[38:39], s[30:31], 4
	v_lshlrev_b64 v[0:1], 4, v[4:5]
	v_add_co_u32 v24, vcc_lo, v22, s38
	s_mul_i32 s31, s13, s44
	s_mul_hi_u32 s38, s12, s44
	v_add_co_ci_u32_e32 v25, vcc_lo, s39, v23, vcc_lo
	s_add_i32 s41, s38, s31
	s_mul_i32 s40, s12, s44
	v_add_co_u32 v26, vcc_lo, v18, 8
	s_lshl_b64 s[46:47], s[40:41], 4
	s_add_i32 s71, s19, 1
	v_add_co_ci_u32_e32 v27, vcc_lo, 0, v19, vcc_lo
	s_lshl_b64 s[38:39], s[26:27], 4
	s_lshl_b64 s[40:41], s[12:13], 4
	v_add_co_u32 v2, vcc_lo, s25, v0
	s_add_u32 s27, s46, s2
	s_mul_i32 s28, s12, s60
	s_addc_u32 s31, s47, s3
	s_mul_i32 s13, s13, s60
	s_mul_hi_u32 s42, s12, s60
	v_add_co_ci_u32_e32 v3, vcc_lo, s53, v1, vcc_lo
	s_add_u32 s27, s20, s27
	s_addc_u32 s31, s21, s31
	s_add_i32 s47, s42, s13
	s_mov_b32 s46, s28
	v_add_co_u32 v28, vcc_lo, v2, 8
	s_lshl_b64 s[42:43], s[46:47], 4
	v_add_co_ci_u32_e32 v29, vcc_lo, 0, v3, vcc_lo
	s_add_u32 s13, s42, s2
	v_add_co_u32 v30, vcc_lo, s27, v0
	s_addc_u32 s27, s43, s3
	s_add_u32 s13, s20, s13
	v_add_co_ci_u32_e32 v31, vcc_lo, s31, v1, vcc_lo
	s_addc_u32 s27, s21, s27
	s_lshl_b64 s[42:43], s[44:45], 3
	v_add_co_u32 v2, vcc_lo, s13, v0
	s_add_u32 s13, s4, s42
	v_add_co_ci_u32_e32 v3, vcc_lo, s27, v1, vcc_lo
	s_addc_u32 s27, s5, s43
	s_add_u32 s31, s8, s42
	s_addc_u32 s72, s9, s43
	s_add_u32 s2, s2, s40
	;; [unrolled: 2-line block ×3, first 2 shown]
	s_addc_u32 s3, s21, s3
	v_add_co_u32 v0, vcc_lo, s2, v0
	v_add_co_ci_u32_e32 v1, vcc_lo, s3, v1, vcc_lo
	v_add_co_u32 v32, vcc_lo, v2, 8
	v_add_co_ci_u32_e32 v33, vcc_lo, 0, v3, vcc_lo
	s_delay_alu instid0(VALU_DEP_4) | instskip(NEXT) | instid1(VALU_DEP_4)
	v_add_co_u32 v34, vcc_lo, v0, 8
	v_add_co_ci_u32_e32 v35, vcc_lo, 0, v1, vcc_lo
	v_add_co_u32 v36, vcc_lo, v30, 8
	v_cmp_gt_i32_e64 s0, s52, v4
	v_cmp_gt_i32_e64 s1, s19, v4
	v_add_co_ci_u32_e32 v37, vcc_lo, 0, v31, vcc_lo
	s_add_i32 s73, s52, 1
	s_sub_u32 s74, 0, s40
	s_mul_hi_i32 s29, s12, s60
	s_subb_u32 s75, 0, s41
	s_branch .LBB190_4
.LBB190_2:                              ;   in Loop: Header=BB190_4 Depth=1
	s_or_b32 exec_lo, exec_lo, s42
.LBB190_3:                              ;   in Loop: Header=BB190_4 Depth=1
	s_add_i32 s15, s15, s24
	s_delay_alu instid0(SALU_CYCLE_1)
	s_cmp_ge_u32 s15, s33
	s_cbranch_scc1 .LBB190_98
.LBB190_4:                              ; =>This Loop Header: Depth=1
                                        ;     Child Loop BB190_8 Depth 2
                                        ;       Child Loop BB190_9 Depth 3
                                        ;     Child Loop BB190_16 Depth 2
                                        ;       Child Loop BB190_17 Depth 3
	;; [unrolled: 2-line block ×12, first 2 shown]
	s_mul_i32 s2, s7, s15
	s_mul_hi_u32 s3, s6, s15
	s_mul_hi_u32 s76, s34, s15
	s_add_i32 s50, s3, s2
	s_mul_i32 s2, s11, s15
	s_mul_hi_u32 s3, s10, s15
	s_mul_i32 s80, s6, s15
	s_add_i32 s51, s3, s2
	s_mul_i32 s2, s35, s15
	s_mul_i32 s81, s10, s15
	s_add_i32 s76, s76, s2
	s_add_u32 s20, s4, s80
	s_addc_u32 s21, s5, s50
	s_mul_i32 s2, s15, s17
	s_mul_hi_u32 s3, s15, s16
	s_add_u32 s42, s8, s81
	s_addc_u32 s43, s9, s51
	s_add_i32 s3, s3, s2
	s_mul_i32 s2, s15, s16
	s_mul_i32 s79, s34, s15
	s_lshl_b64 s[2:3], s[2:3], 4
	s_delay_alu instid0(SALU_CYCLE_1)
	s_add_u32 s77, s25, s2
	s_addc_u32 s78, s53, s3
	s_and_not1_b32 vcc_lo, exec_lo, s14
	s_mov_b32 s2, -1
	s_cbranch_vccnz .LBB190_11
; %bb.5:                                ;   in Loop: Header=BB190_4 Depth=1
	s_and_saveexec_b32 s46, s0
	s_cbranch_execz .LBB190_10
; %bb.6:                                ;   in Loop: Header=BB190_4 Depth=1
	v_add_co_u32 v5, vcc_lo, v16, s79
	v_add_co_ci_u32_e32 v6, vcc_lo, s76, v17, vcc_lo
	s_lshl_b64 s[2:3], s[22:23], 4
	v_mov_b32_e32 v11, v4
	s_add_u32 s47, s77, s2
	s_addc_u32 s48, s78, s3
	s_mov_b32 s49, 0
	s_branch .LBB190_8
.LBB190_7:                              ;   in Loop: Header=BB190_8 Depth=2
	v_add_nc_u32_e32 v11, s26, v11
	v_add_co_u32 v7, vcc_lo, s47, v7
	v_add_co_ci_u32_e32 v8, vcc_lo, s48, v8, vcc_lo
	s_delay_alu instid0(VALU_DEP_3) | instskip(SKIP_1) | instid1(VALU_DEP_1)
	v_cmp_le_i32_e32 vcc_lo, s52, v11
	v_add_co_u32 v5, s2, v5, s36
	v_add_co_ci_u32_e64 v6, s2, s37, v6, s2
	s_or_b32 s49, vcc_lo, s49
	s_waitcnt vmcnt(0)
	global_store_b128 v[7:8], v[0:3], off offset:-16
	s_and_not1_b32 exec_lo, exec_lo, s49
	s_cbranch_execz .LBB190_10
.LBB190_8:                              ;   Parent Loop BB190_4 Depth=1
                                        ; =>  This Loop Header: Depth=2
                                        ;       Child Loop BB190_9 Depth 3
	v_mad_i64_i32 v[0:1], null, v11, s12, 0
	v_dual_mov_b32 v10, v6 :: v_dual_mov_b32 v9, v5
	s_mov_b64 s[2:3], s[20:21]
	s_mov_b64 s[44:45], s[42:43]
	s_mov_b32 s82, s30
	s_delay_alu instid0(VALU_DEP_2) | instskip(NEXT) | instid1(VALU_DEP_1)
	v_lshlrev_b64 v[7:8], 4, v[0:1]
	v_add_co_u32 v0, vcc_lo, s77, v7
	s_delay_alu instid0(VALU_DEP_2)
	v_add_co_ci_u32_e32 v1, vcc_lo, s78, v8, vcc_lo
	s_and_not1_b32 vcc_lo, exec_lo, s54
	global_load_b128 v[0:3], v[0:1], off
	s_cbranch_vccnz .LBB190_7
	.p2align	6
.LBB190_9:                              ;   Parent Loop BB190_4 Depth=1
                                        ;     Parent Loop BB190_8 Depth=2
                                        ; =>    This Inner Loop Header: Depth=3
	global_load_b64 v[39:40], v38, s[44:45]
	global_load_b128 v[12:15], v[9:10], off offset:-8
	global_load_b64 v[43:44], v38, s[2:3]
	s_add_i32 s82, s82, -1
	s_add_u32 s44, s44, 8
	s_addc_u32 s45, s45, 0
	s_add_u32 s2, s2, 8
	s_addc_u32 s3, s3, 0
	s_cmp_eq_u32 s82, 0
	s_waitcnt vmcnt(2)
	v_mul_f64 v[47:48], v[0:1], v[39:40]
	s_waitcnt vmcnt(1)
	v_mul_f64 v[41:42], v[39:40], v[12:13]
	v_mul_f64 v[45:46], v[39:40], v[14:15]
	;; [unrolled: 1-line block ×3, first 2 shown]
	s_waitcnt vmcnt(0)
	s_delay_alu instid0(VALU_DEP_3) | instskip(NEXT) | instid1(VALU_DEP_3)
	v_fma_f64 v[39:40], v[0:1], v[43:44], v[41:42]
	v_fma_f64 v[41:42], v[2:3], v[43:44], v[45:46]
	v_fma_f64 v[0:1], v[43:44], v[12:13], -v[47:48]
	s_delay_alu instid0(VALU_DEP_4)
	v_fma_f64 v[2:3], v[43:44], v[14:15], -v[49:50]
	global_store_b128 v[9:10], v[39:42], off offset:-24
	v_add_co_u32 v9, vcc_lo, v9, 16
	v_add_co_ci_u32_e32 v10, vcc_lo, 0, v10, vcc_lo
	s_cbranch_scc0 .LBB190_9
	s_branch .LBB190_7
.LBB190_10:                             ;   in Loop: Header=BB190_4 Depth=1
	s_or_b32 exec_lo, exec_lo, s46
	s_mov_b32 s2, 0
.LBB190_11:                             ;   in Loop: Header=BB190_4 Depth=1
	s_delay_alu instid0(SALU_CYCLE_1)
	s_and_not1_b32 vcc_lo, exec_lo, s2
	s_cbranch_vccnz .LBB190_3
; %bb.12:                               ;   in Loop: Header=BB190_4 Depth=1
	s_add_u32 s44, s67, s80
	s_addc_u32 s45, s68, s50
	s_add_u32 s46, s69, s81
	s_addc_u32 s47, s70, s51
	s_and_not1_b32 vcc_lo, exec_lo, s18
	s_mov_b32 s2, -1
	s_cbranch_vccnz .LBB190_19
; %bb.13:                               ;   in Loop: Header=BB190_4 Depth=1
	s_and_saveexec_b32 s82, s0
	s_cbranch_execz .LBB190_18
; %bb.14:                               ;   in Loop: Header=BB190_4 Depth=1
	v_add_co_u32 v5, vcc_lo, v18, s79
	v_add_co_ci_u32_e32 v6, vcc_lo, s76, v19, vcc_lo
	s_lshl_b64 s[2:3], s[22:23], 4
	v_mov_b32_e32 v11, v4
	s_add_u32 s83, s77, s2
	s_addc_u32 s84, s78, s3
	s_mov_b32 s85, 0
	s_branch .LBB190_16
.LBB190_15:                             ;   in Loop: Header=BB190_16 Depth=2
	v_add_nc_u32_e32 v11, s26, v11
	v_add_co_u32 v7, vcc_lo, s77, v7
	v_add_co_ci_u32_e32 v8, vcc_lo, s78, v8, vcc_lo
	s_delay_alu instid0(VALU_DEP_3) | instskip(SKIP_1) | instid1(VALU_DEP_1)
	v_cmp_le_i32_e32 vcc_lo, s52, v11
	v_add_co_u32 v5, s2, v5, s36
	v_add_co_ci_u32_e64 v6, s2, s37, v6, s2
	s_or_b32 s85, vcc_lo, s85
	s_waitcnt vmcnt(0)
	global_store_b128 v[7:8], v[0:3], off
	s_and_not1_b32 exec_lo, exec_lo, s85
	s_cbranch_execz .LBB190_18
.LBB190_16:                             ;   Parent Loop BB190_4 Depth=1
                                        ; =>  This Loop Header: Depth=2
                                        ;       Child Loop BB190_17 Depth 3
	v_mad_i64_i32 v[0:1], null, v11, s12, 0
	v_dual_mov_b32 v10, v6 :: v_dual_mov_b32 v9, v5
	s_mov_b64 s[2:3], s[46:47]
	s_mov_b64 s[48:49], s[44:45]
	s_mov_b32 s86, s30
	s_delay_alu instid0(VALU_DEP_2) | instskip(NEXT) | instid1(VALU_DEP_1)
	v_lshlrev_b64 v[7:8], 4, v[0:1]
	v_add_co_u32 v0, vcc_lo, s83, v7
	s_delay_alu instid0(VALU_DEP_2)
	v_add_co_ci_u32_e32 v1, vcc_lo, s84, v8, vcc_lo
	s_and_not1_b32 vcc_lo, exec_lo, s54
	global_load_b128 v[0:3], v[0:1], off offset:-16
	s_cbranch_vccnz .LBB190_15
	.p2align	6
.LBB190_17:                             ;   Parent Loop BB190_4 Depth=1
                                        ;     Parent Loop BB190_16 Depth=2
                                        ; =>    This Inner Loop Header: Depth=3
	global_load_b64 v[39:40], v38, s[2:3]
	global_load_b128 v[12:15], v[9:10], off
	global_load_b64 v[41:42], v38, s[48:49]
	s_add_i32 s86, s86, -1
	s_add_u32 s48, s48, -8
	s_addc_u32 s49, s49, -1
	s_add_u32 s2, s2, -8
	s_addc_u32 s3, s3, -1
	s_cmp_eq_u32 s86, 0
	s_waitcnt vmcnt(1)
	v_mul_f64 v[43:44], v[39:40], v[12:13]
	v_mul_f64 v[45:46], v[39:40], v[14:15]
	s_waitcnt vmcnt(0)
	v_mul_f64 v[47:48], v[41:42], v[12:13]
	v_mul_f64 v[49:50], v[41:42], v[14:15]
	s_delay_alu instid0(VALU_DEP_4) | instskip(NEXT) | instid1(VALU_DEP_4)
	v_fma_f64 v[12:13], v[0:1], v[41:42], -v[43:44]
	v_fma_f64 v[14:15], v[2:3], v[41:42], -v[45:46]
	s_delay_alu instid0(VALU_DEP_4) | instskip(NEXT) | instid1(VALU_DEP_4)
	v_fma_f64 v[0:1], v[0:1], v[39:40], v[47:48]
	v_fma_f64 v[2:3], v[2:3], v[39:40], v[49:50]
	global_store_b128 v[9:10], v[12:15], off offset:16
	v_add_co_u32 v9, vcc_lo, v9, -16
	v_add_co_ci_u32_e32 v10, vcc_lo, -1, v10, vcc_lo
	s_cbranch_scc0 .LBB190_17
	s_branch .LBB190_15
.LBB190_18:                             ;   in Loop: Header=BB190_4 Depth=1
	s_or_b32 exec_lo, exec_lo, s82
	s_mov_b32 s2, 0
.LBB190_19:                             ;   in Loop: Header=BB190_4 Depth=1
	s_delay_alu instid0(SALU_CYCLE_1)
	s_and_not1_b32 vcc_lo, exec_lo, s2
	s_cbranch_vccnz .LBB190_3
; %bb.20:                               ;   in Loop: Header=BB190_4 Depth=1
	s_and_not1_b32 vcc_lo, exec_lo, s55
	s_mov_b32 s2, -1
	s_cbranch_vccnz .LBB190_27
; %bb.21:                               ;   in Loop: Header=BB190_4 Depth=1
	s_and_saveexec_b32 s82, s0
	s_cbranch_execz .LBB190_26
; %bb.22:                               ;   in Loop: Header=BB190_4 Depth=1
	v_add_co_u32 v5, vcc_lo, v20, s79
	v_add_co_ci_u32_e32 v6, vcc_lo, s76, v21, vcc_lo
	v_mov_b32_e32 v11, v4
	s_mov_b32 s83, 0
	s_branch .LBB190_24
.LBB190_23:                             ;   in Loop: Header=BB190_24 Depth=2
	v_add_nc_u32_e32 v11, s26, v11
	v_add_co_u32 v5, s2, v5, s36
	s_delay_alu instid0(VALU_DEP_1) | instskip(NEXT) | instid1(VALU_DEP_3)
	v_add_co_ci_u32_e64 v6, s2, s37, v6, s2
	v_cmp_le_i32_e32 vcc_lo, s52, v11
	s_waitcnt vmcnt(0)
	global_store_b128 v[7:8], v[0:3], off
	s_or_b32 s83, vcc_lo, s83
	s_delay_alu instid0(SALU_CYCLE_1)
	s_and_not1_b32 exec_lo, exec_lo, s83
	s_cbranch_execz .LBB190_26
.LBB190_24:                             ;   Parent Loop BB190_4 Depth=1
                                        ; =>  This Loop Header: Depth=2
                                        ;       Child Loop BB190_25 Depth 3
	s_delay_alu instid0(VALU_DEP_1) | instskip(SKIP_4) | instid1(VALU_DEP_2)
	v_mad_i64_i32 v[0:1], null, v11, s12, 0
	v_dual_mov_b32 v10, v6 :: v_dual_mov_b32 v9, v5
	s_mov_b32 s84, s30
	s_mov_b64 s[2:3], s[20:21]
	s_mov_b64 s[48:49], s[42:43]
	v_lshlrev_b64 v[0:1], 4, v[0:1]
	s_delay_alu instid0(VALU_DEP_1) | instskip(NEXT) | instid1(VALU_DEP_2)
	v_add_co_u32 v7, vcc_lo, s77, v0
	v_add_co_ci_u32_e32 v8, vcc_lo, s78, v1, vcc_lo
	s_and_not1_b32 vcc_lo, exec_lo, s54
	global_load_b128 v[0:3], v[7:8], off
	s_cbranch_vccnz .LBB190_23
	.p2align	6
.LBB190_25:                             ;   Parent Loop BB190_4 Depth=1
                                        ;     Parent Loop BB190_24 Depth=2
                                        ; =>    This Inner Loop Header: Depth=3
	s_clause 0x1
	global_load_b64 v[39:40], v38, s[48:49]
	global_load_b64 v[41:42], v38, s[2:3]
	global_load_b128 v[12:15], v[9:10], off
	s_add_u32 s48, s48, 8
	s_addc_u32 s49, s49, 0
	s_add_u32 s2, s2, 8
	s_addc_u32 s3, s3, 0
	s_add_i32 s84, s84, -1
	s_delay_alu instid0(SALU_CYCLE_1)
	s_cmp_eq_u32 s84, 0
	s_waitcnt vmcnt(2)
	v_mul_f64 v[43:44], v[0:1], v[39:40]
	v_mul_f64 v[45:46], v[2:3], v[39:40]
	s_waitcnt vmcnt(0)
	v_mul_f64 v[47:48], v[39:40], v[12:13]
	v_mul_f64 v[39:40], v[39:40], v[14:15]
	s_delay_alu instid0(VALU_DEP_4) | instskip(NEXT) | instid1(VALU_DEP_4)
	v_fma_f64 v[12:13], v[41:42], v[12:13], -v[43:44]
	v_fma_f64 v[14:15], v[41:42], v[14:15], -v[45:46]
	s_delay_alu instid0(VALU_DEP_4) | instskip(NEXT) | instid1(VALU_DEP_4)
	v_fma_f64 v[0:1], v[0:1], v[41:42], v[47:48]
	v_fma_f64 v[2:3], v[2:3], v[41:42], v[39:40]
	global_store_b128 v[9:10], v[12:15], off
	v_add_co_u32 v9, vcc_lo, v9, 16
	v_add_co_ci_u32_e32 v10, vcc_lo, 0, v10, vcc_lo
	s_cbranch_scc0 .LBB190_25
	s_branch .LBB190_23
.LBB190_26:                             ;   in Loop: Header=BB190_4 Depth=1
	s_or_b32 exec_lo, exec_lo, s82
	s_mov_b32 s2, 0
.LBB190_27:                             ;   in Loop: Header=BB190_4 Depth=1
	s_delay_alu instid0(SALU_CYCLE_1)
	s_and_not1_b32 vcc_lo, exec_lo, s2
	s_cbranch_vccnz .LBB190_3
; %bb.28:                               ;   in Loop: Header=BB190_4 Depth=1
	s_and_not1_b32 vcc_lo, exec_lo, s56
	s_mov_b32 s2, -1
	s_cbranch_vccnz .LBB190_35
; %bb.29:                               ;   in Loop: Header=BB190_4 Depth=1
	s_and_saveexec_b32 s82, s0
	s_cbranch_execz .LBB190_34
; %bb.30:                               ;   in Loop: Header=BB190_4 Depth=1
	v_add_co_u32 v5, vcc_lo, v24, s79
	v_add_co_ci_u32_e32 v6, vcc_lo, s76, v25, vcc_lo
	v_mov_b32_e32 v11, v4
	s_mov_b32 s83, 0
	s_branch .LBB190_32
.LBB190_31:                             ;   in Loop: Header=BB190_32 Depth=2
	v_add_nc_u32_e32 v11, s26, v11
	v_add_co_u32 v5, s2, v5, s36
	s_delay_alu instid0(VALU_DEP_1) | instskip(NEXT) | instid1(VALU_DEP_3)
	v_add_co_ci_u32_e64 v6, s2, s37, v6, s2
	v_cmp_le_i32_e32 vcc_lo, s52, v11
	s_waitcnt vmcnt(0)
	global_store_b128 v[7:8], v[0:3], off
	s_or_b32 s83, vcc_lo, s83
	s_delay_alu instid0(SALU_CYCLE_1)
	s_and_not1_b32 exec_lo, exec_lo, s83
	s_cbranch_execz .LBB190_34
.LBB190_32:                             ;   Parent Loop BB190_4 Depth=1
                                        ; =>  This Loop Header: Depth=2
                                        ;       Child Loop BB190_33 Depth 3
	s_delay_alu instid0(VALU_DEP_1) | instskip(SKIP_4) | instid1(VALU_DEP_2)
	v_mad_i64_i32 v[0:1], null, v11, s12, 0
	v_dual_mov_b32 v10, v6 :: v_dual_mov_b32 v9, v5
	s_mov_b64 s[2:3], s[46:47]
	s_mov_b64 s[48:49], s[44:45]
	s_mov_b32 s84, s71
	v_lshlrev_b64 v[0:1], 4, v[0:1]
	s_delay_alu instid0(VALU_DEP_1) | instskip(NEXT) | instid1(VALU_DEP_2)
	v_add_co_u32 v7, vcc_lo, s77, v0
	v_add_co_ci_u32_e32 v8, vcc_lo, s78, v1, vcc_lo
	s_and_not1_b32 vcc_lo, exec_lo, s54
	global_load_b128 v[0:3], v[7:8], off
	s_cbranch_vccnz .LBB190_31
	.p2align	6
.LBB190_33:                             ;   Parent Loop BB190_4 Depth=1
                                        ;     Parent Loop BB190_32 Depth=2
                                        ; =>    This Inner Loop Header: Depth=3
	s_clause 0x1
	global_load_b64 v[39:40], v38, s[2:3]
	global_load_b64 v[41:42], v38, s[48:49]
	global_load_b128 v[12:15], v[9:10], off offset:-8
	s_add_i32 s84, s84, -1
	s_add_u32 s48, s48, -8
	s_addc_u32 s49, s49, -1
	s_add_u32 s2, s2, -8
	s_addc_u32 s3, s3, -1
	s_cmp_lt_u32 s84, 3
	s_waitcnt vmcnt(2)
	v_mul_f64 v[43:44], v[0:1], v[39:40]
	v_mul_f64 v[45:46], v[2:3], v[39:40]
	s_waitcnt vmcnt(0)
	v_mul_f64 v[47:48], v[39:40], v[12:13]
	v_mul_f64 v[39:40], v[39:40], v[14:15]
	s_delay_alu instid0(VALU_DEP_4) | instskip(NEXT) | instid1(VALU_DEP_4)
	v_fma_f64 v[12:13], v[41:42], v[12:13], -v[43:44]
	v_fma_f64 v[14:15], v[41:42], v[14:15], -v[45:46]
	s_delay_alu instid0(VALU_DEP_4) | instskip(NEXT) | instid1(VALU_DEP_4)
	v_fma_f64 v[0:1], v[0:1], v[41:42], v[47:48]
	v_fma_f64 v[2:3], v[2:3], v[41:42], v[39:40]
	global_store_b128 v[9:10], v[12:15], off offset:-8
	v_add_co_u32 v9, vcc_lo, v9, -16
	v_add_co_ci_u32_e32 v10, vcc_lo, -1, v10, vcc_lo
	s_cbranch_scc0 .LBB190_33
	s_branch .LBB190_31
.LBB190_34:                             ;   in Loop: Header=BB190_4 Depth=1
	s_or_b32 exec_lo, exec_lo, s82
	s_mov_b32 s2, 0
.LBB190_35:                             ;   in Loop: Header=BB190_4 Depth=1
	s_delay_alu instid0(SALU_CYCLE_1)
	s_and_not1_b32 vcc_lo, exec_lo, s2
	s_cbranch_vccnz .LBB190_3
; %bb.36:                               ;   in Loop: Header=BB190_4 Depth=1
	s_and_not1_b32 vcc_lo, exec_lo, s57
	s_mov_b32 s2, -1
	s_cbranch_vccnz .LBB190_43
; %bb.37:                               ;   in Loop: Header=BB190_4 Depth=1
	s_and_saveexec_b32 s82, s0
	s_cbranch_execz .LBB190_42
; %bb.38:                               ;   in Loop: Header=BB190_4 Depth=1
	v_add_co_u32 v5, vcc_lo, v22, s79
	v_add_co_ci_u32_e32 v6, vcc_lo, s76, v23, vcc_lo
	s_lshl_b64 s[2:3], s[22:23], 4
	v_mov_b32_e32 v11, v4
	s_add_u32 s83, s77, s2
	s_addc_u32 s84, s78, s3
	s_mov_b32 s85, 0
	s_branch .LBB190_40
.LBB190_39:                             ;   in Loop: Header=BB190_40 Depth=2
	v_add_nc_u32_e32 v11, s26, v11
	v_add_co_u32 v5, s2, v5, s36
	s_delay_alu instid0(VALU_DEP_1) | instskip(NEXT) | instid1(VALU_DEP_3)
	v_add_co_ci_u32_e64 v6, s2, s37, v6, s2
	v_cmp_le_i32_e32 vcc_lo, s52, v11
	s_waitcnt vmcnt(0)
	global_store_b128 v[7:8], v[0:3], off offset:-16
	s_or_b32 s85, vcc_lo, s85
	s_delay_alu instid0(SALU_CYCLE_1)
	s_and_not1_b32 exec_lo, exec_lo, s85
	s_cbranch_execz .LBB190_42
.LBB190_40:                             ;   Parent Loop BB190_4 Depth=1
                                        ; =>  This Loop Header: Depth=2
                                        ;       Child Loop BB190_41 Depth 3
	v_mad_i64_i32 v[0:1], null, v11, s12, 0
	v_dual_mov_b32 v10, v6 :: v_dual_mov_b32 v9, v5
	s_mov_b64 s[2:3], s[42:43]
	s_mov_b64 s[48:49], s[20:21]
	s_mov_b32 s86, s30
	s_delay_alu instid0(VALU_DEP_2) | instskip(NEXT) | instid1(VALU_DEP_1)
	v_lshlrev_b64 v[0:1], 4, v[0:1]
	v_add_co_u32 v7, vcc_lo, s83, v0
	s_delay_alu instid0(VALU_DEP_2)
	v_add_co_ci_u32_e32 v8, vcc_lo, s84, v1, vcc_lo
	s_and_not1_b32 vcc_lo, exec_lo, s54
	global_load_b128 v[0:3], v[7:8], off offset:-16
	s_cbranch_vccnz .LBB190_39
	.p2align	6
.LBB190_41:                             ;   Parent Loop BB190_4 Depth=1
                                        ;     Parent Loop BB190_40 Depth=2
                                        ; =>    This Inner Loop Header: Depth=3
	global_load_b128 v[12:15], v[9:10], off offset:-8
	s_clause 0x1
	global_load_b64 v[39:40], v38, s[48:49]
	global_load_b64 v[41:42], v38, s[2:3]
	s_add_i32 s86, s86, -1
	s_add_u32 s48, s48, 8
	s_addc_u32 s49, s49, 0
	s_add_u32 s2, s2, 8
	s_addc_u32 s3, s3, 0
	s_cmp_eq_u32 s86, 0
	s_waitcnt vmcnt(1)
	v_mul_f64 v[43:44], v[39:40], v[12:13]
	v_mul_f64 v[45:46], v[39:40], v[14:15]
	s_waitcnt vmcnt(0)
	v_mul_f64 v[47:48], v[41:42], v[12:13]
	v_mul_f64 v[49:50], v[41:42], v[14:15]
	s_delay_alu instid0(VALU_DEP_4) | instskip(NEXT) | instid1(VALU_DEP_4)
	v_fma_f64 v[12:13], v[0:1], v[41:42], v[43:44]
	v_fma_f64 v[14:15], v[2:3], v[41:42], v[45:46]
	s_delay_alu instid0(VALU_DEP_4) | instskip(NEXT) | instid1(VALU_DEP_4)
	v_fma_f64 v[0:1], v[0:1], v[39:40], -v[47:48]
	v_fma_f64 v[2:3], v[2:3], v[39:40], -v[49:50]
	global_store_b128 v[9:10], v[12:15], off offset:-8
	v_add_co_u32 v9, vcc_lo, v9, 16
	v_add_co_ci_u32_e32 v10, vcc_lo, 0, v10, vcc_lo
	s_cbranch_scc0 .LBB190_41
	s_branch .LBB190_39
.LBB190_42:                             ;   in Loop: Header=BB190_4 Depth=1
	s_or_b32 exec_lo, exec_lo, s82
	s_mov_b32 s2, 0
.LBB190_43:                             ;   in Loop: Header=BB190_4 Depth=1
	s_delay_alu instid0(SALU_CYCLE_1)
	s_and_not1_b32 vcc_lo, exec_lo, s2
	s_cbranch_vccnz .LBB190_3
; %bb.44:                               ;   in Loop: Header=BB190_4 Depth=1
	s_and_not1_b32 vcc_lo, exec_lo, s58
	s_mov_b32 s2, -1
	s_cbranch_vccnz .LBB190_51
; %bb.45:                               ;   in Loop: Header=BB190_4 Depth=1
	s_and_saveexec_b32 s82, s0
	s_cbranch_execz .LBB190_50
; %bb.46:                               ;   in Loop: Header=BB190_4 Depth=1
	v_add_co_u32 v5, vcc_lo, v26, s79
	v_add_co_ci_u32_e32 v6, vcc_lo, s76, v27, vcc_lo
	s_lshl_b64 s[2:3], s[22:23], 4
	v_mov_b32_e32 v11, v4
	s_add_u32 s83, s77, s2
	s_addc_u32 s84, s78, s3
	s_mov_b32 s85, 0
	s_branch .LBB190_48
.LBB190_47:                             ;   in Loop: Header=BB190_48 Depth=2
	v_add_nc_u32_e32 v11, s26, v11
	v_add_co_u32 v5, s2, v5, s36
	s_delay_alu instid0(VALU_DEP_1) | instskip(NEXT) | instid1(VALU_DEP_3)
	v_add_co_ci_u32_e64 v6, s2, s37, v6, s2
	v_cmp_le_i32_e32 vcc_lo, s52, v11
	s_waitcnt vmcnt(0)
	global_store_b128 v[7:8], v[0:3], off offset:-16
	s_or_b32 s85, vcc_lo, s85
	s_delay_alu instid0(SALU_CYCLE_1)
	s_and_not1_b32 exec_lo, exec_lo, s85
	s_cbranch_execz .LBB190_50
.LBB190_48:                             ;   Parent Loop BB190_4 Depth=1
                                        ; =>  This Loop Header: Depth=2
                                        ;       Child Loop BB190_49 Depth 3
	v_mad_i64_i32 v[0:1], null, v11, s12, 0
	v_dual_mov_b32 v10, v6 :: v_dual_mov_b32 v9, v5
	s_mov_b64 s[2:3], s[46:47]
	s_mov_b64 s[48:49], s[44:45]
	s_mov_b32 s86, s30
	s_delay_alu instid0(VALU_DEP_2) | instskip(NEXT) | instid1(VALU_DEP_1)
	v_lshlrev_b64 v[0:1], 4, v[0:1]
	v_add_co_u32 v7, vcc_lo, s83, v0
	s_delay_alu instid0(VALU_DEP_2)
	v_add_co_ci_u32_e32 v8, vcc_lo, s84, v1, vcc_lo
	s_and_not1_b32 vcc_lo, exec_lo, s54
	global_load_b128 v[0:3], v[7:8], off offset:-16
	s_cbranch_vccnz .LBB190_47
	.p2align	6
.LBB190_49:                             ;   Parent Loop BB190_4 Depth=1
                                        ;     Parent Loop BB190_48 Depth=2
                                        ; =>    This Inner Loop Header: Depth=3
	global_load_b128 v[12:15], v[9:10], off offset:-8
	s_clause 0x1
	global_load_b64 v[39:40], v38, s[48:49]
	global_load_b64 v[41:42], v38, s[2:3]
	s_add_i32 s86, s86, -1
	s_add_u32 s48, s48, -8
	s_addc_u32 s49, s49, -1
	s_add_u32 s2, s2, -8
	s_addc_u32 s3, s3, -1
	s_cmp_eq_u32 s86, 0
	s_waitcnt vmcnt(1)
	v_mul_f64 v[43:44], v[39:40], v[12:13]
	v_mul_f64 v[45:46], v[39:40], v[14:15]
	s_waitcnt vmcnt(0)
	v_mul_f64 v[47:48], v[41:42], v[12:13]
	v_mul_f64 v[49:50], v[41:42], v[14:15]
	s_delay_alu instid0(VALU_DEP_4) | instskip(NEXT) | instid1(VALU_DEP_4)
	v_fma_f64 v[12:13], v[0:1], v[41:42], v[43:44]
	v_fma_f64 v[14:15], v[2:3], v[41:42], v[45:46]
	s_delay_alu instid0(VALU_DEP_4) | instskip(NEXT) | instid1(VALU_DEP_4)
	v_fma_f64 v[0:1], v[0:1], v[39:40], -v[47:48]
	v_fma_f64 v[2:3], v[2:3], v[39:40], -v[49:50]
	global_store_b128 v[9:10], v[12:15], off offset:-8
	v_add_co_u32 v9, vcc_lo, v9, -16
	v_add_co_ci_u32_e32 v10, vcc_lo, -1, v10, vcc_lo
	s_cbranch_scc0 .LBB190_49
	s_branch .LBB190_47
.LBB190_50:                             ;   in Loop: Header=BB190_4 Depth=1
	s_or_b32 exec_lo, exec_lo, s82
	s_mov_b32 s2, 0
.LBB190_51:                             ;   in Loop: Header=BB190_4 Depth=1
	s_delay_alu instid0(SALU_CYCLE_1)
	s_and_not1_b32 vcc_lo, exec_lo, s2
	s_cbranch_vccnz .LBB190_3
; %bb.52:                               ;   in Loop: Header=BB190_4 Depth=1
	v_add_co_u32 v5, vcc_lo, v28, s79
	v_add_co_ci_u32_e32 v6, vcc_lo, s76, v29, vcc_lo
	s_and_not1_b32 vcc_lo, exec_lo, s59
	s_mov_b32 s2, -1
	s_cbranch_vccnz .LBB190_59
; %bb.53:                               ;   in Loop: Header=BB190_4 Depth=1
	s_and_saveexec_b32 s46, s1
	s_cbranch_execz .LBB190_58
; %bb.54:                               ;   in Loop: Header=BB190_4 Depth=1
	s_lshl_b64 s[2:3], s[28:29], 4
	v_dual_mov_b32 v8, v6 :: v_dual_mov_b32 v7, v5
	v_mov_b32_e32 v9, v4
	s_add_u32 s47, s77, s2
	s_addc_u32 s48, s78, s3
	s_mov_b32 s49, 0
	s_branch .LBB190_56
.LBB190_55:                             ;   in Loop: Header=BB190_56 Depth=2
	v_add_nc_u32_e32 v9, s26, v9
	v_add_co_u32 v10, vcc_lo, s47, v10
	v_add_co_ci_u32_e32 v11, vcc_lo, s48, v11, vcc_lo
	s_delay_alu instid0(VALU_DEP_3) | instskip(SKIP_1) | instid1(VALU_DEP_1)
	v_cmp_le_i32_e32 vcc_lo, s19, v9
	v_add_co_u32 v7, s2, v7, s38
	v_add_co_ci_u32_e64 v8, s2, s39, v8, s2
	s_or_b32 s49, vcc_lo, s49
	s_waitcnt vmcnt(0)
	global_store_b128 v[10:11], v[0:3], off
	s_and_not1_b32 exec_lo, exec_lo, s49
	s_cbranch_execz .LBB190_58
.LBB190_56:                             ;   Parent Loop BB190_4 Depth=1
                                        ; =>  This Loop Header: Depth=2
                                        ;       Child Loop BB190_57 Depth 3
	v_ashrrev_i32_e32 v10, 31, v9
	v_dual_mov_b32 v13, v8 :: v_dual_mov_b32 v12, v7
	s_mov_b64 s[2:3], s[42:43]
	s_mov_b64 s[44:45], s[20:21]
	s_delay_alu instid0(VALU_DEP_2) | instskip(SKIP_1) | instid1(VALU_DEP_1)
	v_lshlrev_b64 v[10:11], 4, v[9:10]
	s_mov_b32 s82, s60
	v_add_co_u32 v0, vcc_lo, s77, v10
	s_delay_alu instid0(VALU_DEP_2)
	v_add_co_ci_u32_e32 v1, vcc_lo, s78, v11, vcc_lo
	s_and_not1_b32 vcc_lo, exec_lo, s62
	global_load_b128 v[0:3], v[0:1], off
	s_cbranch_vccnz .LBB190_55
	.p2align	6
.LBB190_57:                             ;   Parent Loop BB190_4 Depth=1
                                        ;     Parent Loop BB190_56 Depth=2
                                        ; =>    This Inner Loop Header: Depth=3
	s_delay_alu instid0(VALU_DEP_1) | instskip(NEXT) | instid1(VALU_DEP_2)
	v_add_co_u32 v14, vcc_lo, v12, s40
	v_add_co_ci_u32_e32 v15, vcc_lo, s41, v13, vcc_lo
	s_add_i32 s82, s82, -1
	global_load_b64 v[43:44], v38, s[2:3]
	global_load_b128 v[39:42], v[14:15], off offset:-8
	global_load_b64 v[47:48], v38, s[44:45]
	s_add_u32 s44, s44, 8
	s_addc_u32 s45, s45, 0
	s_add_u32 s2, s2, 8
	s_addc_u32 s3, s3, 0
	s_cmp_eq_u32 s82, 0
	s_waitcnt vmcnt(2)
	v_mul_f64 v[51:52], v[0:1], v[43:44]
	s_waitcnt vmcnt(1)
	v_mul_f64 v[45:46], v[43:44], v[39:40]
	v_mul_f64 v[49:50], v[43:44], v[41:42]
	;; [unrolled: 1-line block ×3, first 2 shown]
	s_waitcnt vmcnt(0)
	s_delay_alu instid0(VALU_DEP_3) | instskip(NEXT) | instid1(VALU_DEP_3)
	v_fma_f64 v[43:44], v[0:1], v[47:48], v[45:46]
	v_fma_f64 v[45:46], v[2:3], v[47:48], v[49:50]
	v_fma_f64 v[0:1], v[47:48], v[39:40], -v[51:52]
	s_delay_alu instid0(VALU_DEP_4)
	v_fma_f64 v[2:3], v[47:48], v[41:42], -v[53:54]
	global_store_b128 v[12:13], v[43:46], off offset:-8
	v_dual_mov_b32 v12, v14 :: v_dual_mov_b32 v13, v15
	s_cbranch_scc0 .LBB190_57
	s_branch .LBB190_55
.LBB190_58:                             ;   in Loop: Header=BB190_4 Depth=1
	s_or_b32 exec_lo, exec_lo, s46
	s_mov_b32 s2, 0
.LBB190_59:                             ;   in Loop: Header=BB190_4 Depth=1
	s_delay_alu instid0(SALU_CYCLE_1)
	s_and_not1_b32 vcc_lo, exec_lo, s2
	s_cbranch_vccnz .LBB190_3
; %bb.60:                               ;   in Loop: Header=BB190_4 Depth=1
	v_add_co_u32 v7, vcc_lo, v32, s79
	s_add_u32 s44, s13, s80
	v_add_co_ci_u32_e32 v8, vcc_lo, s76, v33, vcc_lo
	s_addc_u32 s45, s27, s50
	s_add_u32 s46, s31, s81
	s_addc_u32 s47, s72, s51
	s_and_not1_b32 vcc_lo, exec_lo, s61
	s_mov_b32 s2, -1
	s_cbranch_vccnz .LBB190_68
; %bb.61:                               ;   in Loop: Header=BB190_4 Depth=1
	s_and_saveexec_b32 s80, s1
	s_cbranch_execz .LBB190_67
; %bb.62:                               ;   in Loop: Header=BB190_4 Depth=1
	v_add_co_u32 v14, vcc_lo, v30, s79
	v_add_co_ci_u32_e32 v15, vcc_lo, s76, v31, vcc_lo
	s_lshl_b64 s[2:3], s[28:29], 4
	v_dual_mov_b32 v10, v8 :: v_dual_mov_b32 v9, v7
	v_mov_b32_e32 v11, v4
	s_add_u32 s81, s77, s2
	s_addc_u32 s82, s78, s3
	s_mov_b32 s83, 0
	s_branch .LBB190_64
.LBB190_63:                             ;   in Loop: Header=BB190_64 Depth=2
	s_set_inst_prefetch_distance 0x2
	v_add_co_u32 v12, vcc_lo, s77, v12
	v_add_nc_u32_e32 v11, s26, v11
	v_add_co_ci_u32_e32 v13, vcc_lo, s78, v13, vcc_lo
	v_add_co_u32 v14, vcc_lo, v14, s38
	v_add_co_ci_u32_e32 v15, vcc_lo, s39, v15, vcc_lo
	s_delay_alu instid0(VALU_DEP_4) | instskip(SKIP_1) | instid1(VALU_DEP_1)
	v_cmp_le_i32_e32 vcc_lo, s19, v11
	v_add_co_u32 v9, s2, v9, s38
	v_add_co_ci_u32_e64 v10, s2, s39, v10, s2
	s_or_b32 s83, vcc_lo, s83
	s_waitcnt vmcnt(0)
	global_store_b128 v[12:13], v[0:3], off
	s_and_not1_b32 exec_lo, exec_lo, s83
	s_cbranch_execz .LBB190_67
.LBB190_64:                             ;   Parent Loop BB190_4 Depth=1
                                        ; =>  This Loop Header: Depth=2
                                        ;       Child Loop BB190_66 Depth 3
	v_ashrrev_i32_e32 v12, 31, v11
	s_delay_alu instid0(VALU_DEP_1) | instskip(NEXT) | instid1(VALU_DEP_1)
	v_lshlrev_b64 v[12:13], 4, v[11:12]
	v_add_co_u32 v0, vcc_lo, s81, v12
	s_delay_alu instid0(VALU_DEP_2)
	v_add_co_ci_u32_e32 v1, vcc_lo, s82, v13, vcc_lo
	s_and_not1_b32 vcc_lo, exec_lo, s62
	global_load_b128 v[0:3], v[0:1], off
	s_cbranch_vccnz .LBB190_63
; %bb.65:                               ;   in Loop: Header=BB190_64 Depth=2
	s_mov_b64 s[2:3], 0
	s_mov_b64 s[48:49], s[46:47]
	;; [unrolled: 1-line block ×3, first 2 shown]
	s_mov_b32 s84, s60
	s_set_inst_prefetch_distance 0x1
	.p2align	6
.LBB190_66:                             ;   Parent Loop BB190_4 Depth=1
                                        ;     Parent Loop BB190_64 Depth=2
                                        ; =>    This Inner Loop Header: Depth=3
	v_add_co_u32 v39, vcc_lo, v14, s2
	v_add_co_ci_u32_e32 v40, vcc_lo, s3, v15, vcc_lo
	s_add_i32 s84, s84, -1
	s_clause 0x1
	global_load_b64 v[43:44], v38, s[50:51]
	global_load_b64 v[45:46], v38, s[48:49]
	global_load_b128 v[39:42], v[39:40], off
	s_waitcnt vmcnt(0)
	v_mul_f64 v[47:48], v[45:46], v[39:40]
	v_mul_f64 v[49:50], v[45:46], v[41:42]
	;; [unrolled: 1-line block ×4, first 2 shown]
	s_delay_alu instid0(VALU_DEP_4) | instskip(NEXT) | instid1(VALU_DEP_4)
	v_fma_f64 v[39:40], v[0:1], v[43:44], -v[47:48]
	v_fma_f64 v[41:42], v[2:3], v[43:44], -v[49:50]
	s_delay_alu instid0(VALU_DEP_4) | instskip(NEXT) | instid1(VALU_DEP_4)
	v_fma_f64 v[0:1], v[0:1], v[45:46], v[51:52]
	v_fma_f64 v[2:3], v[2:3], v[45:46], v[53:54]
	v_add_co_u32 v43, vcc_lo, v9, s2
	s_sub_u32 s2, s2, s40
	v_add_co_ci_u32_e32 v44, vcc_lo, s3, v10, vcc_lo
	s_subb_u32 s3, s3, s41
	s_add_u32 s50, s50, -8
	s_addc_u32 s51, s51, -1
	s_add_u32 s48, s48, -8
	s_addc_u32 s49, s49, -1
	s_cmp_eq_u32 s84, 0
	global_store_b128 v[43:44], v[39:42], off offset:-8
	s_cbranch_scc0 .LBB190_66
	s_branch .LBB190_63
.LBB190_67:                             ;   in Loop: Header=BB190_4 Depth=1
	s_or_b32 exec_lo, exec_lo, s80
	s_mov_b32 s2, 0
.LBB190_68:                             ;   in Loop: Header=BB190_4 Depth=1
	s_delay_alu instid0(SALU_CYCLE_1)
	s_and_not1_b32 vcc_lo, exec_lo, s2
	s_cbranch_vccnz .LBB190_3
; %bb.69:                               ;   in Loop: Header=BB190_4 Depth=1
	s_and_not1_b32 vcc_lo, exec_lo, s63
	s_mov_b32 s2, -1
	s_cbranch_vccnz .LBB190_76
; %bb.70:                               ;   in Loop: Header=BB190_4 Depth=1
	s_and_saveexec_b32 s50, s1
	s_cbranch_execz .LBB190_75
; %bb.71:                               ;   in Loop: Header=BB190_4 Depth=1
	v_add_co_u32 v9, vcc_lo, v34, s79
	v_add_co_ci_u32_e32 v10, vcc_lo, s76, v35, vcc_lo
	v_mov_b32_e32 v11, v4
	s_mov_b32 s51, 0
	s_branch .LBB190_73
.LBB190_72:                             ;   in Loop: Header=BB190_73 Depth=2
	v_add_nc_u32_e32 v11, s26, v11
	v_add_co_u32 v9, s2, v9, s38
	s_delay_alu instid0(VALU_DEP_1) | instskip(NEXT) | instid1(VALU_DEP_3)
	v_add_co_ci_u32_e64 v10, s2, s39, v10, s2
	v_cmp_le_i32_e32 vcc_lo, s19, v11
	s_waitcnt vmcnt(0)
	global_store_b128 v[12:13], v[0:3], off
	s_or_b32 s51, vcc_lo, s51
	s_delay_alu instid0(SALU_CYCLE_1)
	s_and_not1_b32 exec_lo, exec_lo, s51
	s_cbranch_execz .LBB190_75
.LBB190_73:                             ;   Parent Loop BB190_4 Depth=1
                                        ; =>  This Loop Header: Depth=2
                                        ;       Child Loop BB190_74 Depth 3
	s_delay_alu instid0(VALU_DEP_1) | instskip(SKIP_3) | instid1(VALU_DEP_2)
	v_ashrrev_i32_e32 v12, 31, v11
	v_dual_mov_b32 v15, v10 :: v_dual_mov_b32 v14, v9
	s_mov_b32 s80, s60
	s_mov_b64 s[2:3], s[20:21]
	v_lshlrev_b64 v[0:1], 4, v[11:12]
	s_mov_b64 s[48:49], s[42:43]
	s_delay_alu instid0(VALU_DEP_1) | instskip(NEXT) | instid1(VALU_DEP_2)
	v_add_co_u32 v12, vcc_lo, s77, v0
	v_add_co_ci_u32_e32 v13, vcc_lo, s78, v1, vcc_lo
	s_and_not1_b32 vcc_lo, exec_lo, s62
	global_load_b128 v[0:3], v[12:13], off
	s_cbranch_vccnz .LBB190_72
	.p2align	6
.LBB190_74:                             ;   Parent Loop BB190_4 Depth=1
                                        ;     Parent Loop BB190_73 Depth=2
                                        ; =>    This Inner Loop Header: Depth=3
	s_clause 0x1
	global_load_b64 v[43:44], v38, s[48:49]
	global_load_b64 v[45:46], v38, s[2:3]
	global_load_b128 v[39:42], v[14:15], off offset:-8
	s_add_u32 s48, s48, 8
	s_addc_u32 s49, s49, 0
	s_add_u32 s2, s2, 8
	s_addc_u32 s3, s3, 0
	s_add_i32 s80, s80, -1
	s_delay_alu instid0(SALU_CYCLE_1)
	s_cmp_eq_u32 s80, 0
	s_waitcnt vmcnt(2)
	v_mul_f64 v[47:48], v[0:1], v[43:44]
	v_mul_f64 v[49:50], v[2:3], v[43:44]
	s_waitcnt vmcnt(0)
	v_mul_f64 v[51:52], v[43:44], v[39:40]
	v_mul_f64 v[43:44], v[43:44], v[41:42]
	s_delay_alu instid0(VALU_DEP_4) | instskip(NEXT) | instid1(VALU_DEP_4)
	v_fma_f64 v[39:40], v[45:46], v[39:40], -v[47:48]
	v_fma_f64 v[41:42], v[45:46], v[41:42], -v[49:50]
	s_delay_alu instid0(VALU_DEP_4) | instskip(NEXT) | instid1(VALU_DEP_4)
	v_fma_f64 v[0:1], v[0:1], v[45:46], v[51:52]
	v_fma_f64 v[2:3], v[2:3], v[45:46], v[43:44]
	global_store_b128 v[14:15], v[39:42], off offset:-8
	v_add_co_u32 v14, vcc_lo, v14, s40
	v_add_co_ci_u32_e32 v15, vcc_lo, s41, v15, vcc_lo
	s_cbranch_scc0 .LBB190_74
	s_branch .LBB190_72
.LBB190_75:                             ;   in Loop: Header=BB190_4 Depth=1
	s_or_b32 exec_lo, exec_lo, s50
	s_mov_b32 s2, 0
.LBB190_76:                             ;   in Loop: Header=BB190_4 Depth=1
	s_delay_alu instid0(SALU_CYCLE_1)
	s_and_not1_b32 vcc_lo, exec_lo, s2
	s_cbranch_vccnz .LBB190_3
; %bb.77:                               ;   in Loop: Header=BB190_4 Depth=1
	s_and_not1_b32 vcc_lo, exec_lo, s64
	s_mov_b32 s2, -1
	s_cbranch_vccnz .LBB190_84
; %bb.78:                               ;   in Loop: Header=BB190_4 Depth=1
	s_and_saveexec_b32 s50, s1
	s_cbranch_execz .LBB190_83
; %bb.79:                               ;   in Loop: Header=BB190_4 Depth=1
	v_mov_b32_e32 v9, v4
	s_mov_b32 s51, 0
	s_branch .LBB190_81
.LBB190_80:                             ;   in Loop: Header=BB190_81 Depth=2
	v_add_nc_u32_e32 v9, s26, v9
	v_add_co_u32 v7, s2, v7, s38
	s_delay_alu instid0(VALU_DEP_1) | instskip(NEXT) | instid1(VALU_DEP_3)
	v_add_co_ci_u32_e64 v8, s2, s39, v8, s2
	v_cmp_le_i32_e32 vcc_lo, s19, v9
	s_waitcnt vmcnt(0)
	global_store_b128 v[10:11], v[0:3], off
	s_or_b32 s51, vcc_lo, s51
	s_delay_alu instid0(SALU_CYCLE_1)
	s_and_not1_b32 exec_lo, exec_lo, s51
	s_cbranch_execz .LBB190_83
.LBB190_81:                             ;   Parent Loop BB190_4 Depth=1
                                        ; =>  This Loop Header: Depth=2
                                        ;       Child Loop BB190_82 Depth 3
	s_delay_alu instid0(VALU_DEP_1) | instskip(SKIP_3) | instid1(VALU_DEP_2)
	v_ashrrev_i32_e32 v10, 31, v9
	v_dual_mov_b32 v13, v8 :: v_dual_mov_b32 v12, v7
	s_mov_b64 s[2:3], s[46:47]
	s_mov_b64 s[48:49], s[44:45]
	v_lshlrev_b64 v[0:1], 4, v[9:10]
	s_mov_b32 s80, s73
	s_delay_alu instid0(VALU_DEP_1) | instskip(NEXT) | instid1(VALU_DEP_2)
	v_add_co_u32 v10, vcc_lo, s77, v0
	v_add_co_ci_u32_e32 v11, vcc_lo, s78, v1, vcc_lo
	s_and_not1_b32 vcc_lo, exec_lo, s62
	global_load_b128 v[0:3], v[10:11], off
	s_cbranch_vccnz .LBB190_80
	.p2align	6
.LBB190_82:                             ;   Parent Loop BB190_4 Depth=1
                                        ;     Parent Loop BB190_81 Depth=2
                                        ; =>    This Inner Loop Header: Depth=3
	s_clause 0x1
	global_load_b64 v[14:15], v38, s[2:3]
	global_load_b64 v[43:44], v38, s[48:49]
	global_load_b128 v[39:42], v[12:13], off offset:-8
	s_add_i32 s80, s80, -1
	s_add_u32 s48, s48, -8
	s_addc_u32 s49, s49, -1
	s_add_u32 s2, s2, -8
	s_addc_u32 s3, s3, -1
	s_cmp_lt_u32 s80, 3
	s_waitcnt vmcnt(2)
	v_mul_f64 v[45:46], v[0:1], v[14:15]
	v_mul_f64 v[47:48], v[2:3], v[14:15]
	s_waitcnt vmcnt(0)
	v_mul_f64 v[49:50], v[14:15], v[39:40]
	v_mul_f64 v[14:15], v[14:15], v[41:42]
	s_delay_alu instid0(VALU_DEP_4) | instskip(NEXT) | instid1(VALU_DEP_4)
	v_fma_f64 v[39:40], v[43:44], v[39:40], -v[45:46]
	v_fma_f64 v[41:42], v[43:44], v[41:42], -v[47:48]
	s_delay_alu instid0(VALU_DEP_4) | instskip(NEXT) | instid1(VALU_DEP_4)
	v_fma_f64 v[0:1], v[0:1], v[43:44], v[49:50]
	v_fma_f64 v[2:3], v[2:3], v[43:44], v[14:15]
	global_store_b128 v[12:13], v[39:42], off offset:-8
	v_add_co_u32 v12, vcc_lo, v12, s74
	v_add_co_ci_u32_e32 v13, vcc_lo, s75, v13, vcc_lo
	s_cbranch_scc0 .LBB190_82
	s_branch .LBB190_80
.LBB190_83:                             ;   in Loop: Header=BB190_4 Depth=1
	s_or_b32 exec_lo, exec_lo, s50
	s_mov_b32 s2, 0
.LBB190_84:                             ;   in Loop: Header=BB190_4 Depth=1
	s_delay_alu instid0(SALU_CYCLE_1)
	s_and_not1_b32 vcc_lo, exec_lo, s2
	s_cbranch_vccnz .LBB190_3
; %bb.85:                               ;   in Loop: Header=BB190_4 Depth=1
	s_and_not1_b32 vcc_lo, exec_lo, s65
	s_mov_b32 s2, -1
	s_cbranch_vccnz .LBB190_92
; %bb.86:                               ;   in Loop: Header=BB190_4 Depth=1
	s_and_saveexec_b32 s50, s1
	s_cbranch_execz .LBB190_91
; %bb.87:                               ;   in Loop: Header=BB190_4 Depth=1
	s_lshl_b64 s[2:3], s[28:29], 4
	v_mov_b32_e32 v7, v4
	s_add_u32 s51, s77, s2
	s_addc_u32 s80, s78, s3
	s_mov_b32 s81, 0
	s_branch .LBB190_89
.LBB190_88:                             ;   in Loop: Header=BB190_89 Depth=2
	v_add_nc_u32_e32 v7, s26, v7
	v_add_co_u32 v5, s2, v5, s38
	s_delay_alu instid0(VALU_DEP_1) | instskip(NEXT) | instid1(VALU_DEP_3)
	v_add_co_ci_u32_e64 v6, s2, s39, v6, s2
	v_cmp_le_i32_e32 vcc_lo, s19, v7
	s_waitcnt vmcnt(0)
	global_store_b128 v[8:9], v[0:3], off
	s_or_b32 s81, vcc_lo, s81
	s_delay_alu instid0(SALU_CYCLE_1)
	s_and_not1_b32 exec_lo, exec_lo, s81
	s_cbranch_execz .LBB190_91
.LBB190_89:                             ;   Parent Loop BB190_4 Depth=1
                                        ; =>  This Loop Header: Depth=2
                                        ;       Child Loop BB190_90 Depth 3
	v_ashrrev_i32_e32 v8, 31, v7
	v_dual_mov_b32 v11, v6 :: v_dual_mov_b32 v10, v5
	s_mov_b64 s[2:3], s[42:43]
	s_mov_b64 s[48:49], s[20:21]
	s_delay_alu instid0(VALU_DEP_2) | instskip(SKIP_1) | instid1(VALU_DEP_1)
	v_lshlrev_b64 v[0:1], 4, v[7:8]
	s_mov_b32 s82, s60
	v_add_co_u32 v8, vcc_lo, s51, v0
	s_delay_alu instid0(VALU_DEP_2)
	v_add_co_ci_u32_e32 v9, vcc_lo, s80, v1, vcc_lo
	s_and_not1_b32 vcc_lo, exec_lo, s62
	global_load_b128 v[0:3], v[8:9], off
	s_cbranch_vccnz .LBB190_88
	.p2align	6
.LBB190_90:                             ;   Parent Loop BB190_4 Depth=1
                                        ;     Parent Loop BB190_89 Depth=2
                                        ; =>    This Inner Loop Header: Depth=3
	global_load_b128 v[12:15], v[10:11], off offset:-8
	s_clause 0x1
	global_load_b64 v[39:40], v38, s[48:49]
	global_load_b64 v[41:42], v38, s[2:3]
	s_add_i32 s82, s82, -1
	s_add_u32 s48, s48, 8
	s_addc_u32 s49, s49, 0
	s_add_u32 s2, s2, 8
	s_addc_u32 s3, s3, 0
	s_cmp_eq_u32 s82, 0
	s_waitcnt vmcnt(1)
	v_mul_f64 v[43:44], v[39:40], v[12:13]
	v_mul_f64 v[45:46], v[39:40], v[14:15]
	s_waitcnt vmcnt(0)
	v_mul_f64 v[47:48], v[41:42], v[12:13]
	v_mul_f64 v[49:50], v[41:42], v[14:15]
	s_delay_alu instid0(VALU_DEP_4) | instskip(NEXT) | instid1(VALU_DEP_4)
	v_fma_f64 v[12:13], v[0:1], v[41:42], v[43:44]
	v_fma_f64 v[14:15], v[2:3], v[41:42], v[45:46]
	s_delay_alu instid0(VALU_DEP_4) | instskip(NEXT) | instid1(VALU_DEP_4)
	v_fma_f64 v[0:1], v[0:1], v[39:40], -v[47:48]
	v_fma_f64 v[2:3], v[2:3], v[39:40], -v[49:50]
	global_store_b128 v[10:11], v[12:15], off offset:-8
	v_add_co_u32 v10, vcc_lo, v10, s40
	v_add_co_ci_u32_e32 v11, vcc_lo, s41, v11, vcc_lo
	s_cbranch_scc0 .LBB190_90
	s_branch .LBB190_88
.LBB190_91:                             ;   in Loop: Header=BB190_4 Depth=1
	s_or_b32 exec_lo, exec_lo, s50
	s_mov_b32 s2, 0
.LBB190_92:                             ;   in Loop: Header=BB190_4 Depth=1
	s_delay_alu instid0(SALU_CYCLE_1)
	s_and_not1_b32 vcc_lo, exec_lo, s2
	s_cbranch_vccnz .LBB190_3
; %bb.93:                               ;   in Loop: Header=BB190_4 Depth=1
	s_and_saveexec_b32 s42, s66
	s_cbranch_execz .LBB190_2
; %bb.94:                               ;   in Loop: Header=BB190_4 Depth=1
	v_add_co_u32 v5, vcc_lo, v36, s79
	v_add_co_ci_u32_e32 v6, vcc_lo, s76, v37, vcc_lo
	s_lshl_b64 s[2:3], s[28:29], 4
	v_mov_b32_e32 v7, v4
	s_add_u32 s43, s77, s2
	s_addc_u32 s48, s78, s3
	s_mov_b32 s49, 0
	s_branch .LBB190_96
.LBB190_95:                             ;   in Loop: Header=BB190_96 Depth=2
	v_add_nc_u32_e32 v7, s26, v7
	v_add_co_u32 v5, s2, v5, s38
	s_delay_alu instid0(VALU_DEP_1) | instskip(NEXT) | instid1(VALU_DEP_3)
	v_add_co_ci_u32_e64 v6, s2, s39, v6, s2
	v_cmp_le_i32_e32 vcc_lo, s19, v7
	s_waitcnt vmcnt(0)
	global_store_b128 v[8:9], v[0:3], off
	s_or_b32 s49, vcc_lo, s49
	s_delay_alu instid0(SALU_CYCLE_1)
	s_and_not1_b32 exec_lo, exec_lo, s49
	s_cbranch_execz .LBB190_2
.LBB190_96:                             ;   Parent Loop BB190_4 Depth=1
                                        ; =>  This Loop Header: Depth=2
                                        ;       Child Loop BB190_97 Depth 3
	v_ashrrev_i32_e32 v8, 31, v7
	v_dual_mov_b32 v11, v6 :: v_dual_mov_b32 v10, v5
	s_mov_b64 s[2:3], s[46:47]
	s_mov_b64 s[20:21], s[44:45]
	s_delay_alu instid0(VALU_DEP_2) | instskip(SKIP_1) | instid1(VALU_DEP_1)
	v_lshlrev_b64 v[0:1], 4, v[7:8]
	s_mov_b32 s50, s60
	v_add_co_u32 v8, vcc_lo, s43, v0
	s_delay_alu instid0(VALU_DEP_2)
	v_add_co_ci_u32_e32 v9, vcc_lo, s48, v1, vcc_lo
	s_and_not1_b32 vcc_lo, exec_lo, s62
	global_load_b128 v[0:3], v[8:9], off
	s_cbranch_vccnz .LBB190_95
	.p2align	6
.LBB190_97:                             ;   Parent Loop BB190_4 Depth=1
                                        ;     Parent Loop BB190_96 Depth=2
                                        ; =>    This Inner Loop Header: Depth=3
	global_load_b128 v[12:15], v[10:11], off offset:-8
	s_clause 0x1
	global_load_b64 v[39:40], v38, s[20:21]
	global_load_b64 v[41:42], v38, s[2:3]
	s_add_i32 s50, s50, -1
	s_add_u32 s20, s20, -8
	s_addc_u32 s21, s21, -1
	s_add_u32 s2, s2, -8
	s_addc_u32 s3, s3, -1
	s_cmp_eq_u32 s50, 0
	s_waitcnt vmcnt(1)
	v_mul_f64 v[43:44], v[39:40], v[12:13]
	v_mul_f64 v[45:46], v[39:40], v[14:15]
	s_waitcnt vmcnt(0)
	v_mul_f64 v[47:48], v[41:42], v[12:13]
	v_mul_f64 v[49:50], v[41:42], v[14:15]
	s_delay_alu instid0(VALU_DEP_4) | instskip(NEXT) | instid1(VALU_DEP_4)
	v_fma_f64 v[12:13], v[0:1], v[41:42], v[43:44]
	v_fma_f64 v[14:15], v[2:3], v[41:42], v[45:46]
	s_delay_alu instid0(VALU_DEP_4) | instskip(NEXT) | instid1(VALU_DEP_4)
	v_fma_f64 v[0:1], v[0:1], v[39:40], -v[47:48]
	v_fma_f64 v[2:3], v[2:3], v[39:40], -v[49:50]
	global_store_b128 v[10:11], v[12:15], off offset:-8
	v_add_co_u32 v10, vcc_lo, v10, s74
	v_add_co_ci_u32_e32 v11, vcc_lo, s75, v11, vcc_lo
	s_cbranch_scc0 .LBB190_97
	s_branch .LBB190_95
.LBB190_98:
	s_nop 0
	s_sendmsg sendmsg(MSG_DEALLOC_VGPRS)
	s_endpgm
	.section	.rodata,"a",@progbits
	.p2align	6, 0x0
	.amdhsa_kernel _ZN9rocsolver6v33100L11lasr_kernelI19rocblas_complex_numIdEdPS3_iEEv13rocblas_side_14rocblas_pivot_15rocblas_direct_T2_S8_PT0_lSA_lT1_lS8_lS8_
		.amdhsa_group_segment_fixed_size 0
		.amdhsa_private_segment_fixed_size 0
		.amdhsa_kernarg_size 352
		.amdhsa_user_sgpr_count 14
		.amdhsa_user_sgpr_dispatch_ptr 0
		.amdhsa_user_sgpr_queue_ptr 0
		.amdhsa_user_sgpr_kernarg_segment_ptr 1
		.amdhsa_user_sgpr_dispatch_id 0
		.amdhsa_user_sgpr_private_segment_size 0
		.amdhsa_wavefront_size32 1
		.amdhsa_uses_dynamic_stack 0
		.amdhsa_enable_private_segment 0
		.amdhsa_system_sgpr_workgroup_id_x 1
		.amdhsa_system_sgpr_workgroup_id_y 0
		.amdhsa_system_sgpr_workgroup_id_z 1
		.amdhsa_system_sgpr_workgroup_info 0
		.amdhsa_system_vgpr_workitem_id 0
		.amdhsa_next_free_vgpr 55
		.amdhsa_next_free_sgpr 87
		.amdhsa_reserve_vcc 1
		.amdhsa_float_round_mode_32 0
		.amdhsa_float_round_mode_16_64 0
		.amdhsa_float_denorm_mode_32 3
		.amdhsa_float_denorm_mode_16_64 3
		.amdhsa_dx10_clamp 1
		.amdhsa_ieee_mode 1
		.amdhsa_fp16_overflow 0
		.amdhsa_workgroup_processor_mode 1
		.amdhsa_memory_ordered 1
		.amdhsa_forward_progress 0
		.amdhsa_shared_vgpr_count 0
		.amdhsa_exception_fp_ieee_invalid_op 0
		.amdhsa_exception_fp_denorm_src 0
		.amdhsa_exception_fp_ieee_div_zero 0
		.amdhsa_exception_fp_ieee_overflow 0
		.amdhsa_exception_fp_ieee_underflow 0
		.amdhsa_exception_fp_ieee_inexact 0
		.amdhsa_exception_int_div_zero 0
	.end_amdhsa_kernel
	.section	.text._ZN9rocsolver6v33100L11lasr_kernelI19rocblas_complex_numIdEdPS3_iEEv13rocblas_side_14rocblas_pivot_15rocblas_direct_T2_S8_PT0_lSA_lT1_lS8_lS8_,"axG",@progbits,_ZN9rocsolver6v33100L11lasr_kernelI19rocblas_complex_numIdEdPS3_iEEv13rocblas_side_14rocblas_pivot_15rocblas_direct_T2_S8_PT0_lSA_lT1_lS8_lS8_,comdat
.Lfunc_end190:
	.size	_ZN9rocsolver6v33100L11lasr_kernelI19rocblas_complex_numIdEdPS3_iEEv13rocblas_side_14rocblas_pivot_15rocblas_direct_T2_S8_PT0_lSA_lT1_lS8_lS8_, .Lfunc_end190-_ZN9rocsolver6v33100L11lasr_kernelI19rocblas_complex_numIdEdPS3_iEEv13rocblas_side_14rocblas_pivot_15rocblas_direct_T2_S8_PT0_lSA_lT1_lS8_lS8_
                                        ; -- End function
	.section	.AMDGPU.csdata,"",@progbits
; Kernel info:
; codeLenInByte = 5308
; NumSgprs: 89
; NumVgprs: 55
; ScratchSize: 0
; MemoryBound: 0
; FloatMode: 240
; IeeeMode: 1
; LDSByteSize: 0 bytes/workgroup (compile time only)
; SGPRBlocks: 11
; VGPRBlocks: 6
; NumSGPRsForWavesPerEU: 89
; NumVGPRsForWavesPerEU: 55
; Occupancy: 16
; WaveLimiterHint : 0
; COMPUTE_PGM_RSRC2:SCRATCH_EN: 0
; COMPUTE_PGM_RSRC2:USER_SGPR: 14
; COMPUTE_PGM_RSRC2:TRAP_HANDLER: 0
; COMPUTE_PGM_RSRC2:TGID_X_EN: 1
; COMPUTE_PGM_RSRC2:TGID_Y_EN: 0
; COMPUTE_PGM_RSRC2:TGID_Z_EN: 1
; COMPUTE_PGM_RSRC2:TIDIG_COMP_CNT: 0
	.section	.text._ZN9rocsolver6v33100L11swap_kernelI19rocblas_complex_numIdEiEEvT0_PT_S4_S6_S4_,"axG",@progbits,_ZN9rocsolver6v33100L11swap_kernelI19rocblas_complex_numIdEiEEvT0_PT_S4_S6_S4_,comdat
	.globl	_ZN9rocsolver6v33100L11swap_kernelI19rocblas_complex_numIdEiEEvT0_PT_S4_S6_S4_ ; -- Begin function _ZN9rocsolver6v33100L11swap_kernelI19rocblas_complex_numIdEiEEvT0_PT_S4_S6_S4_
	.p2align	8
	.type	_ZN9rocsolver6v33100L11swap_kernelI19rocblas_complex_numIdEiEEvT0_PT_S4_S6_S4_,@function
_ZN9rocsolver6v33100L11swap_kernelI19rocblas_complex_numIdEiEEvT0_PT_S4_S6_S4_: ; @_ZN9rocsolver6v33100L11swap_kernelI19rocblas_complex_numIdEiEEvT0_PT_S4_S6_S4_
; %bb.0:
	s_load_b32 s12, s[2:3], 0x0
	s_waitcnt lgkmcnt(0)
	s_cmp_lt_i32 s12, 1
	s_cbranch_scc1 .LBB191_10
; %bb.1:
	s_load_b64 s[6:7], s[0:1], 0x4
	s_clause 0x5
	s_load_b32 s0, s[2:3], 0x34
	s_load_b32 s1, s[2:3], 0x10
	;; [unrolled: 1-line block ×4, first 2 shown]
	s_load_b64 s[4:5], s[2:3], 0x8
	s_load_b64 s[2:3], s[2:3], 0x18
	v_and_b32_e32 v2, 0x3ff, v0
	v_bfe_u32 v3, v0, 10, 10
	v_bfe_u32 v4, v0, 20, 10
	s_waitcnt lgkmcnt(0)
	s_lshr_b32 s6, s6, 16
	s_and_b32 s0, s0, 0xffff
	s_mul_i32 s6, s6, s7
	v_mad_u64_u32 v[0:1], null, s15, s0, v[2:3]
	v_mul_lo_u32 v1, s6, v2
	s_cmp_eq_u32 s1, 1
	v_mul_u32_u24_e32 v2, s7, v3
	s_cselect_b32 s10, -1, 0
	s_cmp_eq_u32 s8, 1
	s_mul_i32 s6, s9, s0
	s_cselect_b32 s7, -1, 0
	v_cmp_gt_i32_e64 s0, s12, v0
	v_add3_u32 v5, v1, v2, v4
	s_and_b32 s7, s10, s7
	s_delay_alu instid0(SALU_CYCLE_1)
	s_and_b32 vcc_lo, exec_lo, s7
	s_mov_b32 s7, -1
	s_cbranch_vccnz .LBB191_6
; %bb.2:
	s_and_saveexec_b32 s7, s0
	s_cbranch_execz .LBB191_5
; %bb.3:
	v_mad_i64_i32 v[1:2], null, s8, v0, 0
	v_mad_i64_i32 v[3:4], null, s1, v0, 0
	v_dual_mov_b32 v7, v0 :: v_dual_lshlrev_b32 v6, 4, v5
	s_mul_hi_i32 s9, s8, s6
	s_mul_i32 s8, s8, s6
	s_delay_alu instid0(VALU_DEP_3) | instskip(SKIP_1) | instid1(VALU_DEP_3)
	v_lshlrev_b64 v[1:2], 4, v[1:2]
	s_mul_hi_i32 s11, s1, s6
	v_lshlrev_b64 v[3:4], 4, v[3:4]
	s_mul_i32 s10, s1, s6
	s_lshl_b64 s[8:9], s[8:9], 4
	s_lshl_b64 s[10:11], s[10:11], 4
	v_add_co_u32 v1, vcc_lo, s2, v1
	v_add_co_ci_u32_e32 v2, vcc_lo, s3, v2, vcc_lo
	v_add_co_u32 v3, vcc_lo, s4, v3
	v_add_co_ci_u32_e32 v4, vcc_lo, s5, v4, vcc_lo
	s_mov_b32 s13, 0
	.p2align	6
.LBB191_4:                              ; =>This Inner Loop Header: Depth=1
	global_load_b128 v[8:11], v[3:4], off
	global_load_b128 v[12:15], v[1:2], off
	v_add_nc_u32_e32 v7, s6, v7
	s_waitcnt vmcnt(1)
	global_store_b128 v[1:2], v[8:11], off
	s_waitcnt vmcnt(0)
	global_store_b128 v[3:4], v[12:15], off
	v_add_co_u32 v1, s1, v1, s8
	s_delay_alu instid0(VALU_DEP_1) | instskip(SKIP_2) | instid1(VALU_DEP_1)
	v_add_co_ci_u32_e64 v2, s1, s9, v2, s1
	v_cmp_le_i32_e32 vcc_lo, s12, v7
	v_add_co_u32 v3, s1, v3, s10
	v_add_co_ci_u32_e64 v4, s1, s11, v4, s1
	s_or_b32 s13, vcc_lo, s13
	ds_store_2addr_b64 v6, v[12:13], v[14:15] offset1:1
	s_and_not1_b32 exec_lo, exec_lo, s13
	s_cbranch_execnz .LBB191_4
.LBB191_5:
	s_or_b32 exec_lo, exec_lo, s7
	s_mov_b32 s7, 0
.LBB191_6:
	s_delay_alu instid0(SALU_CYCLE_1)
	s_and_not1_b32 vcc_lo, exec_lo, s7
	s_cbranch_vccnz .LBB191_10
; %bb.7:
	s_and_saveexec_b32 s1, s0
	s_cbranch_execz .LBB191_10
; %bb.8:
	v_ashrrev_i32_e32 v1, 31, v0
	v_lshl_add_u32 v3, v5, 4, 0x4000
	s_ashr_i32 s7, s6, 31
	s_mov_b32 s1, 0
	s_lshl_b64 s[8:9], s[6:7], 4
	v_lshlrev_b64 v[1:2], 4, v[0:1]
	.p2align	6
.LBB191_9:                              ; =>This Inner Loop Header: Depth=1
	s_delay_alu instid0(VALU_DEP_1) | instskip(NEXT) | instid1(VALU_DEP_2)
	v_add_co_u32 v12, vcc_lo, s2, v1
	v_add_co_ci_u32_e32 v13, vcc_lo, s3, v2, vcc_lo
	v_add_co_u32 v14, vcc_lo, s4, v1
	v_add_co_ci_u32_e32 v15, vcc_lo, s5, v2, vcc_lo
	v_add_nc_u32_e32 v0, s6, v0
	global_load_b128 v[4:7], v[12:13], off
	global_load_b128 v[8:11], v[14:15], off
	v_add_co_u32 v1, s0, v1, s8
	v_cmp_le_i32_e32 vcc_lo, s12, v0
	v_add_co_ci_u32_e64 v2, s0, s9, v2, s0
	s_or_b32 s1, vcc_lo, s1
	s_waitcnt vmcnt(1)
	ds_store_2addr_b64 v3, v[4:5], v[6:7] offset1:1
	s_waitcnt vmcnt(0)
	global_store_b128 v[12:13], v[8:11], off
	global_store_b128 v[14:15], v[4:7], off
	s_and_not1_b32 exec_lo, exec_lo, s1
	s_cbranch_execnz .LBB191_9
.LBB191_10:
	s_nop 0
	s_sendmsg sendmsg(MSG_DEALLOC_VGPRS)
	s_endpgm
	.section	.rodata,"a",@progbits
	.p2align	6, 0x0
	.amdhsa_kernel _ZN9rocsolver6v33100L11swap_kernelI19rocblas_complex_numIdEiEEvT0_PT_S4_S6_S4_
		.amdhsa_group_segment_fixed_size 32768
		.amdhsa_private_segment_fixed_size 0
		.amdhsa_kernarg_size 296
		.amdhsa_user_sgpr_count 15
		.amdhsa_user_sgpr_dispatch_ptr 1
		.amdhsa_user_sgpr_queue_ptr 0
		.amdhsa_user_sgpr_kernarg_segment_ptr 1
		.amdhsa_user_sgpr_dispatch_id 0
		.amdhsa_user_sgpr_private_segment_size 0
		.amdhsa_wavefront_size32 1
		.amdhsa_uses_dynamic_stack 0
		.amdhsa_enable_private_segment 0
		.amdhsa_system_sgpr_workgroup_id_x 1
		.amdhsa_system_sgpr_workgroup_id_y 0
		.amdhsa_system_sgpr_workgroup_id_z 0
		.amdhsa_system_sgpr_workgroup_info 0
		.amdhsa_system_vgpr_workitem_id 2
		.amdhsa_next_free_vgpr 16
		.amdhsa_next_free_sgpr 16
		.amdhsa_reserve_vcc 1
		.amdhsa_float_round_mode_32 0
		.amdhsa_float_round_mode_16_64 0
		.amdhsa_float_denorm_mode_32 3
		.amdhsa_float_denorm_mode_16_64 3
		.amdhsa_dx10_clamp 1
		.amdhsa_ieee_mode 1
		.amdhsa_fp16_overflow 0
		.amdhsa_workgroup_processor_mode 1
		.amdhsa_memory_ordered 1
		.amdhsa_forward_progress 0
		.amdhsa_shared_vgpr_count 0
		.amdhsa_exception_fp_ieee_invalid_op 0
		.amdhsa_exception_fp_denorm_src 0
		.amdhsa_exception_fp_ieee_div_zero 0
		.amdhsa_exception_fp_ieee_overflow 0
		.amdhsa_exception_fp_ieee_underflow 0
		.amdhsa_exception_fp_ieee_inexact 0
		.amdhsa_exception_int_div_zero 0
	.end_amdhsa_kernel
	.section	.text._ZN9rocsolver6v33100L11swap_kernelI19rocblas_complex_numIdEiEEvT0_PT_S4_S6_S4_,"axG",@progbits,_ZN9rocsolver6v33100L11swap_kernelI19rocblas_complex_numIdEiEEvT0_PT_S4_S6_S4_,comdat
.Lfunc_end191:
	.size	_ZN9rocsolver6v33100L11swap_kernelI19rocblas_complex_numIdEiEEvT0_PT_S4_S6_S4_, .Lfunc_end191-_ZN9rocsolver6v33100L11swap_kernelI19rocblas_complex_numIdEiEEvT0_PT_S4_S6_S4_
                                        ; -- End function
	.section	.AMDGPU.csdata,"",@progbits
; Kernel info:
; codeLenInByte = 596
; NumSgprs: 18
; NumVgprs: 16
; ScratchSize: 0
; MemoryBound: 0
; FloatMode: 240
; IeeeMode: 1
; LDSByteSize: 32768 bytes/workgroup (compile time only)
; SGPRBlocks: 2
; VGPRBlocks: 1
; NumSGPRsForWavesPerEU: 18
; NumVGPRsForWavesPerEU: 16
; Occupancy: 16
; WaveLimiterHint : 0
; COMPUTE_PGM_RSRC2:SCRATCH_EN: 0
; COMPUTE_PGM_RSRC2:USER_SGPR: 15
; COMPUTE_PGM_RSRC2:TRAP_HANDLER: 0
; COMPUTE_PGM_RSRC2:TGID_X_EN: 1
; COMPUTE_PGM_RSRC2:TGID_Y_EN: 0
; COMPUTE_PGM_RSRC2:TGID_Z_EN: 0
; COMPUTE_PGM_RSRC2:TIDIG_COMP_CNT: 2
	.section	.text._ZN9rocsolver6v33100L12steqr_kernelI19rocblas_complex_numIdEdPS3_EEviPT0_lS6_lT1_iilPiS6_iS5_S5_S5_,"axG",@progbits,_ZN9rocsolver6v33100L12steqr_kernelI19rocblas_complex_numIdEdPS3_EEviPT0_lS6_lT1_iilPiS6_iS5_S5_S5_,comdat
	.globl	_ZN9rocsolver6v33100L12steqr_kernelI19rocblas_complex_numIdEdPS3_EEviPT0_lS6_lT1_iilPiS6_iS5_S5_S5_ ; -- Begin function _ZN9rocsolver6v33100L12steqr_kernelI19rocblas_complex_numIdEdPS3_EEviPT0_lS6_lT1_iilPiS6_iS5_S5_S5_
	.p2align	8
	.type	_ZN9rocsolver6v33100L12steqr_kernelI19rocblas_complex_numIdEdPS3_EEviPT0_lS6_lT1_iilPiS6_iS5_S5_S5_,@function
_ZN9rocsolver6v33100L12steqr_kernelI19rocblas_complex_numIdEdPS3_EEviPT0_lS6_lT1_iilPiS6_iS5_S5_S5_: ; @_ZN9rocsolver6v33100L12steqr_kernelI19rocblas_complex_numIdEdPS3_EEviPT0_lS6_lT1_iilPiS6_iS5_S5_S5_
; %bb.0:
	s_clause 0x1
	s_load_b32 s4, s[2:3], 0x7c
	s_load_b32 s5, s[2:3], 0x70
	v_and_b32_e32 v5, 0x3ff, v0
	s_mov_b32 s28, s15
	s_waitcnt lgkmcnt(0)
	s_and_b32 s7, s4, 0xffff
	s_delay_alu instid0(VALU_DEP_1) | instid1(SALU_CYCLE_1)
	v_mad_u64_u32 v[6:7], null, s14, s7, v[5:6]
	s_delay_alu instid0(VALU_DEP_1) | instskip(NEXT) | instid1(VALU_DEP_1)
	v_cmp_eq_u32_e64 s4, 0, v6
	s_and_saveexec_b32 s6, s4
	s_cbranch_execz .LBB192_2
; %bb.1:
	v_mov_b32_e32 v1, 0
	ds_store_2addr_b32 v1, v1, v1 offset0:6 offset1:9
.LBB192_2:
	s_or_b32 exec_lo, exec_lo, s6
	s_load_b256 s[16:23], s[2:3], 0x8
	v_mov_b32_e32 v8, 0
	s_load_b32 s6, s[2:3], 0x0
	s_waitcnt lgkmcnt(0)
	s_barrier
	buffer_gl0_inv
	ds_load_2addr_b32 v[1:2], v8 offset0:6 offset1:9
	s_clause 0x2
	s_load_b32 s33, s[2:3], 0x50
	s_load_b256 s[8:15], s[2:3], 0x28
	s_load_b64 s[52:53], s[2:3], 0x48
	s_mul_i32 s34, s5, s7
	s_ashr_i32 s29, s28, 31
	s_mul_i32 s5, s28, s19
	s_mul_hi_u32 s7, s28, s18
	s_mul_i32 s19, s29, s18
	s_add_i32 s5, s7, s5
	s_mul_i32 s18, s28, s18
	s_add_i32 s19, s5, s19
	s_mul_i32 s24, s28, s23
	s_mul_hi_u32 s25, s28, s22
	s_mul_i32 s26, s29, s22
	s_mul_i32 s38, s28, s22
	s_lshl_b64 s[22:23], s[18:19], 3
	s_waitcnt lgkmcnt(0)
	v_cmp_gt_i32_e32 vcc_lo, s6, v1
	v_cmp_gt_i32_e64 s5, s33, v2
	s_add_u32 s18, s16, s22
	s_mul_i32 s7, s28, s13
	s_addc_u32 s19, s17, s23
	s_add_i32 s13, s25, s24
	v_readfirstlane_b32 s62, v1
	s_add_i32 s39, s13, s26
	s_mul_hi_u32 s13, s28, s12
	s_and_b32 s5, vcc_lo, s5
	s_add_i32 s7, s13, s7
	s_mul_i32 s13, s29, s12
	s_ashr_i32 s31, s10, 31
	s_mov_b32 s30, s10
	s_add_i32 s13, s7, s13
	s_mul_i32 s12, s28, s12
	s_and_not1_b32 vcc_lo, exec_lo, s5
	s_add_i32 s36, s6, -1
	s_cbranch_vccnz .LBB192_232
; %bb.3:
	s_clause 0x1
	s_load_b128 s[24:27], s[2:3], 0x58
	s_load_b64 s[40:41], s[2:3], 0x68
	s_lshl_b64 s[2:3], s[38:39], 3
	s_lshl_b32 s5, s6, 1
	s_add_u32 s10, s20, s2
	s_addc_u32 s74, s21, s3
	s_lshl_b64 s[2:3], s[12:13], 4
	s_lshl_b64 s[44:45], s[30:31], 4
	s_mul_hi_i32 s43, s5, s28
	s_add_u32 s2, s2, s44
	s_mul_i32 s42, s5, s28
	s_addc_u32 s3, s3, s45
	s_add_u32 s75, s8, s2
	s_addc_u32 s76, s9, s3
	s_lshl_b64 s[54:55], s[42:43], 3
	v_ashrrev_i32_e32 v7, 31, v6
	s_add_u32 s77, s52, s54
	s_addc_u32 s78, s53, s55
	s_ashr_i32 s7, s6, 31
	s_ashr_i32 s43, s11, 31
	s_waitcnt lgkmcnt(0)
	v_mul_f64 v[10:11], s[24:25], s[24:25]
	s_add_u32 s44, s10, -8
	s_addc_u32 s45, s74, -1
	s_add_u32 s46, s77, -8
	s_addc_u32 s47, s78, -1
	s_add_u32 s79, s16, s22
	s_addc_u32 s80, s17, s23
	s_add_u32 s81, s79, 8
	v_lshlrev_b64 v[1:2], 4, v[6:7]
	s_addc_u32 s82, s80, 0
	s_ashr_i32 s35, s34, 31
	s_lshl_b64 s[48:49], s[6:7], 3
	s_lshl_b64 s[50:51], s[34:35], 3
	s_add_u32 s3, s54, s48
	s_addc_u32 s5, s55, s49
	s_add_u32 s3, s3, s52
	v_add_co_u32 v1, vcc_lo, s75, v1
	s_addc_u32 s5, s5, s53
	s_add_u32 s52, s3, -16
	v_add_co_ci_u32_e32 v2, vcc_lo, s76, v2, vcc_lo
	s_mov_b32 s42, s11
	s_addc_u32 s53, s5, -1
	s_add_u32 s7, s48, -8
	s_addc_u32 s83, s49, -1
	v_add_co_u32 v7, vcc_lo, v1, 8
	s_lshl_b64 s[54:55], s[42:43], 4
	s_lshl_b64 s[56:57], s[34:35], 4
	v_cmp_gt_i32_e64 s2, s6, v6
	v_add_co_ci_u32_e32 v57, vcc_lo, 0, v2, vcc_lo
	s_sub_u32 s35, 0, s54
	s_subb_u32 s84, 0, s55
	s_mov_b32 s58, 0x667f3bcd
	s_add_u32 s85, s79, -8
	s_mov_b32 s59, 0x3ff6a09e
	s_addc_u32 s86, s80, -1
	s_mov_b32 s61, 0
                                        ; implicit-def: $vgpr16_vgpr17
                                        ; implicit-def: $vgpr18_vgpr19
                                        ; implicit-def: $vgpr20_vgpr21
                                        ; implicit-def: $vgpr12_vgpr13
                                        ; implicit-def: $vgpr58
                                        ; implicit-def: $vgpr14_vgpr15
                                        ; implicit-def: $vgpr59
                                        ; implicit-def: $vgpr22_vgpr23
                                        ; implicit-def: $vgpr24_vgpr25
	s_branch .LBB192_7
.LBB192_4:                              ;   in Loop: Header=BB192_7 Depth=1
	s_or_b32 exec_lo, exec_lo, s5
.LBB192_5:                              ;   in Loop: Header=BB192_7 Depth=1
	s_waitcnt_vscnt null, 0x0
	s_barrier
	buffer_gl0_inv
.LBB192_6:                              ;   in Loop: Header=BB192_7 Depth=1
	ds_load_2addr_b32 v[1:2], v8 offset0:6 offset1:9
	v_dual_mov_b32 v59, v27 :: v_dual_mov_b32 v22, v30
	v_dual_mov_b32 v23, v31 :: v_dual_mov_b32 v24, v32
	v_mov_b32_e32 v25, v33
	s_waitcnt lgkmcnt(0)
	v_cmp_gt_i32_e32 vcc_lo, s6, v1
	v_cmp_gt_i32_e64 s3, s33, v2
	v_readfirstlane_b32 s62, v1
	s_delay_alu instid0(VALU_DEP_2) | instskip(NEXT) | instid1(SALU_CYCLE_1)
	s_and_b32 s3, vcc_lo, s3
	s_and_not1_b32 vcc_lo, exec_lo, s3
	s_cbranch_vccnz .LBB192_232
.LBB192_7:                              ; =>This Loop Header: Depth=1
                                        ;     Child Loop BB192_15 Depth 2
                                        ;     Child Loop BB192_28 Depth 2
                                        ;     Child Loop BB192_38 Depth 2
                                        ;     Child Loop BB192_46 Depth 2
                                        ;     Child Loop BB192_53 Depth 2
                                        ;       Child Loop BB192_61 Depth 3
                                        ;       Child Loop BB192_80 Depth 3
	;; [unrolled: 1-line block ×3, first 2 shown]
                                        ;         Child Loop BB192_131 Depth 4
                                        ;     Child Loop BB192_137 Depth 2
                                        ;       Child Loop BB192_146 Depth 3
                                        ;       Child Loop BB192_165 Depth 3
	;; [unrolled: 1-line block ×3, first 2 shown]
                                        ;         Child Loop BB192_216 Depth 4
                                        ;     Child Loop BB192_224 Depth 2
                                        ;     Child Loop BB192_231 Depth 2
	s_and_saveexec_b32 s5, s4
	s_cbranch_execz .LBB192_31
; %bb.8:                                ;   in Loop: Header=BB192_7 Depth=1
	s_cmp_lt_i32 s62, 1
	s_cbranch_scc1 .LBB192_10
; %bb.9:                                ;   in Loop: Header=BB192_7 Depth=1
	s_mov_b32 s63, s61
	v_mov_b32_e32 v9, v8
	s_lshl_b64 s[64:65], s[62:63], 3
	s_delay_alu instid0(SALU_CYCLE_1)
	s_add_u32 s64, s44, s64
	s_addc_u32 s65, s45, s65
	global_store_b64 v8, v[8:9], s[64:65]
.LBB192_10:                             ;   in Loop: Header=BB192_7 Depth=1
	s_mov_b32 s37, -1
	s_mov_b32 s3, 0
	s_cmp_lt_i32 s62, s36
	s_mov_b32 s60, 0
	s_cbranch_scc1 .LBB192_12
; %bb.11:                               ;   in Loop: Header=BB192_7 Depth=1
	s_ashr_i32 s63, s62, 31
	s_mov_b32 s37, 0
	s_mov_b32 s60, -1
.LBB192_12:                             ;   in Loop: Header=BB192_7 Depth=1
	s_and_not1_b32 vcc_lo, exec_lo, s37
	s_cbranch_vccnz .LBB192_17
; %bb.13:                               ;   in Loop: Header=BB192_7 Depth=1
	s_ashr_i32 s63, s62, 31
	s_delay_alu instid0(SALU_CYCLE_1)
	s_lshl_b64 s[64:65], s[62:63], 3
	s_mov_b64 s[66:67], s[62:63]
	s_add_u32 s70, s10, s64
	s_addc_u32 s71, s74, s65
	s_add_u32 s64, s81, s64
	s_addc_u32 s65, s82, s65
	s_branch .LBB192_15
.LBB192_14:                             ;   in Loop: Header=BB192_15 Depth=2
	s_and_not1_b32 vcc_lo, exec_lo, s37
	s_cbranch_vccz .LBB192_18
.LBB192_15:                             ;   Parent Loop BB192_7 Depth=1
                                        ; =>  This Inner Loop Header: Depth=2
	s_clause 0x1
	global_load_b128 v[1:4], v8, s[64:65] offset:-8
	global_load_b64 v[32:33], v8, s[70:71]
	s_mov_b64 s[68:69], s[70:71]
	s_mov_b64 s[72:73], s[66:67]
                                        ; implicit-def: $sgpr66_sgpr67
                                        ; implicit-def: $sgpr70_sgpr71
	s_waitcnt vmcnt(1)
	v_cmp_gt_f64_e64 s3, 0x10000000, |v[1:2]|
	v_cmp_gt_f64_e64 s37, 0x10000000, |v[3:4]|
	s_delay_alu instid0(VALU_DEP_2) | instskip(NEXT) | instid1(VALU_DEP_2)
	v_cndmask_b32_e64 v9, 0, 1, s3
	v_cndmask_b32_e64 v16, 0, 1, s37
	s_and_b32 s3, s3, exec_lo
	s_cselect_b32 s3, 0xffffff80, 0
	s_and_b32 s37, s37, exec_lo
	v_lshlrev_b32_e32 v9, 8, v9
	v_lshlrev_b32_e32 v16, 8, v16
	s_cselect_b32 s37, 0xffffff80, 0
	s_delay_alu instid0(VALU_DEP_2) | instskip(NEXT) | instid1(VALU_DEP_2)
	v_ldexp_f64 v[1:2], |v[1:2]|, v9
	v_ldexp_f64 v[3:4], |v[3:4]|, v16
	s_delay_alu instid0(VALU_DEP_2) | instskip(NEXT) | instid1(VALU_DEP_1)
	v_rsq_f64_e32 v[16:17], v[1:2]
	v_rsq_f64_e32 v[18:19], v[3:4]
	v_cmp_class_f64_e64 vcc_lo, v[1:2], 0x260
	s_waitcnt_depctr 0xfff
	v_mul_f64 v[20:21], v[1:2], v[16:17]
	v_mul_f64 v[16:17], v[16:17], 0.5
	v_mul_f64 v[26:27], v[3:4], v[18:19]
	v_mul_f64 v[18:19], v[18:19], 0.5
	s_delay_alu instid0(VALU_DEP_3) | instskip(NEXT) | instid1(VALU_DEP_2)
	v_fma_f64 v[28:29], -v[16:17], v[20:21], 0.5
	v_fma_f64 v[30:31], -v[18:19], v[26:27], 0.5
	s_delay_alu instid0(VALU_DEP_2) | instskip(SKIP_1) | instid1(VALU_DEP_3)
	v_fma_f64 v[20:21], v[20:21], v[28:29], v[20:21]
	v_fma_f64 v[16:17], v[16:17], v[28:29], v[16:17]
	;; [unrolled: 1-line block ×4, first 2 shown]
	s_delay_alu instid0(VALU_DEP_4) | instskip(NEXT) | instid1(VALU_DEP_3)
	v_fma_f64 v[28:29], -v[20:21], v[20:21], v[1:2]
	v_fma_f64 v[30:31], -v[26:27], v[26:27], v[3:4]
	s_delay_alu instid0(VALU_DEP_2) | instskip(NEXT) | instid1(VALU_DEP_2)
	v_fma_f64 v[20:21], v[28:29], v[16:17], v[20:21]
	v_fma_f64 v[26:27], v[30:31], v[18:19], v[26:27]
	s_delay_alu instid0(VALU_DEP_2) | instskip(NEXT) | instid1(VALU_DEP_2)
	v_fma_f64 v[28:29], -v[20:21], v[20:21], v[1:2]
	v_fma_f64 v[30:31], -v[26:27], v[26:27], v[3:4]
	s_delay_alu instid0(VALU_DEP_2) | instskip(NEXT) | instid1(VALU_DEP_2)
	v_fma_f64 v[16:17], v[28:29], v[16:17], v[20:21]
	v_fma_f64 v[18:19], v[30:31], v[18:19], v[26:27]
	s_delay_alu instid0(VALU_DEP_2) | instskip(SKIP_1) | instid1(VALU_DEP_3)
	v_ldexp_f64 v[16:17], v[16:17], s3
	v_cmp_class_f64_e64 s3, v[3:4], 0x260
	v_ldexp_f64 v[18:19], v[18:19], s37
	s_delay_alu instid0(VALU_DEP_3) | instskip(NEXT) | instid1(VALU_DEP_2)
	v_dual_cndmask_b32 v2, v17, v2 :: v_dual_cndmask_b32 v1, v16, v1
	v_cndmask_b32_e64 v4, v19, v4, s3
	s_delay_alu instid0(VALU_DEP_3) | instskip(SKIP_1) | instid1(VALU_DEP_1)
	v_cndmask_b32_e64 v3, v18, v3, s3
	s_mov_b32 s3, -1
	v_mul_f64 v[1:2], v[1:2], v[3:4]
	s_delay_alu instid0(VALU_DEP_1) | instskip(SKIP_1) | instid1(VALU_DEP_1)
	v_mul_f64 v[1:2], v[1:2], s[24:25]
	s_waitcnt vmcnt(0)
	v_cmp_nle_f64_e64 s37, |v[32:33]|, v[1:2]
	s_delay_alu instid0(VALU_DEP_1)
	s_and_b32 vcc_lo, exec_lo, s37
	s_mov_b32 s37, -1
	s_cbranch_vccz .LBB192_14
; %bb.16:                               ;   in Loop: Header=BB192_15 Depth=2
	s_add_u32 s66, s72, 1
	s_addc_u32 s67, s73, 0
	s_add_u32 s70, s68, 8
	s_addc_u32 s71, s69, 0
	;; [unrolled: 2-line block ×3, first 2 shown]
	s_cmp_ge_i32 s66, s36
	s_mov_b32 s3, 0
	s_cselect_b32 s37, -1, 0
	s_branch .LBB192_14
.LBB192_17:                             ;   in Loop: Header=BB192_7 Depth=1
	s_mov_b32 s37, s62
	s_mov_b64 s[64:65], s[62:63]
	s_and_b32 vcc_lo, exec_lo, s60
	s_cbranch_vccnz .LBB192_21
	s_branch .LBB192_22
.LBB192_18:                             ;   in Loop: Header=BB192_7 Depth=1
	s_xor_b32 s3, s3, -1
                                        ; implicit-def: $sgpr64_sgpr65
	s_delay_alu instid0(SALU_CYCLE_1)
	s_and_b32 vcc_lo, exec_lo, s3
	s_mov_b32 s3, -1
	s_cbranch_vccz .LBB192_20
; %bb.19:                               ;   in Loop: Header=BB192_7 Depth=1
	s_ashr_i32 s37, s36, 31
	s_mov_b32 s60, -1
	s_mov_b32 s3, 0
	s_mov_b64 s[64:65], s[36:37]
.LBB192_20:                             ;   in Loop: Header=BB192_7 Depth=1
	v_dual_mov_b32 v16, s72 :: v_dual_mov_b32 v17, s73
	v_dual_mov_b32 v18, s68 :: v_dual_mov_b32 v19, s69
	;; [unrolled: 1-line block ×3, first 2 shown]
	s_mov_b32 s37, s36
	s_and_b32 vcc_lo, exec_lo, s60
	s_cbranch_vccz .LBB192_22
.LBB192_21:                             ;   in Loop: Header=BB192_7 Depth=1
	v_mov_b32_e32 v1, s37
	ds_store_b32 v8, v1 offset:20
.LBB192_22:                             ;   in Loop: Header=BB192_7 Depth=1
	v_dual_mov_b32 v1, s62 :: v_dual_mov_b32 v2, s63
	v_dual_mov_b32 v3, s64 :: v_dual_mov_b32 v4, s65
	v_mov_b32_e32 v28, s37
	s_and_not1_b32 vcc_lo, exec_lo, s3
	s_cbranch_vccnz .LBB192_24
; %bb.23:                               ;   in Loop: Header=BB192_7 Depth=1
	v_mov_b32_e32 v1, v20
	v_dual_mov_b32 v3, v16 :: v_dual_mov_b32 v4, v17
	v_dual_mov_b32 v9, v8 :: v_dual_mov_b32 v2, v21
	v_mov_b32_e32 v28, v16
	ds_store_b32 v8, v16 offset:20
	global_store_b64 v[18:19], v[8:9], off
.LBB192_24:                             ;   in Loop: Header=BB192_7 Depth=1
	s_delay_alu instid0(VALU_DEP_2) | instskip(SKIP_1) | instid1(VALU_DEP_2)
	v_lshlrev_b64 v[3:4], 3, v[3:4]
	v_lshlrev_b64 v[26:27], 3, v[1:2]
	v_add_co_u32 v1, vcc_lo, s18, v3
	s_delay_alu instid0(VALU_DEP_3) | instskip(NEXT) | instid1(VALU_DEP_3)
	v_add_co_ci_u32_e32 v2, vcc_lo, s19, v4, vcc_lo
	v_add_co_u32 v3, vcc_lo, s18, v26
	s_delay_alu instid0(VALU_DEP_4)
	v_add_co_ci_u32_e32 v4, vcc_lo, s19, v27, vcc_lo
	s_clause 0x1
	global_load_b64 v[1:2], v[1:2], off
	global_load_b64 v[3:4], v[3:4], off
	s_waitcnt vmcnt(0)
	v_cmp_lt_f64_e64 s37, |v[1:2]|, |v[3:4]|
	v_dual_mov_b32 v4, s62 :: v_dual_add_nc_u32 v3, 1, v28
	ds_store_2addr_b32 v8, v28, v28 offset0:8 offset1:10
	ds_store_b32 v8, v4 offset:16
	ds_store_b64 v8, v[3:4] offset:24
	s_and_saveexec_b32 s3, s37
	s_cbranch_execz .LBB192_26
; %bb.25:                               ;   in Loop: Header=BB192_7 Depth=1
	v_mov_b32_e32 v3, s62
	ds_store_2addr_b32 v8, v28, v3 offset0:4 offset1:8
.LBB192_26:                             ;   in Loop: Header=BB192_7 Depth=1
	s_or_b32 exec_lo, exec_lo, s3
	v_and_b32_e32 v2, 0x7fffffff, v2
	s_mov_b32 s37, exec_lo
	v_cmpx_lt_i32_e64 s62, v28
	s_cbranch_execz .LBB192_30
; %bb.27:                               ;   in Loop: Header=BB192_7 Depth=1
	v_add_co_u32 v3, vcc_lo, s79, v26
	v_add_co_ci_u32_e32 v4, vcc_lo, s80, v27, vcc_lo
	v_add_co_u32 v26, vcc_lo, s10, v26
	v_add_co_ci_u32_e32 v27, vcc_lo, s74, v27, vcc_lo
	s_mov_b32 s60, 0
	.p2align	6
.LBB192_28:                             ;   Parent Loop BB192_7 Depth=1
                                        ; =>  This Inner Loop Header: Depth=2
	global_load_b64 v[29:30], v[26:27], off
	global_load_b64 v[31:32], v[3:4], off
	v_max_f64 v[1:2], v[1:2], v[1:2]
	v_add_co_u32 v3, vcc_lo, v3, 8
	s_add_i32 s62, s62, 1
	v_add_co_ci_u32_e32 v4, vcc_lo, 0, v4, vcc_lo
	v_cmp_ge_i32_e32 vcc_lo, s62, v28
	v_add_co_u32 v26, s3, v26, 8
	s_delay_alu instid0(VALU_DEP_1)
	v_add_co_ci_u32_e64 v27, s3, 0, v27, s3
	s_or_b32 s60, vcc_lo, s60
	s_waitcnt vmcnt(1)
	v_max_f64 v[29:30], |v[29:30]|, |v[29:30]|
	s_waitcnt vmcnt(0)
	v_max_f64 v[31:32], |v[31:32]|, |v[31:32]|
	s_delay_alu instid0(VALU_DEP_1) | instskip(NEXT) | instid1(VALU_DEP_1)
	v_max_f64 v[29:30], v[31:32], v[29:30]
	v_max_f64 v[1:2], v[1:2], v[29:30]
	s_and_not1_b32 exec_lo, exec_lo, s60
	s_cbranch_execnz .LBB192_28
; %bb.29:                               ;   in Loop: Header=BB192_7 Depth=1
	s_or_b32 exec_lo, exec_lo, s60
.LBB192_30:                             ;   in Loop: Header=BB192_7 Depth=1
	s_delay_alu instid0(SALU_CYCLE_1)
	s_or_b32 exec_lo, exec_lo, s37
	ds_store_b64 v8, v[1:2] offset:8
.LBB192_31:                             ;   in Loop: Header=BB192_7 Depth=1
	s_or_b32 exec_lo, exec_lo, s5
	s_waitcnt lgkmcnt(0)
	s_waitcnt_vscnt null, 0x0
	s_barrier
	buffer_gl0_inv
	ds_load_b64 v[1:2], v8 offset:8
	ds_load_2addr_b32 v[3:4], v8 offset0:4 offset1:8
	s_waitcnt lgkmcnt(1)
	v_cmp_eq_f64_e32 vcc_lo, 0, v[1:2]
	s_waitcnt lgkmcnt(0)
	v_cmp_eq_u32_e64 s3, v4, v3
	s_delay_alu instid0(VALU_DEP_1) | instskip(NEXT) | instid1(SALU_CYCLE_1)
	s_or_b32 s3, s3, vcc_lo
	s_and_b32 vcc_lo, exec_lo, s3
	s_cbranch_vccnz .LBB192_133
; %bb.32:                               ;   in Loop: Header=BB192_7 Depth=1
	v_cmp_nlt_f64_e32 vcc_lo, s[40:41], v[1:2]
	s_mov_b32 s3, -1
	s_cbranch_vccz .LBB192_41
; %bb.33:                               ;   in Loop: Header=BB192_7 Depth=1
	v_cmp_ngt_f64_e32 vcc_lo, s[26:27], v[1:2]
	s_cbranch_vccnz .LBB192_40
; %bb.34:                               ;   in Loop: Header=BB192_7 Depth=1
	v_div_scale_f64 v[3:4], null, s[26:27], s[26:27], v[1:2]
	s_delay_alu instid0(VALU_DEP_1) | instskip(SKIP_2) | instid1(VALU_DEP_1)
	v_rcp_f64_e32 v[26:27], v[3:4]
	s_waitcnt_depctr 0xfff
	v_fma_f64 v[28:29], -v[3:4], v[26:27], 1.0
	v_fma_f64 v[26:27], v[26:27], v[28:29], v[26:27]
	s_delay_alu instid0(VALU_DEP_1) | instskip(NEXT) | instid1(VALU_DEP_1)
	v_fma_f64 v[28:29], -v[3:4], v[26:27], 1.0
	v_fma_f64 v[26:27], v[26:27], v[28:29], v[26:27]
	v_div_scale_f64 v[28:29], vcc_lo, v[1:2], s[26:27], v[1:2]
	s_delay_alu instid0(VALU_DEP_1) | instskip(NEXT) | instid1(VALU_DEP_1)
	v_mul_f64 v[30:31], v[28:29], v[26:27]
	v_fma_f64 v[3:4], -v[3:4], v[30:31], v[28:29]
	s_delay_alu instid0(VALU_DEP_1)
	v_div_fmas_f64 v[3:4], v[3:4], v[26:27], v[30:31]
	ds_load_2addr_b32 v[26:27], v8 offset0:7 offset1:10
	v_div_fixup_f64 v[3:4], v[3:4], s[26:27], v[1:2]
	s_and_saveexec_b32 s3, s4
	s_cbranch_execz .LBB192_36
; %bb.35:                               ;   in Loop: Header=BB192_7 Depth=1
	s_waitcnt lgkmcnt(0)
	v_ashrrev_i32_e32 v29, 31, v27
	v_mov_b32_e32 v28, v27
	s_delay_alu instid0(VALU_DEP_1) | instskip(NEXT) | instid1(VALU_DEP_1)
	v_lshlrev_b64 v[28:29], 3, v[28:29]
	v_add_co_u32 v28, vcc_lo, s18, v28
	s_delay_alu instid0(VALU_DEP_2)
	v_add_co_ci_u32_e32 v29, vcc_lo, s19, v29, vcc_lo
	global_load_b64 v[30:31], v[28:29], off
	s_waitcnt vmcnt(0)
	v_mul_f64 v[30:31], v[3:4], v[30:31]
	global_store_b64 v[28:29], v[30:31], off
.LBB192_36:                             ;   in Loop: Header=BB192_7 Depth=1
	s_or_b32 exec_lo, exec_lo, s3
	s_waitcnt lgkmcnt(0)
	v_add_nc_u32_e32 v28, v26, v6
	s_mov_b32 s5, exec_lo
	s_delay_alu instid0(VALU_DEP_1)
	v_cmpx_lt_i32_e64 v28, v27
	s_cbranch_execz .LBB192_39
; %bb.37:                               ;   in Loop: Header=BB192_7 Depth=1
	v_ashrrev_i32_e32 v29, 31, v28
	s_mov_b32 s37, 0
	s_delay_alu instid0(VALU_DEP_1)
	v_lshlrev_b64 v[29:30], 3, v[28:29]
	.p2align	6
.LBB192_38:                             ;   Parent Loop BB192_7 Depth=1
                                        ; =>  This Inner Loop Header: Depth=2
	s_delay_alu instid0(VALU_DEP_1) | instskip(NEXT) | instid1(VALU_DEP_2)
	v_add_co_u32 v31, vcc_lo, s18, v29
	v_add_co_ci_u32_e32 v32, vcc_lo, s19, v30, vcc_lo
	v_add_co_u32 v35, vcc_lo, s10, v29
	v_add_co_ci_u32_e32 v36, vcc_lo, s74, v30, vcc_lo
	global_load_b64 v[33:34], v[31:32], off
	v_add_nc_u32_e32 v28, s34, v28
	v_add_co_u32 v29, s3, v29, s50
	s_delay_alu instid0(VALU_DEP_1) | instskip(NEXT) | instid1(VALU_DEP_3)
	v_add_co_ci_u32_e64 v30, s3, s51, v30, s3
	v_cmp_ge_i32_e32 vcc_lo, v28, v27
	s_or_b32 s37, vcc_lo, s37
	s_waitcnt vmcnt(0)
	v_mul_f64 v[33:34], v[3:4], v[33:34]
	global_store_b64 v[31:32], v[33:34], off
	global_load_b64 v[31:32], v[35:36], off
	s_waitcnt vmcnt(0)
	v_mul_f64 v[31:32], v[3:4], v[31:32]
	global_store_b64 v[35:36], v[31:32], off
	s_and_not1_b32 exec_lo, exec_lo, s37
	s_cbranch_execnz .LBB192_38
.LBB192_39:                             ;   in Loop: Header=BB192_7 Depth=1
	s_or_b32 exec_lo, exec_lo, s5
.LBB192_40:                             ;   in Loop: Header=BB192_7 Depth=1
	s_mov_b32 s3, 0
.LBB192_41:                             ;   in Loop: Header=BB192_7 Depth=1
	s_delay_alu instid0(SALU_CYCLE_1)
	s_and_not1_b32 vcc_lo, exec_lo, s3
	s_cbranch_vccnz .LBB192_48
; %bb.42:                               ;   in Loop: Header=BB192_7 Depth=1
	v_div_scale_f64 v[3:4], null, s[40:41], s[40:41], v[1:2]
	s_delay_alu instid0(VALU_DEP_1) | instskip(SKIP_2) | instid1(VALU_DEP_1)
	v_rcp_f64_e32 v[26:27], v[3:4]
	s_waitcnt_depctr 0xfff
	v_fma_f64 v[28:29], -v[3:4], v[26:27], 1.0
	v_fma_f64 v[26:27], v[26:27], v[28:29], v[26:27]
	s_delay_alu instid0(VALU_DEP_1) | instskip(NEXT) | instid1(VALU_DEP_1)
	v_fma_f64 v[28:29], -v[3:4], v[26:27], 1.0
	v_fma_f64 v[26:27], v[26:27], v[28:29], v[26:27]
	v_div_scale_f64 v[28:29], vcc_lo, v[1:2], s[40:41], v[1:2]
	s_delay_alu instid0(VALU_DEP_1) | instskip(NEXT) | instid1(VALU_DEP_1)
	v_mul_f64 v[30:31], v[28:29], v[26:27]
	v_fma_f64 v[3:4], -v[3:4], v[30:31], v[28:29]
	s_delay_alu instid0(VALU_DEP_1) | instskip(NEXT) | instid1(VALU_DEP_1)
	v_div_fmas_f64 v[3:4], v[3:4], v[26:27], v[30:31]
	v_div_fixup_f64 v[1:2], v[3:4], s[40:41], v[1:2]
	ds_load_2addr_b32 v[3:4], v8 offset0:7 offset1:10
	s_and_saveexec_b32 s3, s4
	s_cbranch_execz .LBB192_44
; %bb.43:                               ;   in Loop: Header=BB192_7 Depth=1
	s_waitcnt lgkmcnt(0)
	v_ashrrev_i32_e32 v27, 31, v4
	v_mov_b32_e32 v26, v4
	s_delay_alu instid0(VALU_DEP_1) | instskip(NEXT) | instid1(VALU_DEP_1)
	v_lshlrev_b64 v[26:27], 3, v[26:27]
	v_add_co_u32 v26, vcc_lo, s18, v26
	s_delay_alu instid0(VALU_DEP_2)
	v_add_co_ci_u32_e32 v27, vcc_lo, s19, v27, vcc_lo
	global_load_b64 v[28:29], v[26:27], off
	s_waitcnt vmcnt(0)
	v_mul_f64 v[28:29], v[1:2], v[28:29]
	global_store_b64 v[26:27], v[28:29], off
.LBB192_44:                             ;   in Loop: Header=BB192_7 Depth=1
	s_or_b32 exec_lo, exec_lo, s3
	s_waitcnt lgkmcnt(0)
	v_add_nc_u32_e32 v26, v3, v6
	s_mov_b32 s5, exec_lo
	s_delay_alu instid0(VALU_DEP_1)
	v_cmpx_lt_i32_e64 v26, v4
	s_cbranch_execz .LBB192_47
; %bb.45:                               ;   in Loop: Header=BB192_7 Depth=1
	v_ashrrev_i32_e32 v27, 31, v26
	s_mov_b32 s37, 0
	s_delay_alu instid0(VALU_DEP_1)
	v_lshlrev_b64 v[27:28], 3, v[26:27]
	.p2align	6
.LBB192_46:                             ;   Parent Loop BB192_7 Depth=1
                                        ; =>  This Inner Loop Header: Depth=2
	s_delay_alu instid0(VALU_DEP_1) | instskip(NEXT) | instid1(VALU_DEP_2)
	v_add_co_u32 v29, vcc_lo, s18, v27
	v_add_co_ci_u32_e32 v30, vcc_lo, s19, v28, vcc_lo
	v_add_co_u32 v33, vcc_lo, s10, v27
	v_add_co_ci_u32_e32 v34, vcc_lo, s74, v28, vcc_lo
	global_load_b64 v[31:32], v[29:30], off
	v_add_nc_u32_e32 v26, s34, v26
	v_add_co_u32 v27, s3, v27, s50
	s_delay_alu instid0(VALU_DEP_1) | instskip(NEXT) | instid1(VALU_DEP_3)
	v_add_co_ci_u32_e64 v28, s3, s51, v28, s3
	v_cmp_ge_i32_e32 vcc_lo, v26, v4
	s_or_b32 s37, vcc_lo, s37
	s_waitcnt vmcnt(0)
	v_mul_f64 v[31:32], v[1:2], v[31:32]
	global_store_b64 v[29:30], v[31:32], off
	global_load_b64 v[29:30], v[33:34], off
	s_waitcnt vmcnt(0)
	v_mul_f64 v[29:30], v[1:2], v[29:30]
	global_store_b64 v[33:34], v[29:30], off
	s_and_not1_b32 exec_lo, exec_lo, s37
	s_cbranch_execnz .LBB192_46
.LBB192_47:                             ;   in Loop: Header=BB192_7 Depth=1
	s_or_b32 exec_lo, exec_lo, s5
.LBB192_48:                             ;   in Loop: Header=BB192_7 Depth=1
	s_waitcnt_vscnt null, 0x0
	s_barrier
	buffer_gl0_inv
	ds_load_b64 v[28:29], v8 offset:32
	ds_load_b32 v26, v8 offset:16
	s_waitcnt lgkmcnt(1)
	v_cmp_gt_i32_e64 s3, s33, v29
	s_waitcnt lgkmcnt(0)
	v_cmp_lt_i32_e32 vcc_lo, v28, v26
	s_delay_alu instid0(VALU_DEP_2) | instskip(NEXT) | instid1(VALU_DEP_1)
	v_cndmask_b32_e64 v1, 0, 1, s3
	v_cmp_ne_u32_e64 s5, 1, v1
	s_cbranch_vccnz .LBB192_134
; %bb.49:                               ;   in Loop: Header=BB192_7 Depth=1
	v_dual_mov_b32 v33, v25 :: v_dual_mov_b32 v32, v24
	v_dual_mov_b32 v31, v23 :: v_dual_mov_b32 v30, v22
	;; [unrolled: 1-line block ×4, first 2 shown]
	s_and_b32 vcc_lo, exec_lo, s5
	s_cbranch_vccz .LBB192_53
.LBB192_50:                             ;   in Loop: Header=BB192_7 Depth=1
	s_cbranch_execz .LBB192_137
	s_branch .LBB192_219
.LBB192_51:                             ;   in Loop: Header=BB192_53 Depth=2
	s_or_b32 exec_lo, exec_lo, s37
	s_waitcnt_vscnt null, 0x0
	s_barrier
	buffer_gl0_inv
	ds_load_b32 v34, v8 offset:16
.LBB192_52:                             ;   in Loop: Header=BB192_53 Depth=2
	ds_load_b64 v[38:39], v8 offset:32
	s_waitcnt lgkmcnt(0)
	v_cmp_le_i32_e32 vcc_lo, v34, v38
	v_cmp_gt_i32_e64 s5, s33, v39
	s_delay_alu instid0(VALU_DEP_1) | instskip(NEXT) | instid1(SALU_CYCLE_1)
	s_and_b32 s5, vcc_lo, s5
	s_and_not1_b32 vcc_lo, exec_lo, s5
	s_cbranch_vccnz .LBB192_50
.LBB192_53:                             ;   Parent Loop BB192_7 Depth=1
                                        ; =>  This Loop Header: Depth=2
                                        ;       Child Loop BB192_61 Depth 3
                                        ;       Child Loop BB192_80 Depth 3
	;; [unrolled: 1-line block ×3, first 2 shown]
                                        ;         Child Loop BB192_131 Depth 4
	s_and_saveexec_b32 s37, s4
	s_cbranch_execz .LBB192_126
; %bb.54:                               ;   in Loop: Header=BB192_53 Depth=2
	v_cmp_lt_i32_e32 vcc_lo, v34, v38
	s_mov_b32 s5, 0
	s_cbranch_vccnz .LBB192_58
; %bb.55:                               ;   in Loop: Header=BB192_53 Depth=2
	v_ashrrev_i32_e32 v35, 31, v34
	v_mov_b32_e32 v2, v34
	s_mov_b32 s60, -1
	s_delay_alu instid0(VALU_DEP_2)
	v_mov_b32_e32 v3, v35
	v_mov_b32_e32 v1, v34
	s_cbranch_execz .LBB192_59
; %bb.56:                               ;   in Loop: Header=BB192_53 Depth=2
	s_and_b32 vcc_lo, exec_lo, s60
	s_cbranch_vccz .LBB192_64
.LBB192_57:                             ;   in Loop: Header=BB192_53 Depth=2
	ds_store_2addr_b32 v8, v1, v34 offset0:5 offset1:7
	s_cbranch_execz .LBB192_65
	s_branch .LBB192_66
.LBB192_58:                             ;   in Loop: Header=BB192_53 Depth=2
	s_mov_b32 s60, 0
                                        ; implicit-def: $vgpr2_vgpr3
	v_mov_b32_e32 v1, v34
.LBB192_59:                             ;   in Loop: Header=BB192_53 Depth=2
	v_ashrrev_i32_e32 v35, 31, v34
	v_mov_b32_e32 v9, v34
	s_delay_alu instid0(VALU_DEP_2) | instskip(NEXT) | instid1(VALU_DEP_1)
	v_lshlrev_b64 v[1:2], 3, v[34:35]
	v_add_co_u32 v3, vcc_lo, s10, v1
	s_delay_alu instid0(VALU_DEP_2)
	v_add_co_ci_u32_e32 v4, vcc_lo, s74, v2, vcc_lo
	v_add_co_u32 v1, vcc_lo, s79, v1
	v_add_co_ci_u32_e32 v2, vcc_lo, s80, v2, vcc_lo
	s_branch .LBB192_61
	.p2align	6
.LBB192_60:                             ;   in Loop: Header=BB192_61 Depth=3
	v_add_nc_u32_e32 v9, 1, v27
	v_add_co_u32 v3, vcc_lo, v30, 8
	v_add_co_ci_u32_e32 v4, vcc_lo, 0, v31, vcc_lo
	v_add_co_u32 v1, vcc_lo, v1, 8
	v_add_co_ci_u32_e32 v2, vcc_lo, 0, v2, vcc_lo
	v_cmp_ge_i32_e64 s60, v9, v38
	s_mov_b32 s5, 0
	s_delay_alu instid0(VALU_DEP_1)
	s_and_not1_b32 vcc_lo, exec_lo, s60
	s_cbranch_vccz .LBB192_63
.LBB192_61:                             ;   Parent Loop BB192_7 Depth=1
                                        ;     Parent Loop BB192_53 Depth=2
                                        ; =>    This Inner Loop Header: Depth=3
	global_load_b128 v[40:43], v[1:2], off
	v_dual_mov_b32 v31, v4 :: v_dual_mov_b32 v30, v3
	global_load_b64 v[3:4], v[3:4], off
	v_mov_b32_e32 v27, v9
	s_waitcnt vmcnt(1)
	v_mul_f64 v[32:33], v[40:41], v[42:43]
	s_waitcnt vmcnt(0)
	v_mul_f64 v[3:4], v[3:4], v[3:4]
	s_delay_alu instid0(VALU_DEP_2) | instskip(NEXT) | instid1(VALU_DEP_1)
	v_mul_f64 v[32:33], v[10:11], |v[32:33]|
	v_cmp_le_f64_e64 s5, |v[3:4]|, v[32:33]
	s_delay_alu instid0(VALU_DEP_1)
	s_and_b32 vcc_lo, exec_lo, s5
	s_cbranch_vccz .LBB192_60
; %bb.62:                               ;   in Loop: Header=BB192_53 Depth=2
	s_mov_b32 s5, -1
                                        ; implicit-def: $vgpr9
                                        ; implicit-def: $vgpr3_vgpr4
                                        ; implicit-def: $vgpr1_vgpr2
.LBB192_63:                             ;   in Loop: Header=BB192_53 Depth=2
	v_dual_mov_b32 v32, v34 :: v_dual_mov_b32 v33, v35
	v_mov_b32_e32 v1, v38
	v_dual_mov_b32 v2, v34 :: v_dual_mov_b32 v3, v35
	s_xor_b32 s60, s5, -1
	s_mov_b32 s5, -1
	s_and_b32 vcc_lo, exec_lo, s60
	s_cbranch_vccnz .LBB192_57
.LBB192_64:                             ;   in Loop: Header=BB192_53 Depth=2
                                        ; implicit-def: $vgpr1
                                        ; implicit-def: $vgpr2_vgpr3
	s_and_not1_b32 vcc_lo, exec_lo, s5
	s_cbranch_vccnz .LBB192_66
.LBB192_65:                             ;   in Loop: Header=BB192_53 Depth=2
	v_mov_b32_e32 v9, v8
	v_dual_mov_b32 v2, v32 :: v_dual_mov_b32 v3, v33
	v_mov_b32_e32 v1, v27
	ds_store_2addr_b32 v8, v27, v34 offset0:5 offset1:7
	global_store_b64 v[30:31], v[8:9], off
.LBB192_66:                             ;   in Loop: Header=BB192_53 Depth=2
	v_lshlrev_b64 v[37:38], 3, v[2:3]
	v_add_nc_u32_e32 v2, 1, v34
	s_mov_b32 s5, exec_lo
	s_delay_alu instid0(VALU_DEP_2) | instskip(NEXT) | instid1(VALU_DEP_3)
	v_add_co_u32 v35, vcc_lo, s18, v37
	v_add_co_ci_u32_e32 v36, vcc_lo, s19, v38, vcc_lo
	global_load_b64 v[45:46], v[35:36], off
	s_waitcnt vmcnt(0)
	ds_store_b64 v8, v[45:46]
	v_cmpx_ne_u32_e64 v1, v34
	s_xor_b32 s60, exec_lo, s5
	s_cbranch_execz .LBB192_123
; %bb.67:                               ;   in Loop: Header=BB192_53 Depth=2
	s_mov_b32 s5, exec_lo
	v_cmpx_ne_u32_e64 v1, v2
	s_xor_b32 s5, exec_lo, s5
	s_cbranch_execz .LBB192_95
; %bb.68:                               ;   in Loop: Header=BB192_53 Depth=2
	v_add_co_u32 v3, vcc_lo, s10, v37
	v_add_co_ci_u32_e32 v4, vcc_lo, s74, v38, vcc_lo
	s_mov_b32 s70, exec_lo
	global_load_b64 v[37:38], v[35:36], off offset:8
	global_load_b64 v[40:41], v[3:4], off
	s_waitcnt vmcnt(1)
	v_add_f64 v[37:38], v[37:38], -v[45:46]
	s_waitcnt vmcnt(0)
	v_add_f64 v[42:43], v[40:41], v[40:41]
	s_delay_alu instid0(VALU_DEP_1) | instskip(SKIP_1) | instid1(VALU_DEP_2)
	v_div_scale_f64 v[47:48], null, v[42:43], v[42:43], v[37:38]
	v_div_scale_f64 v[53:54], vcc_lo, v[37:38], v[42:43], v[37:38]
	v_rcp_f64_e32 v[49:50], v[47:48]
	s_waitcnt_depctr 0xfff
	v_fma_f64 v[51:52], -v[47:48], v[49:50], 1.0
	s_delay_alu instid0(VALU_DEP_1) | instskip(NEXT) | instid1(VALU_DEP_1)
	v_fma_f64 v[49:50], v[49:50], v[51:52], v[49:50]
	v_fma_f64 v[51:52], -v[47:48], v[49:50], 1.0
	s_delay_alu instid0(VALU_DEP_1) | instskip(NEXT) | instid1(VALU_DEP_1)
	v_fma_f64 v[49:50], v[49:50], v[51:52], v[49:50]
	v_mul_f64 v[51:52], v[53:54], v[49:50]
	s_delay_alu instid0(VALU_DEP_1) | instskip(NEXT) | instid1(VALU_DEP_1)
	v_fma_f64 v[47:48], -v[47:48], v[51:52], v[53:54]
	v_div_fmas_f64 v[47:48], v[47:48], v[49:50], v[51:52]
	s_delay_alu instid0(VALU_DEP_1) | instskip(NEXT) | instid1(VALU_DEP_1)
	v_div_fixup_f64 v[37:38], v[47:48], v[42:43], v[37:38]
	v_fma_f64 v[42:43], v[37:38], v[37:38], 1.0
	s_delay_alu instid0(VALU_DEP_1) | instskip(SKIP_1) | instid1(VALU_DEP_1)
	v_cmp_gt_f64_e32 vcc_lo, 0x10000000, v[42:43]
	v_cndmask_b32_e64 v2, 0, 1, vcc_lo
	v_lshlrev_b32_e32 v2, 8, v2
	s_delay_alu instid0(VALU_DEP_1) | instskip(SKIP_1) | instid1(VALU_DEP_2)
	v_ldexp_f64 v[42:43], v[42:43], v2
	v_cndmask_b32_e64 v2, 0, 0xffffff80, vcc_lo
	v_rsq_f64_e32 v[47:48], v[42:43]
	v_cmp_class_f64_e64 vcc_lo, v[42:43], 0x260
	s_waitcnt_depctr 0xfff
	v_mul_f64 v[49:50], v[42:43], v[47:48]
	v_mul_f64 v[47:48], v[47:48], 0.5
	s_delay_alu instid0(VALU_DEP_1) | instskip(NEXT) | instid1(VALU_DEP_1)
	v_fma_f64 v[51:52], -v[47:48], v[49:50], 0.5
	v_fma_f64 v[49:50], v[49:50], v[51:52], v[49:50]
	v_fma_f64 v[47:48], v[47:48], v[51:52], v[47:48]
	s_delay_alu instid0(VALU_DEP_2) | instskip(NEXT) | instid1(VALU_DEP_1)
	v_fma_f64 v[51:52], -v[49:50], v[49:50], v[42:43]
	v_fma_f64 v[49:50], v[51:52], v[47:48], v[49:50]
	s_delay_alu instid0(VALU_DEP_1) | instskip(NEXT) | instid1(VALU_DEP_1)
	v_fma_f64 v[51:52], -v[49:50], v[49:50], v[42:43]
	v_fma_f64 v[47:48], v[51:52], v[47:48], v[49:50]
	s_delay_alu instid0(VALU_DEP_1) | instskip(NEXT) | instid1(VALU_DEP_1)
	v_ldexp_f64 v[47:48], v[47:48], v2
	v_cndmask_b32_e32 v2, v48, v43, vcc_lo
	s_delay_alu instid0(VALU_DEP_2) | instskip(SKIP_1) | instid1(VALU_DEP_3)
	v_cndmask_b32_e32 v42, v47, v42, vcc_lo
	v_cmp_nle_f64_e32 vcc_lo, 0, v[37:38]
	v_and_b32_e32 v9, 0x7fffffff, v2
	v_or_b32_e32 v2, 0x80000000, v2
	s_delay_alu instid0(VALU_DEP_1) | instskip(SKIP_2) | instid1(VALU_DEP_2)
	v_cndmask_b32_e32 v43, v9, v2, vcc_lo
	v_ashrrev_i32_e32 v2, 31, v1
	v_mov_b32_e32 v9, v8
	v_lshlrev_b64 v[47:48], 3, v[1:2]
	v_add_nc_u32_e32 v2, 1, v39
	v_add_f64 v[37:38], v[37:38], v[42:43]
	s_delay_alu instid0(VALU_DEP_3) | instskip(NEXT) | instid1(VALU_DEP_4)
	v_add_co_u32 v43, vcc_lo, s18, v47
	v_add_co_ci_u32_e32 v44, vcc_lo, s19, v48, vcc_lo
	global_load_b64 v[49:50], v[43:44], off
	ds_store_b32 v8, v2 offset:36
	ds_store_b64 v8, v[8:9]
	v_div_scale_f64 v[51:52], null, v[37:38], v[37:38], v[40:41]
	s_delay_alu instid0(VALU_DEP_1) | instskip(SKIP_2) | instid1(VALU_DEP_1)
	v_rcp_f64_e32 v[53:54], v[51:52]
	s_waitcnt_depctr 0xfff
	v_fma_f64 v[55:56], -v[51:52], v[53:54], 1.0
	v_fma_f64 v[53:54], v[53:54], v[55:56], v[53:54]
	s_delay_alu instid0(VALU_DEP_1) | instskip(NEXT) | instid1(VALU_DEP_1)
	v_fma_f64 v[55:56], -v[51:52], v[53:54], 1.0
	v_fma_f64 v[53:54], v[53:54], v[55:56], v[53:54]
	v_div_scale_f64 v[55:56], vcc_lo, v[40:41], v[37:38], v[40:41]
	s_delay_alu instid0(VALU_DEP_1) | instskip(NEXT) | instid1(VALU_DEP_1)
	v_mul_f64 v[60:61], v[55:56], v[53:54]
	v_fma_f64 v[51:52], -v[51:52], v[60:61], v[55:56]
	s_delay_alu instid0(VALU_DEP_1) | instskip(SKIP_2) | instid1(VALU_DEP_2)
	v_div_fmas_f64 v[51:52], v[51:52], v[53:54], v[60:61]
	s_waitcnt vmcnt(0)
	v_add_f64 v[53:54], v[49:50], -v[45:46]
	v_div_fixup_f64 v[37:38], v[51:52], v[37:38], v[40:41]
	v_mov_b32_e32 v39, 0
	v_mov_b32_e32 v40, 0
	s_delay_alu instid0(VALU_DEP_3)
	v_add_f64 v[37:38], v[53:54], v[37:38]
	v_cmpx_gt_i32_e64 v1, v34
	s_cbranch_execz .LBB192_94
; %bb.69:                               ;   in Loop: Header=BB192_53 Depth=2
	v_add_co_u32 v39, vcc_lo, s44, v47
	v_add_co_ci_u32_e32 v40, vcc_lo, s45, v48, vcc_lo
	v_mov_b32_e32 v41, 0
	v_dual_mov_b32 v42, 0x3ff00000 :: v_dual_mov_b32 v53, 0
	global_load_b64 v[45:46], v[39:40], off
	v_mov_b32_e32 v54, 0
	s_mov_b32 s62, exec_lo
	s_waitcnt vmcnt(0)
	v_cmpx_neq_f64_e32 0, v[45:46]
	s_cbranch_execz .LBB192_77
; %bb.70:                               ;   in Loop: Header=BB192_53 Depth=2
	v_mov_b32_e32 v53, 0
	v_dual_mov_b32 v54, 0x3ff00000 :: v_dual_mov_b32 v41, 0
	v_mov_b32_e32 v42, 0
	s_mov_b32 s63, exec_lo
	v_cmpx_neq_f64_e32 0, v[37:38]
	s_cbranch_execz .LBB192_76
; %bb.71:                               ;   in Loop: Header=BB192_53 Depth=2
	v_cmp_ngt_f64_e64 s64, |v[45:46]|, |v[37:38]|
                                        ; implicit-def: $vgpr53_vgpr54
                                        ; implicit-def: $vgpr41_vgpr42
	s_delay_alu instid0(VALU_DEP_1) | instskip(NEXT) | instid1(SALU_CYCLE_1)
	s_and_saveexec_b32 s65, s64
	s_xor_b32 s64, exec_lo, s65
	s_cbranch_execz .LBB192_73
; %bb.72:                               ;   in Loop: Header=BB192_53 Depth=2
	v_div_scale_f64 v[39:40], null, v[37:38], v[37:38], -v[45:46]
	v_div_scale_f64 v[53:54], vcc_lo, -v[45:46], v[37:38], -v[45:46]
	s_delay_alu instid0(VALU_DEP_2) | instskip(SKIP_2) | instid1(VALU_DEP_1)
	v_rcp_f64_e32 v[41:42], v[39:40]
	s_waitcnt_depctr 0xfff
	v_fma_f64 v[51:52], -v[39:40], v[41:42], 1.0
	v_fma_f64 v[41:42], v[41:42], v[51:52], v[41:42]
	s_delay_alu instid0(VALU_DEP_1) | instskip(NEXT) | instid1(VALU_DEP_1)
	v_fma_f64 v[51:52], -v[39:40], v[41:42], 1.0
	v_fma_f64 v[41:42], v[41:42], v[51:52], v[41:42]
	s_delay_alu instid0(VALU_DEP_1) | instskip(NEXT) | instid1(VALU_DEP_1)
	v_mul_f64 v[51:52], v[53:54], v[41:42]
	v_fma_f64 v[39:40], -v[39:40], v[51:52], v[53:54]
	s_delay_alu instid0(VALU_DEP_1) | instskip(NEXT) | instid1(VALU_DEP_1)
	v_div_fmas_f64 v[39:40], v[39:40], v[41:42], v[51:52]
	v_div_fixup_f64 v[37:38], v[39:40], v[37:38], -v[45:46]
	s_delay_alu instid0(VALU_DEP_1) | instskip(NEXT) | instid1(VALU_DEP_1)
	v_fma_f64 v[39:40], v[37:38], v[37:38], 1.0
	v_cmp_gt_f64_e32 vcc_lo, 0x10000000, v[39:40]
	v_cndmask_b32_e64 v2, 0, 1, vcc_lo
	s_delay_alu instid0(VALU_DEP_1) | instskip(NEXT) | instid1(VALU_DEP_1)
	v_lshlrev_b32_e32 v2, 8, v2
	v_ldexp_f64 v[39:40], v[39:40], v2
	v_cndmask_b32_e64 v2, 0, 0xffffff80, vcc_lo
	s_delay_alu instid0(VALU_DEP_2) | instskip(SKIP_4) | instid1(VALU_DEP_1)
	v_rsq_f64_e32 v[41:42], v[39:40]
	v_cmp_class_f64_e64 vcc_lo, v[39:40], 0x260
	s_waitcnt_depctr 0xfff
	v_mul_f64 v[51:52], v[39:40], v[41:42]
	v_mul_f64 v[41:42], v[41:42], 0.5
	v_fma_f64 v[53:54], -v[41:42], v[51:52], 0.5
	s_delay_alu instid0(VALU_DEP_1) | instskip(SKIP_1) | instid1(VALU_DEP_2)
	v_fma_f64 v[51:52], v[51:52], v[53:54], v[51:52]
	v_fma_f64 v[41:42], v[41:42], v[53:54], v[41:42]
	v_fma_f64 v[53:54], -v[51:52], v[51:52], v[39:40]
	s_delay_alu instid0(VALU_DEP_1) | instskip(NEXT) | instid1(VALU_DEP_1)
	v_fma_f64 v[51:52], v[53:54], v[41:42], v[51:52]
	v_fma_f64 v[53:54], -v[51:52], v[51:52], v[39:40]
	s_delay_alu instid0(VALU_DEP_1) | instskip(NEXT) | instid1(VALU_DEP_1)
	v_fma_f64 v[41:42], v[53:54], v[41:42], v[51:52]
	v_ldexp_f64 v[41:42], v[41:42], v2
	s_delay_alu instid0(VALU_DEP_1) | instskip(NEXT) | instid1(VALU_DEP_1)
	v_dual_cndmask_b32 v39, v41, v39 :: v_dual_cndmask_b32 v40, v42, v40
	v_div_scale_f64 v[41:42], null, v[39:40], v[39:40], 1.0
	s_delay_alu instid0(VALU_DEP_1) | instskip(SKIP_2) | instid1(VALU_DEP_1)
	v_rcp_f64_e32 v[51:52], v[41:42]
	s_waitcnt_depctr 0xfff
	v_fma_f64 v[53:54], -v[41:42], v[51:52], 1.0
	v_fma_f64 v[51:52], v[51:52], v[53:54], v[51:52]
	s_delay_alu instid0(VALU_DEP_1) | instskip(NEXT) | instid1(VALU_DEP_1)
	v_fma_f64 v[53:54], -v[41:42], v[51:52], 1.0
	v_fma_f64 v[51:52], v[51:52], v[53:54], v[51:52]
	v_div_scale_f64 v[53:54], vcc_lo, 1.0, v[39:40], 1.0
	s_delay_alu instid0(VALU_DEP_1) | instskip(NEXT) | instid1(VALU_DEP_1)
	v_mul_f64 v[55:56], v[53:54], v[51:52]
	v_fma_f64 v[41:42], -v[41:42], v[55:56], v[53:54]
	s_delay_alu instid0(VALU_DEP_1) | instskip(NEXT) | instid1(VALU_DEP_1)
	v_div_fmas_f64 v[41:42], v[41:42], v[51:52], v[55:56]
	v_div_fixup_f64 v[41:42], v[41:42], v[39:40], 1.0
	s_delay_alu instid0(VALU_DEP_1)
	v_mul_f64 v[53:54], v[37:38], v[41:42]
                                        ; implicit-def: $vgpr37_vgpr38
.LBB192_73:                             ;   in Loop: Header=BB192_53 Depth=2
	s_and_not1_saveexec_b32 s64, s64
	s_cbranch_execz .LBB192_75
; %bb.74:                               ;   in Loop: Header=BB192_53 Depth=2
	v_div_scale_f64 v[39:40], null, v[45:46], v[45:46], -v[37:38]
	v_div_scale_f64 v[53:54], vcc_lo, -v[37:38], v[45:46], -v[37:38]
	s_delay_alu instid0(VALU_DEP_2) | instskip(SKIP_2) | instid1(VALU_DEP_1)
	v_rcp_f64_e32 v[41:42], v[39:40]
	s_waitcnt_depctr 0xfff
	v_fma_f64 v[51:52], -v[39:40], v[41:42], 1.0
	v_fma_f64 v[41:42], v[41:42], v[51:52], v[41:42]
	s_delay_alu instid0(VALU_DEP_1) | instskip(NEXT) | instid1(VALU_DEP_1)
	v_fma_f64 v[51:52], -v[39:40], v[41:42], 1.0
	v_fma_f64 v[41:42], v[41:42], v[51:52], v[41:42]
	s_delay_alu instid0(VALU_DEP_1) | instskip(NEXT) | instid1(VALU_DEP_1)
	v_mul_f64 v[51:52], v[53:54], v[41:42]
	v_fma_f64 v[39:40], -v[39:40], v[51:52], v[53:54]
	s_delay_alu instid0(VALU_DEP_1) | instskip(NEXT) | instid1(VALU_DEP_1)
	v_div_fmas_f64 v[39:40], v[39:40], v[41:42], v[51:52]
	v_div_fixup_f64 v[37:38], v[39:40], v[45:46], -v[37:38]
	s_delay_alu instid0(VALU_DEP_1) | instskip(NEXT) | instid1(VALU_DEP_1)
	v_fma_f64 v[39:40], v[37:38], v[37:38], 1.0
	v_cmp_gt_f64_e32 vcc_lo, 0x10000000, v[39:40]
	v_cndmask_b32_e64 v2, 0, 1, vcc_lo
	s_delay_alu instid0(VALU_DEP_1) | instskip(NEXT) | instid1(VALU_DEP_1)
	v_lshlrev_b32_e32 v2, 8, v2
	v_ldexp_f64 v[39:40], v[39:40], v2
	v_cndmask_b32_e64 v2, 0, 0xffffff80, vcc_lo
	s_delay_alu instid0(VALU_DEP_2) | instskip(SKIP_4) | instid1(VALU_DEP_1)
	v_rsq_f64_e32 v[41:42], v[39:40]
	v_cmp_class_f64_e64 vcc_lo, v[39:40], 0x260
	s_waitcnt_depctr 0xfff
	v_mul_f64 v[51:52], v[39:40], v[41:42]
	v_mul_f64 v[41:42], v[41:42], 0.5
	v_fma_f64 v[53:54], -v[41:42], v[51:52], 0.5
	s_delay_alu instid0(VALU_DEP_1) | instskip(SKIP_1) | instid1(VALU_DEP_2)
	v_fma_f64 v[51:52], v[51:52], v[53:54], v[51:52]
	v_fma_f64 v[41:42], v[41:42], v[53:54], v[41:42]
	v_fma_f64 v[53:54], -v[51:52], v[51:52], v[39:40]
	s_delay_alu instid0(VALU_DEP_1) | instskip(NEXT) | instid1(VALU_DEP_1)
	v_fma_f64 v[51:52], v[53:54], v[41:42], v[51:52]
	v_fma_f64 v[53:54], -v[51:52], v[51:52], v[39:40]
	s_delay_alu instid0(VALU_DEP_1) | instskip(NEXT) | instid1(VALU_DEP_1)
	v_fma_f64 v[41:42], v[53:54], v[41:42], v[51:52]
	v_ldexp_f64 v[41:42], v[41:42], v2
	s_delay_alu instid0(VALU_DEP_1) | instskip(NEXT) | instid1(VALU_DEP_1)
	v_dual_cndmask_b32 v39, v41, v39 :: v_dual_cndmask_b32 v40, v42, v40
	v_div_scale_f64 v[41:42], null, v[39:40], v[39:40], 1.0
	s_delay_alu instid0(VALU_DEP_1) | instskip(SKIP_2) | instid1(VALU_DEP_1)
	v_rcp_f64_e32 v[51:52], v[41:42]
	s_waitcnt_depctr 0xfff
	v_fma_f64 v[53:54], -v[41:42], v[51:52], 1.0
	v_fma_f64 v[51:52], v[51:52], v[53:54], v[51:52]
	s_delay_alu instid0(VALU_DEP_1) | instskip(NEXT) | instid1(VALU_DEP_1)
	v_fma_f64 v[53:54], -v[41:42], v[51:52], 1.0
	v_fma_f64 v[51:52], v[51:52], v[53:54], v[51:52]
	v_div_scale_f64 v[53:54], vcc_lo, 1.0, v[39:40], 1.0
	s_delay_alu instid0(VALU_DEP_1) | instskip(NEXT) | instid1(VALU_DEP_1)
	v_mul_f64 v[55:56], v[53:54], v[51:52]
	v_fma_f64 v[41:42], -v[41:42], v[55:56], v[53:54]
	s_delay_alu instid0(VALU_DEP_1) | instskip(NEXT) | instid1(VALU_DEP_1)
	v_div_fmas_f64 v[41:42], v[41:42], v[51:52], v[55:56]
	v_div_fixup_f64 v[53:54], v[41:42], v[39:40], 1.0
	s_delay_alu instid0(VALU_DEP_1)
	v_mul_f64 v[41:42], v[37:38], v[53:54]
.LBB192_75:                             ;   in Loop: Header=BB192_53 Depth=2
	s_or_b32 exec_lo, exec_lo, s64
.LBB192_76:                             ;   in Loop: Header=BB192_53 Depth=2
	s_delay_alu instid0(SALU_CYCLE_1)
	s_or_b32 exec_lo, exec_lo, s63
.LBB192_77:                             ;   in Loop: Header=BB192_53 Depth=2
	s_delay_alu instid0(SALU_CYCLE_1)
	s_or_b32 exec_lo, exec_lo, s62
	global_load_b64 v[37:38], v[43:44], off offset:-8
	v_add_f64 v[39:40], v[41:42], v[41:42]
	s_mov_b32 s71, exec_lo
	s_waitcnt vmcnt(0)
	v_add_f64 v[37:38], v[37:38], -v[49:50]
	s_delay_alu instid0(VALU_DEP_1) | instskip(NEXT) | instid1(VALU_DEP_1)
	v_mul_f64 v[37:38], v[53:54], v[37:38]
	v_fma_f64 v[37:38], v[45:46], v[39:40], -v[37:38]
	s_delay_alu instid0(VALU_DEP_1)
	v_mul_f64 v[39:40], v[37:38], -v[53:54]
	v_fma_f64 v[49:50], v[37:38], -v[53:54], v[49:50]
	v_fma_f64 v[37:38], v[41:42], v[37:38], -v[45:46]
	v_add_co_u32 v46, vcc_lo, s46, v47
	v_add_co_ci_u32_e32 v47, vcc_lo, s47, v48, vcc_lo
	v_add_nc_u32_e32 v45, -1, v1
	s_delay_alu instid0(VALU_DEP_3) | instskip(NEXT) | instid1(VALU_DEP_3)
	v_add_co_u32 v51, vcc_lo, v46, s48
	v_add_co_ci_u32_e32 v52, vcc_lo, s49, v47, vcc_lo
	ds_store_b64 v8, v[39:40]
	global_store_b64 v[43:44], v[49:50], off
	s_clause 0x1
	global_store_b64 v[46:47], v[41:42], off
	global_store_b64 v[51:52], v[53:54], off offset:-8
	v_cmpx_gt_i32_e64 v45, v34
	s_cbranch_execz .LBB192_93
; %bb.78:                               ;   in Loop: Header=BB192_53 Depth=2
	v_ashrrev_i32_e32 v46, 31, v45
	v_xor_b32_e32 v54, 0x80000000, v54
	s_mov_b32 s72, -1
	s_mov_b32 s73, 0
	s_mov_b64 s[62:63], s[44:45]
	v_lshlrev_b64 v[43:44], 3, v[45:46]
	s_mov_b64 s[64:65], s[18:19]
	s_mov_b64 s[66:67], s[52:53]
	;; [unrolled: 1-line block ×3, first 2 shown]
	s_branch .LBB192_80
.LBB192_79:                             ;   in Loop: Header=BB192_80 Depth=3
	v_add_co_u32 v60, vcc_lo, s64, v43
	v_add_co_ci_u32_e32 v61, vcc_lo, s65, v44, vcc_lo
	v_mul_f64 v[41:42], v[41:42], v[45:46]
	v_add_f64 v[45:46], v[55:56], v[55:56]
	v_xor_b32_e32 v54, 0x80000000, v52
	global_load_b128 v[47:50], v[60:61], off offset:-8
	v_mov_b32_e32 v53, v51
	s_waitcnt vmcnt(0)
	v_add_f64 v[37:38], v[49:50], -v[39:40]
	s_delay_alu instid0(VALU_DEP_1) | instskip(NEXT) | instid1(VALU_DEP_1)
	v_add_f64 v[39:40], v[47:48], -v[37:38]
	v_mul_f64 v[39:40], v[51:52], v[39:40]
	s_delay_alu instid0(VALU_DEP_1) | instskip(NEXT) | instid1(VALU_DEP_1)
	v_fma_f64 v[45:46], v[41:42], v[45:46], -v[39:40]
	v_fma_f64 v[47:48], v[45:46], -v[51:52], v[37:38]
	v_mul_f64 v[39:40], v[45:46], -v[51:52]
	v_fma_f64 v[37:38], v[55:56], v[45:46], -v[41:42]
	v_add_co_u32 v45, vcc_lo, s68, v43
	v_add_co_ci_u32_e32 v46, vcc_lo, s69, v44, vcc_lo
	s_add_u32 s68, s68, -8
	v_add_co_u32 v49, vcc_lo, s66, v43
	s_addc_u32 s69, s69, -1
	s_add_u32 s66, s66, -8
	v_add_co_ci_u32_e32 v50, vcc_lo, s67, v44, vcc_lo
	s_addc_u32 s67, s67, -1
	s_add_i32 s72, s72, -1
	s_add_u32 s64, s64, -8
	v_dual_mov_b32 v41, v55 :: v_dual_add_nc_u32 v2, s72, v1
	v_mov_b32_e32 v42, v56
	s_addc_u32 s65, s65, -1
	s_add_u32 s62, s62, -8
	s_delay_alu instid0(VALU_DEP_2)
	v_cmp_le_i32_e32 vcc_lo, v2, v34
	s_addc_u32 s63, s63, -1
	global_store_b64 v[60:61], v[47:48], off
	global_store_b64 v[45:46], v[55:56], off
	;; [unrolled: 1-line block ×3, first 2 shown]
	s_or_b32 s73, vcc_lo, s73
	s_delay_alu instid0(SALU_CYCLE_1)
	s_and_not1_b32 exec_lo, exec_lo, s73
	s_cbranch_execz .LBB192_92
.LBB192_80:                             ;   Parent Loop BB192_7 Depth=1
                                        ;     Parent Loop BB192_53 Depth=2
                                        ; =>    This Inner Loop Header: Depth=3
	s_delay_alu instid0(VALU_DEP_1)
	v_add_co_u32 v47, vcc_lo, s62, v43
	v_add_co_ci_u32_e32 v48, vcc_lo, s63, v44, vcc_lo
	v_mov_b32_e32 v55, 0
	v_dual_mov_b32 v56, 0x3ff00000 :: v_dual_mov_b32 v51, 0
	global_load_b64 v[45:46], v[47:48], off
	v_mov_b32_e32 v52, 0
	s_mov_b32 s87, exec_lo
	s_waitcnt vmcnt(0)
	v_mul_f64 v[49:50], v[53:54], v[45:46]
	s_delay_alu instid0(VALU_DEP_1)
	v_cmpx_neq_f64_e32 0, v[49:50]
	s_cbranch_execz .LBB192_90
; %bb.81:                               ;   in Loop: Header=BB192_80 Depth=3
	s_mov_b32 s88, exec_lo
                                        ; implicit-def: $vgpr51_vgpr52
                                        ; implicit-def: $vgpr55_vgpr56
	v_cmpx_neq_f64_e32 0, v[37:38]
	s_xor_b32 s88, exec_lo, s88
	s_cbranch_execz .LBB192_87
; %bb.82:                               ;   in Loop: Header=BB192_80 Depth=3
	v_cmp_ngt_f64_e64 s89, |v[49:50]|, |v[37:38]|
                                        ; implicit-def: $vgpr51_vgpr52
                                        ; implicit-def: $vgpr55_vgpr56
	s_delay_alu instid0(VALU_DEP_1) | instskip(NEXT) | instid1(SALU_CYCLE_1)
	s_and_saveexec_b32 s90, s89
	s_xor_b32 s89, exec_lo, s90
	s_cbranch_execz .LBB192_84
; %bb.83:                               ;   in Loop: Header=BB192_80 Depth=3
	v_div_scale_f64 v[51:52], null, v[37:38], v[37:38], -v[49:50]
	v_div_scale_f64 v[60:61], vcc_lo, -v[49:50], v[37:38], -v[49:50]
	s_delay_alu instid0(VALU_DEP_2) | instskip(SKIP_2) | instid1(VALU_DEP_1)
	v_rcp_f64_e32 v[53:54], v[51:52]
	s_waitcnt_depctr 0xfff
	v_fma_f64 v[55:56], -v[51:52], v[53:54], 1.0
	v_fma_f64 v[53:54], v[53:54], v[55:56], v[53:54]
	s_delay_alu instid0(VALU_DEP_1) | instskip(NEXT) | instid1(VALU_DEP_1)
	v_fma_f64 v[55:56], -v[51:52], v[53:54], 1.0
	v_fma_f64 v[53:54], v[53:54], v[55:56], v[53:54]
	s_delay_alu instid0(VALU_DEP_1) | instskip(NEXT) | instid1(VALU_DEP_1)
	v_mul_f64 v[55:56], v[60:61], v[53:54]
	v_fma_f64 v[51:52], -v[51:52], v[55:56], v[60:61]
	s_delay_alu instid0(VALU_DEP_1) | instskip(NEXT) | instid1(VALU_DEP_1)
	v_div_fmas_f64 v[51:52], v[51:52], v[53:54], v[55:56]
	v_div_fixup_f64 v[51:52], v[51:52], v[37:38], -v[49:50]
	s_delay_alu instid0(VALU_DEP_1) | instskip(NEXT) | instid1(VALU_DEP_1)
	v_fma_f64 v[53:54], v[51:52], v[51:52], 1.0
	v_cmp_gt_f64_e32 vcc_lo, 0x10000000, v[53:54]
	v_cndmask_b32_e64 v2, 0, 1, vcc_lo
	s_delay_alu instid0(VALU_DEP_1) | instskip(NEXT) | instid1(VALU_DEP_1)
	v_lshlrev_b32_e32 v2, 8, v2
	v_ldexp_f64 v[53:54], v[53:54], v2
	v_cndmask_b32_e64 v2, 0, 0xffffff80, vcc_lo
	s_delay_alu instid0(VALU_DEP_2) | instskip(SKIP_4) | instid1(VALU_DEP_1)
	v_rsq_f64_e32 v[55:56], v[53:54]
	v_cmp_class_f64_e64 vcc_lo, v[53:54], 0x260
	s_waitcnt_depctr 0xfff
	v_mul_f64 v[60:61], v[53:54], v[55:56]
	v_mul_f64 v[55:56], v[55:56], 0.5
	v_fma_f64 v[62:63], -v[55:56], v[60:61], 0.5
	s_delay_alu instid0(VALU_DEP_1) | instskip(SKIP_1) | instid1(VALU_DEP_2)
	v_fma_f64 v[60:61], v[60:61], v[62:63], v[60:61]
	v_fma_f64 v[55:56], v[55:56], v[62:63], v[55:56]
	v_fma_f64 v[62:63], -v[60:61], v[60:61], v[53:54]
	s_delay_alu instid0(VALU_DEP_1) | instskip(NEXT) | instid1(VALU_DEP_1)
	v_fma_f64 v[60:61], v[62:63], v[55:56], v[60:61]
	v_fma_f64 v[62:63], -v[60:61], v[60:61], v[53:54]
	s_delay_alu instid0(VALU_DEP_1) | instskip(NEXT) | instid1(VALU_DEP_1)
	v_fma_f64 v[55:56], v[62:63], v[55:56], v[60:61]
	v_ldexp_f64 v[55:56], v[55:56], v2
	s_delay_alu instid0(VALU_DEP_1) | instskip(NEXT) | instid1(VALU_DEP_1)
	v_dual_cndmask_b32 v53, v55, v53 :: v_dual_cndmask_b32 v54, v56, v54
	v_div_scale_f64 v[55:56], null, v[53:54], v[53:54], 1.0
	s_delay_alu instid0(VALU_DEP_1) | instskip(SKIP_2) | instid1(VALU_DEP_1)
	v_rcp_f64_e32 v[60:61], v[55:56]
	s_waitcnt_depctr 0xfff
	v_fma_f64 v[62:63], -v[55:56], v[60:61], 1.0
	v_fma_f64 v[60:61], v[60:61], v[62:63], v[60:61]
	s_delay_alu instid0(VALU_DEP_1) | instskip(NEXT) | instid1(VALU_DEP_1)
	v_fma_f64 v[62:63], -v[55:56], v[60:61], 1.0
	v_fma_f64 v[60:61], v[60:61], v[62:63], v[60:61]
	v_div_scale_f64 v[62:63], vcc_lo, 1.0, v[53:54], 1.0
	s_delay_alu instid0(VALU_DEP_1) | instskip(NEXT) | instid1(VALU_DEP_1)
	v_mul_f64 v[64:65], v[62:63], v[60:61]
	v_fma_f64 v[55:56], -v[55:56], v[64:65], v[62:63]
	s_delay_alu instid0(VALU_DEP_1) | instskip(NEXT) | instid1(VALU_DEP_1)
	v_div_fmas_f64 v[55:56], v[55:56], v[60:61], v[64:65]
	v_div_fixup_f64 v[55:56], v[55:56], v[53:54], 1.0
	s_delay_alu instid0(VALU_DEP_1)
	v_mul_f64 v[51:52], v[51:52], v[55:56]
.LBB192_84:                             ;   in Loop: Header=BB192_80 Depth=3
	s_and_not1_saveexec_b32 s89, s89
	s_cbranch_execz .LBB192_86
; %bb.85:                               ;   in Loop: Header=BB192_80 Depth=3
	v_div_scale_f64 v[51:52], null, v[49:50], v[49:50], -v[37:38]
	v_div_scale_f64 v[60:61], vcc_lo, -v[37:38], v[49:50], -v[37:38]
	s_delay_alu instid0(VALU_DEP_2) | instskip(SKIP_2) | instid1(VALU_DEP_1)
	v_rcp_f64_e32 v[53:54], v[51:52]
	s_waitcnt_depctr 0xfff
	v_fma_f64 v[55:56], -v[51:52], v[53:54], 1.0
	v_fma_f64 v[53:54], v[53:54], v[55:56], v[53:54]
	s_delay_alu instid0(VALU_DEP_1) | instskip(NEXT) | instid1(VALU_DEP_1)
	v_fma_f64 v[55:56], -v[51:52], v[53:54], 1.0
	v_fma_f64 v[53:54], v[53:54], v[55:56], v[53:54]
	s_delay_alu instid0(VALU_DEP_1) | instskip(NEXT) | instid1(VALU_DEP_1)
	v_mul_f64 v[55:56], v[60:61], v[53:54]
	v_fma_f64 v[51:52], -v[51:52], v[55:56], v[60:61]
	s_delay_alu instid0(VALU_DEP_1) | instskip(NEXT) | instid1(VALU_DEP_1)
	v_div_fmas_f64 v[51:52], v[51:52], v[53:54], v[55:56]
	v_div_fixup_f64 v[53:54], v[51:52], v[49:50], -v[37:38]
	s_delay_alu instid0(VALU_DEP_1) | instskip(NEXT) | instid1(VALU_DEP_1)
	v_fma_f64 v[51:52], v[53:54], v[53:54], 1.0
	v_cmp_gt_f64_e32 vcc_lo, 0x10000000, v[51:52]
	v_cndmask_b32_e64 v2, 0, 1, vcc_lo
	s_delay_alu instid0(VALU_DEP_1) | instskip(NEXT) | instid1(VALU_DEP_1)
	v_lshlrev_b32_e32 v2, 8, v2
	v_ldexp_f64 v[51:52], v[51:52], v2
	v_cndmask_b32_e64 v2, 0, 0xffffff80, vcc_lo
	s_delay_alu instid0(VALU_DEP_2) | instskip(SKIP_4) | instid1(VALU_DEP_1)
	v_rsq_f64_e32 v[55:56], v[51:52]
	v_cmp_class_f64_e64 vcc_lo, v[51:52], 0x260
	s_waitcnt_depctr 0xfff
	v_mul_f64 v[60:61], v[51:52], v[55:56]
	v_mul_f64 v[55:56], v[55:56], 0.5
	v_fma_f64 v[62:63], -v[55:56], v[60:61], 0.5
	s_delay_alu instid0(VALU_DEP_1) | instskip(SKIP_1) | instid1(VALU_DEP_2)
	v_fma_f64 v[60:61], v[60:61], v[62:63], v[60:61]
	v_fma_f64 v[55:56], v[55:56], v[62:63], v[55:56]
	v_fma_f64 v[62:63], -v[60:61], v[60:61], v[51:52]
	s_delay_alu instid0(VALU_DEP_1) | instskip(NEXT) | instid1(VALU_DEP_1)
	v_fma_f64 v[60:61], v[62:63], v[55:56], v[60:61]
	v_fma_f64 v[62:63], -v[60:61], v[60:61], v[51:52]
	s_delay_alu instid0(VALU_DEP_1) | instskip(NEXT) | instid1(VALU_DEP_1)
	v_fma_f64 v[55:56], v[62:63], v[55:56], v[60:61]
	v_ldexp_f64 v[55:56], v[55:56], v2
	s_delay_alu instid0(VALU_DEP_1) | instskip(NEXT) | instid1(VALU_DEP_1)
	v_dual_cndmask_b32 v51, v55, v51 :: v_dual_cndmask_b32 v52, v56, v52
	v_div_scale_f64 v[55:56], null, v[51:52], v[51:52], 1.0
	s_delay_alu instid0(VALU_DEP_1) | instskip(SKIP_2) | instid1(VALU_DEP_1)
	v_rcp_f64_e32 v[60:61], v[55:56]
	s_waitcnt_depctr 0xfff
	v_fma_f64 v[62:63], -v[55:56], v[60:61], 1.0
	v_fma_f64 v[60:61], v[60:61], v[62:63], v[60:61]
	s_delay_alu instid0(VALU_DEP_1) | instskip(NEXT) | instid1(VALU_DEP_1)
	v_fma_f64 v[62:63], -v[55:56], v[60:61], 1.0
	v_fma_f64 v[60:61], v[60:61], v[62:63], v[60:61]
	v_div_scale_f64 v[62:63], vcc_lo, 1.0, v[51:52], 1.0
	s_delay_alu instid0(VALU_DEP_1) | instskip(NEXT) | instid1(VALU_DEP_1)
	v_mul_f64 v[64:65], v[62:63], v[60:61]
	v_fma_f64 v[55:56], -v[55:56], v[64:65], v[62:63]
	s_delay_alu instid0(VALU_DEP_1) | instskip(NEXT) | instid1(VALU_DEP_1)
	v_div_fmas_f64 v[55:56], v[55:56], v[60:61], v[64:65]
	v_div_fixup_f64 v[51:52], v[55:56], v[51:52], 1.0
	s_delay_alu instid0(VALU_DEP_1)
	v_mul_f64 v[55:56], v[53:54], v[51:52]
.LBB192_86:                             ;   in Loop: Header=BB192_80 Depth=3
	s_or_b32 exec_lo, exec_lo, s89
	s_delay_alu instid0(VALU_DEP_1) | instskip(NEXT) | instid1(VALU_DEP_1)
	v_mul_f64 v[49:50], v[49:50], v[51:52]
	v_fma_f64 v[37:38], v[37:38], v[55:56], -v[49:50]
                                        ; implicit-def: $vgpr49_vgpr50
.LBB192_87:                             ;   in Loop: Header=BB192_80 Depth=3
	s_and_not1_saveexec_b32 s88, s88
; %bb.88:                               ;   in Loop: Header=BB192_80 Depth=3
	v_xor_b32_e32 v50, 0x80000000, v50
	v_mov_b32_e32 v51, 0
	v_dual_mov_b32 v52, 0x3ff00000 :: v_dual_mov_b32 v55, 0
	v_dual_mov_b32 v56, 0 :: v_dual_mov_b32 v37, v49
	s_delay_alu instid0(VALU_DEP_4)
	v_mov_b32_e32 v38, v50
; %bb.89:                               ;   in Loop: Header=BB192_80 Depth=3
	s_or_b32 exec_lo, exec_lo, s88
.LBB192_90:                             ;   in Loop: Header=BB192_80 Depth=3
	s_delay_alu instid0(SALU_CYCLE_1)
	s_or_b32 exec_lo, exec_lo, s87
	s_cmp_eq_u32 s72, 0
	s_cbranch_scc1 .LBB192_79
; %bb.91:                               ;   in Loop: Header=BB192_80 Depth=3
	global_store_b64 v[47:48], v[37:38], off offset:8
	s_branch .LBB192_79
.LBB192_92:                             ;   in Loop: Header=BB192_53 Depth=2
	s_or_b32 exec_lo, exec_lo, s73
	ds_store_b64 v8, v[39:40]
.LBB192_93:                             ;   in Loop: Header=BB192_53 Depth=2
	s_or_b32 exec_lo, exec_lo, s71
	global_load_b64 v[45:46], v[35:36], off
.LBB192_94:                             ;   in Loop: Header=BB192_53 Depth=2
	s_or_b32 exec_lo, exec_lo, s70
	s_waitcnt vmcnt(0)
	v_add_f64 v[1:2], v[45:46], -v[39:40]
                                        ; implicit-def: $vgpr34
                                        ; implicit-def: $vgpr45_vgpr46
	global_store_b64 v[35:36], v[1:2], off
	global_store_b64 v[3:4], v[37:38], off
                                        ; implicit-def: $vgpr37_vgpr38
                                        ; implicit-def: $vgpr35_vgpr36
.LBB192_95:                             ;   in Loop: Header=BB192_53 Depth=2
	s_and_not1_saveexec_b32 s62, s5
	s_cbranch_execz .LBB192_132
; %bb.96:                               ;   in Loop: Header=BB192_53 Depth=2
	v_add_co_u32 v39, vcc_lo, s10, v37
	v_add_co_ci_u32_e32 v40, vcc_lo, s74, v38, vcc_lo
                                        ; implicit-def: $vgpr49_vgpr50
	global_load_b64 v[1:2], v[35:36], off offset:8
	global_load_b64 v[47:48], v[39:40], off
	s_waitcnt vmcnt(1)
	v_add_f64 v[43:44], v[45:46], -v[1:2]
	s_waitcnt vmcnt(0)
	v_add_f64 v[41:42], v[47:48], v[47:48]
	s_delay_alu instid0(VALU_DEP_1) | instskip(NEXT) | instid1(VALU_DEP_1)
	v_cmp_ngt_f64_e64 s5, |v[43:44]|, |v[41:42]|
	s_and_saveexec_b32 s63, s5
	s_delay_alu instid0(SALU_CYCLE_1)
	s_xor_b32 s5, exec_lo, s63
	s_cbranch_execz .LBB192_102
; %bb.97:                               ;   in Loop: Header=BB192_53 Depth=2
	v_cmp_nlt_f64_e64 s63, |v[43:44]|, |v[41:42]|
                                        ; implicit-def: $vgpr49_vgpr50
	s_delay_alu instid0(VALU_DEP_1) | instskip(NEXT) | instid1(SALU_CYCLE_1)
	s_and_saveexec_b32 s64, s63
	s_xor_b32 s63, exec_lo, s64
; %bb.98:                               ;   in Loop: Header=BB192_53 Depth=2
	v_mul_f64 v[49:50], |v[41:42]|, s[58:59]
; %bb.99:                               ;   in Loop: Header=BB192_53 Depth=2
	s_and_not1_saveexec_b32 s63, s63
	s_cbranch_execz .LBB192_101
; %bb.100:                              ;   in Loop: Header=BB192_53 Depth=2
	v_dual_mov_b32 v3, v43 :: v_dual_and_b32 v4, 0x7fffffff, v44
	v_dual_mov_b32 v49, v41 :: v_dual_and_b32 v50, 0x7fffffff, v42
	s_delay_alu instid0(VALU_DEP_1) | instskip(SKIP_1) | instid1(VALU_DEP_2)
	v_div_scale_f64 v[51:52], null, v[49:50], v[49:50], v[3:4]
	v_div_scale_f64 v[3:4], vcc_lo, v[3:4], v[49:50], v[3:4]
	v_rcp_f64_e32 v[53:54], v[51:52]
	s_waitcnt_depctr 0xfff
	v_fma_f64 v[55:56], -v[51:52], v[53:54], 1.0
	s_delay_alu instid0(VALU_DEP_1) | instskip(NEXT) | instid1(VALU_DEP_1)
	v_fma_f64 v[53:54], v[53:54], v[55:56], v[53:54]
	v_fma_f64 v[55:56], -v[51:52], v[53:54], 1.0
	s_delay_alu instid0(VALU_DEP_1) | instskip(NEXT) | instid1(VALU_DEP_1)
	v_fma_f64 v[49:50], v[53:54], v[55:56], v[53:54]
	v_mul_f64 v[53:54], v[3:4], v[49:50]
	s_delay_alu instid0(VALU_DEP_1) | instskip(NEXT) | instid1(VALU_DEP_1)
	v_fma_f64 v[3:4], -v[51:52], v[53:54], v[3:4]
	v_div_fmas_f64 v[3:4], v[3:4], v[49:50], v[53:54]
	s_delay_alu instid0(VALU_DEP_1) | instskip(NEXT) | instid1(VALU_DEP_1)
	v_div_fixup_f64 v[3:4], v[3:4], |v[41:42]|, |v[43:44]|
	v_fma_f64 v[3:4], v[3:4], v[3:4], 1.0
	s_delay_alu instid0(VALU_DEP_1) | instskip(SKIP_1) | instid1(VALU_DEP_1)
	v_cmp_gt_f64_e32 vcc_lo, 0x10000000, v[3:4]
	v_cndmask_b32_e64 v9, 0, 1, vcc_lo
	v_lshlrev_b32_e32 v9, 8, v9
	s_delay_alu instid0(VALU_DEP_1) | instskip(SKIP_1) | instid1(VALU_DEP_2)
	v_ldexp_f64 v[3:4], v[3:4], v9
	v_cndmask_b32_e64 v9, 0, 0xffffff80, vcc_lo
	v_rsq_f64_e32 v[49:50], v[3:4]
	v_cmp_class_f64_e64 vcc_lo, v[3:4], 0x260
	s_waitcnt_depctr 0xfff
	v_mul_f64 v[51:52], v[3:4], v[49:50]
	v_mul_f64 v[49:50], v[49:50], 0.5
	s_delay_alu instid0(VALU_DEP_1) | instskip(NEXT) | instid1(VALU_DEP_1)
	v_fma_f64 v[53:54], -v[49:50], v[51:52], 0.5
	v_fma_f64 v[51:52], v[51:52], v[53:54], v[51:52]
	v_fma_f64 v[49:50], v[49:50], v[53:54], v[49:50]
	s_delay_alu instid0(VALU_DEP_2) | instskip(NEXT) | instid1(VALU_DEP_1)
	v_fma_f64 v[53:54], -v[51:52], v[51:52], v[3:4]
	v_fma_f64 v[51:52], v[53:54], v[49:50], v[51:52]
	s_delay_alu instid0(VALU_DEP_1) | instskip(NEXT) | instid1(VALU_DEP_1)
	v_fma_f64 v[53:54], -v[51:52], v[51:52], v[3:4]
	v_fma_f64 v[49:50], v[53:54], v[49:50], v[51:52]
	s_delay_alu instid0(VALU_DEP_1) | instskip(NEXT) | instid1(VALU_DEP_1)
	v_ldexp_f64 v[49:50], v[49:50], v9
	v_dual_cndmask_b32 v4, v50, v4 :: v_dual_cndmask_b32 v3, v49, v3
	s_delay_alu instid0(VALU_DEP_1)
	v_mul_f64 v[49:50], |v[41:42]|, v[3:4]
.LBB192_101:                            ;   in Loop: Header=BB192_53 Depth=2
	s_or_b32 exec_lo, exec_lo, s63
.LBB192_102:                            ;   in Loop: Header=BB192_53 Depth=2
	s_and_not1_saveexec_b32 s5, s5
	s_cbranch_execz .LBB192_104
; %bb.103:                              ;   in Loop: Header=BB192_53 Depth=2
	v_dual_mov_b32 v3, v41 :: v_dual_and_b32 v4, 0x7fffffff, v42
	v_dual_mov_b32 v49, v43 :: v_dual_and_b32 v50, 0x7fffffff, v44
	s_delay_alu instid0(VALU_DEP_1) | instskip(SKIP_1) | instid1(VALU_DEP_2)
	v_div_scale_f64 v[51:52], null, v[49:50], v[49:50], v[3:4]
	v_div_scale_f64 v[3:4], vcc_lo, v[3:4], v[49:50], v[3:4]
	v_rcp_f64_e32 v[53:54], v[51:52]
	s_waitcnt_depctr 0xfff
	v_fma_f64 v[55:56], -v[51:52], v[53:54], 1.0
	s_delay_alu instid0(VALU_DEP_1) | instskip(NEXT) | instid1(VALU_DEP_1)
	v_fma_f64 v[53:54], v[53:54], v[55:56], v[53:54]
	v_fma_f64 v[55:56], -v[51:52], v[53:54], 1.0
	s_delay_alu instid0(VALU_DEP_1) | instskip(NEXT) | instid1(VALU_DEP_1)
	v_fma_f64 v[49:50], v[53:54], v[55:56], v[53:54]
	v_mul_f64 v[53:54], v[3:4], v[49:50]
	s_delay_alu instid0(VALU_DEP_1) | instskip(NEXT) | instid1(VALU_DEP_1)
	v_fma_f64 v[3:4], -v[51:52], v[53:54], v[3:4]
	v_div_fmas_f64 v[3:4], v[3:4], v[49:50], v[53:54]
	s_delay_alu instid0(VALU_DEP_1) | instskip(NEXT) | instid1(VALU_DEP_1)
	v_div_fixup_f64 v[3:4], v[3:4], |v[43:44]|, |v[41:42]|
	v_fma_f64 v[3:4], v[3:4], v[3:4], 1.0
	s_delay_alu instid0(VALU_DEP_1) | instskip(SKIP_1) | instid1(VALU_DEP_1)
	v_cmp_gt_f64_e32 vcc_lo, 0x10000000, v[3:4]
	v_cndmask_b32_e64 v9, 0, 1, vcc_lo
	v_lshlrev_b32_e32 v9, 8, v9
	s_delay_alu instid0(VALU_DEP_1) | instskip(SKIP_1) | instid1(VALU_DEP_2)
	v_ldexp_f64 v[3:4], v[3:4], v9
	v_cndmask_b32_e64 v9, 0, 0xffffff80, vcc_lo
	v_rsq_f64_e32 v[49:50], v[3:4]
	v_cmp_class_f64_e64 vcc_lo, v[3:4], 0x260
	s_waitcnt_depctr 0xfff
	v_mul_f64 v[51:52], v[3:4], v[49:50]
	v_mul_f64 v[49:50], v[49:50], 0.5
	s_delay_alu instid0(VALU_DEP_1) | instskip(NEXT) | instid1(VALU_DEP_1)
	v_fma_f64 v[53:54], -v[49:50], v[51:52], 0.5
	v_fma_f64 v[51:52], v[51:52], v[53:54], v[51:52]
	v_fma_f64 v[49:50], v[49:50], v[53:54], v[49:50]
	s_delay_alu instid0(VALU_DEP_2) | instskip(NEXT) | instid1(VALU_DEP_1)
	v_fma_f64 v[53:54], -v[51:52], v[51:52], v[3:4]
	v_fma_f64 v[51:52], v[53:54], v[49:50], v[51:52]
	s_delay_alu instid0(VALU_DEP_1) | instskip(NEXT) | instid1(VALU_DEP_1)
	v_fma_f64 v[53:54], -v[51:52], v[51:52], v[3:4]
	v_fma_f64 v[49:50], v[53:54], v[49:50], v[51:52]
	s_delay_alu instid0(VALU_DEP_1) | instskip(NEXT) | instid1(VALU_DEP_1)
	v_ldexp_f64 v[49:50], v[49:50], v9
	v_dual_cndmask_b32 v4, v50, v4 :: v_dual_cndmask_b32 v3, v49, v3
	s_delay_alu instid0(VALU_DEP_1)
	v_mul_f64 v[49:50], |v[43:44]|, v[3:4]
.LBB192_104:                            ;   in Loop: Header=BB192_53 Depth=2
	s_or_b32 exec_lo, exec_lo, s5
	v_cmp_gt_f64_e64 vcc_lo, |v[45:46]|, |v[1:2]|
	v_add_f64 v[53:54], v[45:46], v[1:2]
	s_mov_b32 s63, exec_lo
                                        ; implicit-def: $vgpr9
                                        ; implicit-def: $vgpr3_vgpr4
	v_dual_cndmask_b32 v52, v46, v2 :: v_dual_cndmask_b32 v51, v45, v1
	v_dual_cndmask_b32 v46, v2, v46 :: v_dual_cndmask_b32 v45, v1, v45
	s_delay_alu instid0(VALU_DEP_3)
	v_cmpx_ngt_f64_e32 0, v[53:54]
	s_xor_b32 s63, exec_lo, s63
	s_cbranch_execz .LBB192_110
; %bb.105:                              ;   in Loop: Header=BB192_53 Depth=2
	s_mov_b32 s64, exec_lo
                                        ; implicit-def: $sgpr5
                                        ; implicit-def: $vgpr3_vgpr4
	v_cmpx_nlt_f64_e32 0, v[53:54]
	s_xor_b32 s64, exec_lo, s64
; %bb.106:                              ;   in Loop: Header=BB192_53 Depth=2
	v_mul_f64 v[1:2], v[49:50], 0.5
	v_mul_f64 v[3:4], v[49:50], -0.5
	s_mov_b32 s5, 1
                                        ; implicit-def: $vgpr53_vgpr54
                                        ; implicit-def: $vgpr45_vgpr46
                                        ; implicit-def: $vgpr47_vgpr48
                                        ; implicit-def: $vgpr51_vgpr52
; %bb.107:                              ;   in Loop: Header=BB192_53 Depth=2
	s_or_saveexec_b32 s64, s64
	v_mov_b32_e32 v9, s5
	s_xor_b32 exec_lo, exec_lo, s64
	s_cbranch_execz .LBB192_109
; %bb.108:                              ;   in Loop: Header=BB192_53 Depth=2
	v_add_f64 v[1:2], v[53:54], v[49:50]
	v_mov_b32_e32 v9, 1
	s_delay_alu instid0(VALU_DEP_2) | instskip(NEXT) | instid1(VALU_DEP_1)
	v_mul_f64 v[1:2], v[1:2], 0.5
	v_div_scale_f64 v[3:4], null, v[1:2], v[1:2], v[45:46]
	v_div_scale_f64 v[53:54], null, v[1:2], v[1:2], v[47:48]
	v_div_scale_f64 v[66:67], vcc_lo, v[45:46], v[1:2], v[45:46]
	s_delay_alu instid0(VALU_DEP_3) | instskip(NEXT) | instid1(VALU_DEP_2)
	v_rcp_f64_e32 v[55:56], v[3:4]
	v_rcp_f64_e32 v[60:61], v[53:54]
	s_waitcnt_depctr 0xfff
	v_fma_f64 v[62:63], -v[3:4], v[55:56], 1.0
	v_fma_f64 v[64:65], -v[53:54], v[60:61], 1.0
	s_delay_alu instid0(VALU_DEP_2) | instskip(NEXT) | instid1(VALU_DEP_2)
	v_fma_f64 v[55:56], v[55:56], v[62:63], v[55:56]
	v_fma_f64 v[60:61], v[60:61], v[64:65], v[60:61]
	s_delay_alu instid0(VALU_DEP_2) | instskip(NEXT) | instid1(VALU_DEP_2)
	v_fma_f64 v[62:63], -v[3:4], v[55:56], 1.0
	v_fma_f64 v[64:65], -v[53:54], v[60:61], 1.0
	s_delay_alu instid0(VALU_DEP_2) | instskip(SKIP_1) | instid1(VALU_DEP_3)
	v_fma_f64 v[55:56], v[55:56], v[62:63], v[55:56]
	v_div_scale_f64 v[62:63], s5, v[47:48], v[1:2], v[47:48]
	v_fma_f64 v[60:61], v[60:61], v[64:65], v[60:61]
	s_delay_alu instid0(VALU_DEP_3) | instskip(NEXT) | instid1(VALU_DEP_2)
	v_mul_f64 v[64:65], v[66:67], v[55:56]
	v_mul_f64 v[68:69], v[62:63], v[60:61]
	s_delay_alu instid0(VALU_DEP_2) | instskip(NEXT) | instid1(VALU_DEP_2)
	v_fma_f64 v[3:4], -v[3:4], v[64:65], v[66:67]
	v_fma_f64 v[53:54], -v[53:54], v[68:69], v[62:63]
	s_delay_alu instid0(VALU_DEP_2) | instskip(SKIP_1) | instid1(VALU_DEP_2)
	v_div_fmas_f64 v[3:4], v[3:4], v[55:56], v[64:65]
	s_mov_b32 vcc_lo, s5
	v_div_fmas_f64 v[53:54], v[53:54], v[60:61], v[68:69]
	s_delay_alu instid0(VALU_DEP_2) | instskip(NEXT) | instid1(VALU_DEP_2)
	v_div_fixup_f64 v[3:4], v[3:4], v[1:2], v[45:46]
	v_div_fixup_f64 v[53:54], v[53:54], v[1:2], v[47:48]
	s_delay_alu instid0(VALU_DEP_1) | instskip(NEXT) | instid1(VALU_DEP_1)
	v_mul_f64 v[45:46], v[47:48], v[53:54]
	v_fma_f64 v[3:4], v[51:52], v[3:4], -v[45:46]
.LBB192_109:                            ;   in Loop: Header=BB192_53 Depth=2
	s_or_b32 exec_lo, exec_lo, s64
                                        ; implicit-def: $vgpr53_vgpr54
                                        ; implicit-def: $vgpr45_vgpr46
                                        ; implicit-def: $vgpr47_vgpr48
                                        ; implicit-def: $vgpr51_vgpr52
.LBB192_110:                            ;   in Loop: Header=BB192_53 Depth=2
	s_and_not1_saveexec_b32 s63, s63
	s_cbranch_execz .LBB192_112
; %bb.111:                              ;   in Loop: Header=BB192_53 Depth=2
	v_add_f64 v[1:2], v[53:54], -v[49:50]
	v_mov_b32_e32 v9, -1
	s_delay_alu instid0(VALU_DEP_2) | instskip(NEXT) | instid1(VALU_DEP_1)
	v_mul_f64 v[1:2], v[1:2], 0.5
	v_div_scale_f64 v[3:4], null, v[1:2], v[1:2], v[45:46]
	v_div_scale_f64 v[53:54], null, v[1:2], v[1:2], v[47:48]
	v_div_scale_f64 v[66:67], vcc_lo, v[45:46], v[1:2], v[45:46]
	s_delay_alu instid0(VALU_DEP_3) | instskip(NEXT) | instid1(VALU_DEP_2)
	v_rcp_f64_e32 v[55:56], v[3:4]
	v_rcp_f64_e32 v[60:61], v[53:54]
	s_waitcnt_depctr 0xfff
	v_fma_f64 v[62:63], -v[3:4], v[55:56], 1.0
	v_fma_f64 v[64:65], -v[53:54], v[60:61], 1.0
	s_delay_alu instid0(VALU_DEP_2) | instskip(NEXT) | instid1(VALU_DEP_2)
	v_fma_f64 v[55:56], v[55:56], v[62:63], v[55:56]
	v_fma_f64 v[60:61], v[60:61], v[64:65], v[60:61]
	s_delay_alu instid0(VALU_DEP_2) | instskip(NEXT) | instid1(VALU_DEP_2)
	v_fma_f64 v[62:63], -v[3:4], v[55:56], 1.0
	v_fma_f64 v[64:65], -v[53:54], v[60:61], 1.0
	s_delay_alu instid0(VALU_DEP_2) | instskip(SKIP_1) | instid1(VALU_DEP_3)
	v_fma_f64 v[55:56], v[55:56], v[62:63], v[55:56]
	v_div_scale_f64 v[62:63], s5, v[47:48], v[1:2], v[47:48]
	v_fma_f64 v[60:61], v[60:61], v[64:65], v[60:61]
	s_delay_alu instid0(VALU_DEP_3) | instskip(NEXT) | instid1(VALU_DEP_2)
	v_mul_f64 v[64:65], v[66:67], v[55:56]
	v_mul_f64 v[68:69], v[62:63], v[60:61]
	s_delay_alu instid0(VALU_DEP_2) | instskip(NEXT) | instid1(VALU_DEP_2)
	v_fma_f64 v[3:4], -v[3:4], v[64:65], v[66:67]
	v_fma_f64 v[53:54], -v[53:54], v[68:69], v[62:63]
	s_delay_alu instid0(VALU_DEP_2) | instskip(SKIP_1) | instid1(VALU_DEP_2)
	v_div_fmas_f64 v[3:4], v[3:4], v[55:56], v[64:65]
	s_mov_b32 vcc_lo, s5
	v_div_fmas_f64 v[53:54], v[53:54], v[60:61], v[68:69]
	s_delay_alu instid0(VALU_DEP_2) | instskip(NEXT) | instid1(VALU_DEP_2)
	v_div_fixup_f64 v[3:4], v[3:4], v[1:2], v[45:46]
	v_div_fixup_f64 v[53:54], v[53:54], v[1:2], v[47:48]
	s_delay_alu instid0(VALU_DEP_1) | instskip(NEXT) | instid1(VALU_DEP_1)
	v_mul_f64 v[45:46], v[47:48], v[53:54]
	v_fma_f64 v[3:4], v[51:52], v[3:4], -v[45:46]
.LBB192_112:                            ;   in Loop: Header=BB192_53 Depth=2
	s_or_b32 exec_lo, exec_lo, s63
	s_delay_alu instid0(SALU_CYCLE_1)
	s_mov_b32 s63, exec_lo
                                        ; implicit-def: $vgpr45_vgpr46
                                        ; implicit-def: $sgpr5
	v_cmpx_le_f64_e32 0, v[43:44]
	s_xor_b32 s63, exec_lo, s63
; %bb.113:                              ;   in Loop: Header=BB192_53 Depth=2
	v_add_f64 v[45:46], v[43:44], v[49:50]
	s_mov_b32 s5, 1
                                        ; implicit-def: $vgpr43_vgpr44
                                        ; implicit-def: $vgpr49_vgpr50
; %bb.114:                              ;   in Loop: Header=BB192_53 Depth=2
	s_or_saveexec_b32 s63, s63
	v_mov_b32_e32 v51, s5
	s_xor_b32 exec_lo, exec_lo, s63
; %bb.115:                              ;   in Loop: Header=BB192_53 Depth=2
	v_add_f64 v[45:46], v[43:44], -v[49:50]
	v_mov_b32_e32 v51, -1
; %bb.116:                              ;   in Loop: Header=BB192_53 Depth=2
	s_or_b32 exec_lo, exec_lo, s63
	s_delay_alu instid0(VALU_DEP_2) | instskip(NEXT) | instid1(VALU_DEP_1)
	v_cmp_ngt_f64_e64 s5, |v[45:46]|, |v[41:42]|
                                        ; implicit-def: $vgpr43_vgpr44
                                        ; implicit-def: $vgpr47_vgpr48
	s_and_saveexec_b32 s63, s5
	s_delay_alu instid0(SALU_CYCLE_1)
	s_xor_b32 s5, exec_lo, s63
	s_cbranch_execz .LBB192_120
; %bb.117:                              ;   in Loop: Header=BB192_53 Depth=2
	v_mov_b32_e32 v43, 0
	v_dual_mov_b32 v44, 0x3ff00000 :: v_dual_mov_b32 v47, 0
	v_mov_b32_e32 v48, 0
	s_mov_b32 s63, exec_lo
	v_cmpx_neq_f64_e32 0, v[41:42]
	s_cbranch_execz .LBB192_119
; %bb.118:                              ;   in Loop: Header=BB192_53 Depth=2
	v_div_scale_f64 v[43:44], null, v[41:42], v[41:42], -v[45:46]
	v_div_scale_f64 v[52:53], vcc_lo, -v[45:46], v[41:42], -v[45:46]
	s_delay_alu instid0(VALU_DEP_2) | instskip(SKIP_2) | instid1(VALU_DEP_1)
	v_rcp_f64_e32 v[47:48], v[43:44]
	s_waitcnt_depctr 0xfff
	v_fma_f64 v[49:50], -v[43:44], v[47:48], 1.0
	v_fma_f64 v[47:48], v[47:48], v[49:50], v[47:48]
	s_delay_alu instid0(VALU_DEP_1) | instskip(NEXT) | instid1(VALU_DEP_1)
	v_fma_f64 v[49:50], -v[43:44], v[47:48], 1.0
	v_fma_f64 v[47:48], v[47:48], v[49:50], v[47:48]
	s_delay_alu instid0(VALU_DEP_1) | instskip(NEXT) | instid1(VALU_DEP_1)
	v_mul_f64 v[49:50], v[52:53], v[47:48]
	v_fma_f64 v[43:44], -v[43:44], v[49:50], v[52:53]
	s_delay_alu instid0(VALU_DEP_1) | instskip(NEXT) | instid1(VALU_DEP_1)
	v_div_fmas_f64 v[43:44], v[43:44], v[47:48], v[49:50]
	v_div_fixup_f64 v[41:42], v[43:44], v[41:42], -v[45:46]
	s_delay_alu instid0(VALU_DEP_1) | instskip(NEXT) | instid1(VALU_DEP_1)
	v_fma_f64 v[43:44], v[41:42], v[41:42], 1.0
	v_cmp_gt_f64_e32 vcc_lo, 0x10000000, v[43:44]
	v_cndmask_b32_e64 v45, 0, 1, vcc_lo
	s_delay_alu instid0(VALU_DEP_1) | instskip(NEXT) | instid1(VALU_DEP_1)
	v_lshlrev_b32_e32 v45, 8, v45
	v_ldexp_f64 v[43:44], v[43:44], v45
	s_delay_alu instid0(VALU_DEP_1) | instskip(SKIP_3) | instid1(VALU_DEP_1)
	v_rsq_f64_e32 v[45:46], v[43:44]
	s_waitcnt_depctr 0xfff
	v_mul_f64 v[47:48], v[43:44], v[45:46]
	v_mul_f64 v[45:46], v[45:46], 0.5
	v_fma_f64 v[49:50], -v[45:46], v[47:48], 0.5
	s_delay_alu instid0(VALU_DEP_1) | instskip(SKIP_1) | instid1(VALU_DEP_2)
	v_fma_f64 v[47:48], v[47:48], v[49:50], v[47:48]
	v_fma_f64 v[45:46], v[45:46], v[49:50], v[45:46]
	v_fma_f64 v[49:50], -v[47:48], v[47:48], v[43:44]
	s_delay_alu instid0(VALU_DEP_1) | instskip(NEXT) | instid1(VALU_DEP_1)
	v_fma_f64 v[47:48], v[49:50], v[45:46], v[47:48]
	v_fma_f64 v[49:50], -v[47:48], v[47:48], v[43:44]
	s_delay_alu instid0(VALU_DEP_1) | instskip(SKIP_2) | instid1(VALU_DEP_2)
	v_fma_f64 v[45:46], v[49:50], v[45:46], v[47:48]
	v_cndmask_b32_e64 v47, 0, 0xffffff80, vcc_lo
	v_cmp_class_f64_e64 vcc_lo, v[43:44], 0x260
	v_ldexp_f64 v[45:46], v[45:46], v47
	s_delay_alu instid0(VALU_DEP_1) | instskip(NEXT) | instid1(VALU_DEP_1)
	v_dual_cndmask_b32 v44, v46, v44 :: v_dual_cndmask_b32 v43, v45, v43
	v_div_scale_f64 v[45:46], null, v[43:44], v[43:44], 1.0
	s_delay_alu instid0(VALU_DEP_1) | instskip(SKIP_2) | instid1(VALU_DEP_1)
	v_rcp_f64_e32 v[47:48], v[45:46]
	s_waitcnt_depctr 0xfff
	v_fma_f64 v[49:50], -v[45:46], v[47:48], 1.0
	v_fma_f64 v[47:48], v[47:48], v[49:50], v[47:48]
	s_delay_alu instid0(VALU_DEP_1) | instskip(NEXT) | instid1(VALU_DEP_1)
	v_fma_f64 v[49:50], -v[45:46], v[47:48], 1.0
	v_fma_f64 v[47:48], v[47:48], v[49:50], v[47:48]
	v_div_scale_f64 v[49:50], vcc_lo, 1.0, v[43:44], 1.0
	s_delay_alu instid0(VALU_DEP_1) | instskip(NEXT) | instid1(VALU_DEP_1)
	v_mul_f64 v[52:53], v[49:50], v[47:48]
	v_fma_f64 v[45:46], -v[45:46], v[52:53], v[49:50]
	s_delay_alu instid0(VALU_DEP_1) | instskip(NEXT) | instid1(VALU_DEP_1)
	v_div_fmas_f64 v[45:46], v[45:46], v[47:48], v[52:53]
	v_div_fixup_f64 v[43:44], v[45:46], v[43:44], 1.0
	s_delay_alu instid0(VALU_DEP_1)
	v_mul_f64 v[47:48], v[41:42], v[43:44]
.LBB192_119:                            ;   in Loop: Header=BB192_53 Depth=2
	s_or_b32 exec_lo, exec_lo, s63
                                        ; implicit-def: $vgpr45_vgpr46
                                        ; implicit-def: $vgpr41_vgpr42
.LBB192_120:                            ;   in Loop: Header=BB192_53 Depth=2
	s_and_not1_saveexec_b32 s5, s5
	s_cbranch_execz .LBB192_122
; %bb.121:                              ;   in Loop: Header=BB192_53 Depth=2
	v_div_scale_f64 v[43:44], null, v[45:46], v[45:46], -v[41:42]
	v_div_scale_f64 v[52:53], vcc_lo, -v[41:42], v[45:46], -v[41:42]
	s_delay_alu instid0(VALU_DEP_2) | instskip(SKIP_2) | instid1(VALU_DEP_1)
	v_rcp_f64_e32 v[47:48], v[43:44]
	s_waitcnt_depctr 0xfff
	v_fma_f64 v[49:50], -v[43:44], v[47:48], 1.0
	v_fma_f64 v[47:48], v[47:48], v[49:50], v[47:48]
	s_delay_alu instid0(VALU_DEP_1) | instskip(NEXT) | instid1(VALU_DEP_1)
	v_fma_f64 v[49:50], -v[43:44], v[47:48], 1.0
	v_fma_f64 v[47:48], v[47:48], v[49:50], v[47:48]
	s_delay_alu instid0(VALU_DEP_1) | instskip(NEXT) | instid1(VALU_DEP_1)
	v_mul_f64 v[49:50], v[52:53], v[47:48]
	v_fma_f64 v[43:44], -v[43:44], v[49:50], v[52:53]
	s_delay_alu instid0(VALU_DEP_1) | instskip(NEXT) | instid1(VALU_DEP_1)
	v_div_fmas_f64 v[43:44], v[43:44], v[47:48], v[49:50]
	v_div_fixup_f64 v[41:42], v[43:44], v[45:46], -v[41:42]
	s_delay_alu instid0(VALU_DEP_1) | instskip(NEXT) | instid1(VALU_DEP_1)
	v_fma_f64 v[43:44], v[41:42], v[41:42], 1.0
	v_cmp_gt_f64_e32 vcc_lo, 0x10000000, v[43:44]
	v_cndmask_b32_e64 v45, 0, 1, vcc_lo
	s_delay_alu instid0(VALU_DEP_1) | instskip(NEXT) | instid1(VALU_DEP_1)
	v_lshlrev_b32_e32 v45, 8, v45
	v_ldexp_f64 v[43:44], v[43:44], v45
	s_delay_alu instid0(VALU_DEP_1) | instskip(SKIP_3) | instid1(VALU_DEP_1)
	v_rsq_f64_e32 v[45:46], v[43:44]
	s_waitcnt_depctr 0xfff
	v_mul_f64 v[47:48], v[43:44], v[45:46]
	v_mul_f64 v[45:46], v[45:46], 0.5
	v_fma_f64 v[49:50], -v[45:46], v[47:48], 0.5
	s_delay_alu instid0(VALU_DEP_1) | instskip(SKIP_1) | instid1(VALU_DEP_2)
	v_fma_f64 v[47:48], v[47:48], v[49:50], v[47:48]
	v_fma_f64 v[45:46], v[45:46], v[49:50], v[45:46]
	v_fma_f64 v[49:50], -v[47:48], v[47:48], v[43:44]
	s_delay_alu instid0(VALU_DEP_1) | instskip(NEXT) | instid1(VALU_DEP_1)
	v_fma_f64 v[47:48], v[49:50], v[45:46], v[47:48]
	v_fma_f64 v[49:50], -v[47:48], v[47:48], v[43:44]
	s_delay_alu instid0(VALU_DEP_1) | instskip(SKIP_2) | instid1(VALU_DEP_2)
	v_fma_f64 v[45:46], v[49:50], v[45:46], v[47:48]
	v_cndmask_b32_e64 v47, 0, 0xffffff80, vcc_lo
	v_cmp_class_f64_e64 vcc_lo, v[43:44], 0x260
	v_ldexp_f64 v[45:46], v[45:46], v47
	s_delay_alu instid0(VALU_DEP_1) | instskip(NEXT) | instid1(VALU_DEP_1)
	v_dual_cndmask_b32 v44, v46, v44 :: v_dual_cndmask_b32 v43, v45, v43
	v_div_scale_f64 v[45:46], null, v[43:44], v[43:44], 1.0
	s_delay_alu instid0(VALU_DEP_1) | instskip(SKIP_2) | instid1(VALU_DEP_1)
	v_rcp_f64_e32 v[47:48], v[45:46]
	s_waitcnt_depctr 0xfff
	v_fma_f64 v[49:50], -v[45:46], v[47:48], 1.0
	v_fma_f64 v[47:48], v[47:48], v[49:50], v[47:48]
	s_delay_alu instid0(VALU_DEP_1) | instskip(NEXT) | instid1(VALU_DEP_1)
	v_fma_f64 v[49:50], -v[45:46], v[47:48], 1.0
	v_fma_f64 v[47:48], v[47:48], v[49:50], v[47:48]
	v_div_scale_f64 v[49:50], vcc_lo, 1.0, v[43:44], 1.0
	s_delay_alu instid0(VALU_DEP_1) | instskip(NEXT) | instid1(VALU_DEP_1)
	v_mul_f64 v[52:53], v[49:50], v[47:48]
	v_fma_f64 v[45:46], -v[45:46], v[52:53], v[49:50]
	s_delay_alu instid0(VALU_DEP_1) | instskip(NEXT) | instid1(VALU_DEP_1)
	v_div_fmas_f64 v[45:46], v[45:46], v[47:48], v[52:53]
	v_div_fixup_f64 v[47:48], v[45:46], v[43:44], 1.0
	s_delay_alu instid0(VALU_DEP_1)
	v_mul_f64 v[43:44], v[41:42], v[47:48]
.LBB192_122:                            ;   in Loop: Header=BB192_53 Depth=2
	s_or_b32 exec_lo, exec_lo, s5
	v_cmp_eq_u32_e32 vcc_lo, v9, v51
	s_delay_alu instid0(VALU_DEP_2) | instskip(SKIP_1) | instid1(VALU_DEP_1)
	v_xor_b32_e32 v9, 0x80000000, v48
	v_add_co_u32 v37, s5, s77, v37
	v_add_co_ci_u32_e64 v38, s5, s78, v38, s5
	v_dual_cndmask_b32 v42, v48, v44 :: v_dual_cndmask_b32 v41, v47, v43
	s_delay_alu instid0(VALU_DEP_4) | instskip(NEXT) | instid1(VALU_DEP_4)
	v_dual_cndmask_b32 v44, v44, v9 :: v_dual_cndmask_b32 v43, v43, v47
	v_add_co_u32 v45, vcc_lo, v37, s48
	v_dual_mov_b32 v9, v8 :: v_dual_add_nc_u32 v34, 2, v34
	v_add_co_ci_u32_e32 v46, vcc_lo, s49, v38, vcc_lo
	s_clause 0x1
	global_store_b64 v[37:38], v[43:44], off
	global_store_b64 v[45:46], v[41:42], off offset:-8
	global_store_b128 v[35:36], v[1:4], off
	global_store_b64 v[39:40], v[8:9], off
	ds_store_b32 v8, v34 offset:16
	s_or_b32 exec_lo, exec_lo, s62
                                        ; implicit-def: $vgpr2
.LBB192_123:                            ;   in Loop: Header=BB192_53 Depth=2
	s_and_not1_saveexec_b32 s5, s60
	s_cbranch_execz .LBB192_125
.LBB192_124:                            ;   in Loop: Header=BB192_53 Depth=2
	ds_store_b32 v8, v2 offset:16
.LBB192_125:                            ;   in Loop: Header=BB192_53 Depth=2
	s_or_b32 exec_lo, exec_lo, s5
.LBB192_126:                            ;   in Loop: Header=BB192_53 Depth=2
	s_delay_alu instid0(SALU_CYCLE_1)
	s_or_b32 exec_lo, exec_lo, s37
	s_waitcnt lgkmcnt(0)
	s_waitcnt_vscnt null, 0x0
	s_barrier
	buffer_gl0_inv
	ds_load_b64 v[1:2], v8 offset:16
	s_waitcnt lgkmcnt(0)
	v_readfirstlane_b32 s5, v2
	s_delay_alu instid0(VALU_DEP_1)
	v_cmp_eq_u32_e32 vcc_lo, s5, v1
	v_mov_b32_e32 v34, s5
	s_cbranch_vccnz .LBB192_52
; %bb.127:                              ;   in Loop: Header=BB192_53 Depth=2
	s_and_saveexec_b32 s37, s2
	s_cbranch_execz .LBB192_51
; %bb.128:                              ;   in Loop: Header=BB192_53 Depth=2
	ds_load_b32 v1, v8 offset:28
	v_mov_b32_e32 v38, v6
	s_waitcnt lgkmcnt(0)
	v_readfirstlane_b32 s60, v1
	v_ashrrev_i32_e32 v2, 31, v1
	s_delay_alu instid0(VALU_DEP_2) | instskip(NEXT) | instid1(VALU_DEP_1)
	s_mul_i32 s62, s60, s11
	v_lshlrev_b64 v[1:2], 3, v[1:2]
	s_ashr_i32 s63, s62, 31
	s_delay_alu instid0(SALU_CYCLE_1) | instskip(NEXT) | instid1(SALU_CYCLE_1)
	s_lshl_b64 s[68:69], s[62:63], 4
	s_add_u32 s62, s75, s68
	s_addc_u32 s63, s76, s69
	s_sub_i32 s64, s5, s60
	s_delay_alu instid0(SALU_CYCLE_1) | instskip(SKIP_1) | instid1(SALU_CYCLE_1)
	s_mul_hi_i32 s67, s64, s42
	s_mul_i32 s66, s64, s42
	s_lshl_b64 s[66:67], s[66:67], 4
	s_delay_alu instid0(SALU_CYCLE_1) | instskip(SKIP_4) | instid1(SALU_CYCLE_1)
	s_add_u32 s65, s62, s66
	s_addc_u32 s66, s63, s67
	s_cmp_gt_i32 s64, 0
	s_cselect_b32 s67, -1, 0
	s_add_i32 s60, s64, -1
	s_lshl_b64 s[70:71], s[60:61], 3
	s_mul_i32 s5, s55, s60
	s_mul_hi_u32 s72, s54, s60
	s_mul_i32 s60, s54, s60
	v_add_co_u32 v1, vcc_lo, v1, s70
	s_add_i32 s72, s72, s5
	s_add_u32 s5, s60, s68
	v_add_co_ci_u32_e32 v2, vcc_lo, s71, v2, vcc_lo
	s_addc_u32 s60, s72, s69
	v_add_co_u32 v34, vcc_lo, v7, s5
	v_add_co_ci_u32_e32 v35, vcc_lo, s60, v57, vcc_lo
	v_add_co_u32 v36, vcc_lo, s77, v1
	v_add_co_ci_u32_e32 v37, vcc_lo, s78, v2, vcc_lo
	s_mov_b32 s60, 0
	s_branch .LBB192_130
.LBB192_129:                            ;   in Loop: Header=BB192_130 Depth=3
	v_add_nc_u32_e32 v38, s34, v38
	v_add_co_u32 v34, s5, v34, s56
	s_delay_alu instid0(VALU_DEP_1) | instskip(NEXT) | instid1(VALU_DEP_3)
	v_add_co_ci_u32_e64 v35, s5, s57, v35, s5
	v_cmp_le_i32_e32 vcc_lo, s6, v38
	s_waitcnt vmcnt(0)
	global_store_b128 v[39:40], v[1:4], off
	s_or_b32 s60, vcc_lo, s60
	s_delay_alu instid0(SALU_CYCLE_1)
	s_and_not1_b32 exec_lo, exec_lo, s60
	s_cbranch_execz .LBB192_51
.LBB192_130:                            ;   Parent Loop BB192_7 Depth=1
                                        ;     Parent Loop BB192_53 Depth=2
                                        ; =>    This Loop Header: Depth=3
                                        ;         Child Loop BB192_131 Depth 4
	v_ashrrev_i32_e32 v39, 31, v38
	v_dual_mov_b32 v42, v35 :: v_dual_mov_b32 v41, v34
	v_dual_mov_b32 v44, v37 :: v_dual_mov_b32 v43, v36
	s_delay_alu instid0(VALU_DEP_3) | instskip(SKIP_1) | instid1(VALU_DEP_1)
	v_lshlrev_b64 v[39:40], 4, v[38:39]
	s_mov_b32 s5, s64
	v_add_co_u32 v1, vcc_lo, s65, v39
	s_delay_alu instid0(VALU_DEP_2)
	v_add_co_ci_u32_e32 v2, vcc_lo, s66, v40, vcc_lo
	v_add_co_u32 v39, vcc_lo, s62, v39
	v_add_co_ci_u32_e32 v40, vcc_lo, s63, v40, vcc_lo
	global_load_b128 v[1:4], v[1:2], off
	s_and_not1_b32 vcc_lo, exec_lo, s67
	s_cbranch_vccnz .LBB192_129
	.p2align	6
.LBB192_131:                            ;   Parent Loop BB192_7 Depth=1
                                        ;     Parent Loop BB192_53 Depth=2
                                        ;       Parent Loop BB192_130 Depth=3
                                        ; =>      This Inner Loop Header: Depth=4
	v_add_co_u32 v49, vcc_lo, v43, s7
	v_add_co_ci_u32_e32 v50, vcc_lo, s83, v44, vcc_lo
	s_mul_i32 s69, s5, s43
	s_mul_hi_u32 s71, s5, s42
	global_load_b128 v[45:48], v[41:42], off offset:-8
	s_clause 0x1
	global_load_b64 v[49:50], v[49:50], off
	global_load_b64 v[51:52], v[43:44], off
	s_mul_i32 s68, s5, s42
	s_add_i32 s69, s71, s69
	v_add_co_u32 v43, vcc_lo, v43, -8
	s_lshl_b64 s[68:69], s[68:69], 4
	v_add_co_ci_u32_e32 v44, vcc_lo, -1, v44, vcc_lo
	s_add_i32 s70, s5, -1
	v_add_co_u32 v41, vcc_lo, v41, s35
	v_add_co_ci_u32_e32 v42, vcc_lo, s84, v42, vcc_lo
	s_cmp_eq_u32 s70, 0
	s_waitcnt vmcnt(1)
	v_mul_f64 v[55:56], v[49:50], v[47:48]
	s_waitcnt vmcnt(0)
	v_mul_f64 v[53:54], v[51:52], v[45:46]
	v_mul_f64 v[45:46], v[49:50], v[45:46]
	;; [unrolled: 1-line block ×3, first 2 shown]
	s_delay_alu instid0(VALU_DEP_4) | instskip(NEXT) | instid1(VALU_DEP_3)
	v_fma_f64 v[47:48], v[3:4], v[51:52], -v[55:56]
	v_fma_f64 v[45:46], v[1:2], v[51:52], -v[45:46]
	v_fma_f64 v[1:2], v[1:2], v[49:50], v[53:54]
	s_delay_alu instid0(VALU_DEP_4) | instskip(SKIP_1) | instid1(VALU_DEP_1)
	v_fma_f64 v[3:4], v[3:4], v[49:50], v[60:61]
	v_add_co_u32 v49, s5, v39, s68
	v_add_co_ci_u32_e64 v50, s5, s69, v40, s5
	s_mov_b32 s5, s70
	global_store_b128 v[49:50], v[45:48], off
	s_cbranch_scc0 .LBB192_131
	s_branch .LBB192_129
.LBB192_132:                            ;   in Loop: Header=BB192_53 Depth=2
	s_or_b32 exec_lo, exec_lo, s62
                                        ; implicit-def: $vgpr2
	s_and_not1_saveexec_b32 s5, s60
	s_cbranch_execnz .LBB192_124
	s_branch .LBB192_125
.LBB192_133:                            ;   in Loop: Header=BB192_7 Depth=1
	v_dual_mov_b32 v33, v25 :: v_dual_mov_b32 v32, v24
	v_dual_mov_b32 v31, v23 :: v_dual_mov_b32 v30, v22
	v_mov_b32_e32 v27, v59
	s_branch .LBB192_6
.LBB192_134:                            ;   in Loop: Header=BB192_7 Depth=1
                                        ; implicit-def: $vgpr32_vgpr33
                                        ; implicit-def: $vgpr30_vgpr31
                                        ; implicit-def: $vgpr27
	s_branch .LBB192_137
.LBB192_135:                            ;   in Loop: Header=BB192_137 Depth=2
	s_or_b32 exec_lo, exec_lo, s5
	s_waitcnt_vscnt null, 0x0
	s_barrier
	buffer_gl0_inv
	ds_load_b32 v26, v8 offset:16
.LBB192_136:                            ;   in Loop: Header=BB192_137 Depth=2
	ds_load_b64 v[28:29], v8 offset:32
	s_waitcnt lgkmcnt(0)
	v_cmp_ge_i32_e32 vcc_lo, v26, v28
	v_cmp_gt_i32_e64 s3, s33, v29
	s_delay_alu instid0(VALU_DEP_1)
	s_and_b32 s3, vcc_lo, s3
.LBB192_137:                            ;   Parent Loop BB192_7 Depth=1
                                        ; =>  This Loop Header: Depth=2
                                        ;       Child Loop BB192_146 Depth 3
                                        ;       Child Loop BB192_165 Depth 3
	;; [unrolled: 1-line block ×3, first 2 shown]
                                        ;         Child Loop BB192_216 Depth 4
	s_delay_alu instid0(SALU_CYCLE_1)
	s_and_not1_b32 vcc_lo, exec_lo, s3
	s_cbranch_vccnz .LBB192_218
; %bb.138:                              ;   in Loop: Header=BB192_137 Depth=2
	s_and_saveexec_b32 s5, s4
	s_cbranch_execz .LBB192_211
; %bb.139:                              ;   in Loop: Header=BB192_137 Depth=2
	v_cmp_gt_i32_e32 vcc_lo, v26, v28
	s_mov_b32 s3, 0
	s_cbranch_vccnz .LBB192_143
; %bb.140:                              ;   in Loop: Header=BB192_137 Depth=2
	v_ashrrev_i32_e32 v27, 31, v26
	v_mov_b32_e32 v2, v26
	s_mov_b32 s37, -1
	s_delay_alu instid0(VALU_DEP_2)
	v_mov_b32_e32 v3, v27
	v_mov_b32_e32 v1, v26
	s_cbranch_execz .LBB192_144
; %bb.141:                              ;   in Loop: Header=BB192_137 Depth=2
	s_and_b32 vcc_lo, exec_lo, s37
	s_cbranch_vccz .LBB192_149
.LBB192_142:                            ;   in Loop: Header=BB192_137 Depth=2
	ds_store_2addr_b32 v8, v1, v26 offset0:5 offset1:7
	s_cbranch_execz .LBB192_150
	s_branch .LBB192_151
.LBB192_143:                            ;   in Loop: Header=BB192_137 Depth=2
	s_mov_b32 s37, 0
                                        ; implicit-def: $vgpr2_vgpr3
	v_mov_b32_e32 v1, v26
.LBB192_144:                            ;   in Loop: Header=BB192_137 Depth=2
	v_ashrrev_i32_e32 v27, 31, v26
	v_mov_b32_e32 v9, v26
	s_delay_alu instid0(VALU_DEP_2) | instskip(NEXT) | instid1(VALU_DEP_1)
	v_lshlrev_b64 v[3:4], 3, v[26:27]
	v_add_co_u32 v1, vcc_lo, s85, v3
	s_delay_alu instid0(VALU_DEP_2)
	v_add_co_ci_u32_e32 v2, vcc_lo, s86, v4, vcc_lo
	v_add_co_u32 v3, vcc_lo, s10, v3
	v_add_co_ci_u32_e32 v4, vcc_lo, s74, v4, vcc_lo
	s_branch .LBB192_146
	.p2align	6
.LBB192_145:                            ;   in Loop: Header=BB192_146 Depth=3
	v_add_nc_u32_e32 v9, -1, v58
	v_add_co_u32 v1, vcc_lo, v1, -8
	v_add_co_ci_u32_e32 v2, vcc_lo, -1, v2, vcc_lo
	s_delay_alu instid0(VALU_DEP_3) | instskip(SKIP_2) | instid1(VALU_DEP_2)
	v_cmp_le_i32_e64 s37, v9, v28
	s_mov_b32 s3, 0
	v_dual_mov_b32 v3, v12 :: v_dual_mov_b32 v4, v13
	s_and_not1_b32 vcc_lo, exec_lo, s37
	s_cbranch_vccz .LBB192_148
.LBB192_146:                            ;   Parent Loop BB192_7 Depth=1
                                        ;     Parent Loop BB192_137 Depth=2
                                        ; =>    This Inner Loop Header: Depth=3
	global_load_b128 v[12:15], v[1:2], off
	global_load_b64 v[30:31], v[3:4], off offset:-8
	v_mov_b32_e32 v58, v9
	s_waitcnt vmcnt(1)
	v_mul_f64 v[12:13], v[14:15], v[12:13]
	s_waitcnt vmcnt(0)
	v_mul_f64 v[14:15], v[30:31], v[30:31]
	s_delay_alu instid0(VALU_DEP_2) | instskip(NEXT) | instid1(VALU_DEP_1)
	v_mul_f64 v[12:13], v[10:11], |v[12:13]|
	v_cmp_le_f64_e64 s3, |v[14:15]|, v[12:13]
	v_add_co_u32 v12, vcc_lo, v3, -8
	v_add_co_ci_u32_e32 v13, vcc_lo, -1, v4, vcc_lo
	s_delay_alu instid0(VALU_DEP_3)
	s_and_b32 vcc_lo, exec_lo, s3
	s_cbranch_vccz .LBB192_145
; %bb.147:                              ;   in Loop: Header=BB192_137 Depth=2
	s_mov_b32 s3, -1
                                        ; implicit-def: $vgpr9
                                        ; implicit-def: $vgpr1_vgpr2
	s_delay_alu instid0(VALU_DEP_1)
	v_dual_mov_b32 v3, v12 :: v_dual_mov_b32 v4, v13
.LBB192_148:                            ;   in Loop: Header=BB192_137 Depth=2
	v_dual_mov_b32 v1, v28 :: v_dual_mov_b32 v2, v26
	v_dual_mov_b32 v14, v26 :: v_dual_mov_b32 v15, v27
	v_mov_b32_e32 v3, v27
	s_xor_b32 s37, s3, -1
	s_mov_b32 s3, -1
	s_and_b32 vcc_lo, exec_lo, s37
	s_cbranch_vccnz .LBB192_142
.LBB192_149:                            ;   in Loop: Header=BB192_137 Depth=2
                                        ; implicit-def: $vgpr1
                                        ; implicit-def: $vgpr2_vgpr3
	s_and_not1_b32 vcc_lo, exec_lo, s3
	s_cbranch_vccnz .LBB192_151
.LBB192_150:                            ;   in Loop: Header=BB192_137 Depth=2
	v_dual_mov_b32 v9, v8 :: v_dual_mov_b32 v2, v14
	v_mov_b32_e32 v3, v15
	v_mov_b32_e32 v1, v58
	ds_store_2addr_b32 v8, v58, v26 offset0:5 offset1:7
	global_store_b64 v[12:13], v[8:9], off
.LBB192_151:                            ;   in Loop: Header=BB192_137 Depth=2
	v_lshlrev_b64 v[30:31], 3, v[2:3]
	v_add_nc_u32_e32 v2, -1, v26
	s_mov_b32 s3, exec_lo
	s_delay_alu instid0(VALU_DEP_2) | instskip(NEXT) | instid1(VALU_DEP_3)
	v_add_co_u32 v27, vcc_lo, s18, v30
	v_add_co_ci_u32_e32 v28, vcc_lo, s19, v31, vcc_lo
	global_load_b64 v[38:39], v[27:28], off
	s_waitcnt vmcnt(0)
	ds_store_b64 v8, v[38:39]
	v_cmpx_ne_u32_e64 v1, v26
	s_xor_b32 s37, exec_lo, s3
	s_cbranch_execz .LBB192_208
; %bb.152:                              ;   in Loop: Header=BB192_137 Depth=2
	s_mov_b32 s3, exec_lo
	v_cmpx_ne_u32_e64 v1, v2
	s_xor_b32 s60, exec_lo, s3
	s_cbranch_execz .LBB192_180
; %bb.153:                              ;   in Loop: Header=BB192_137 Depth=2
	v_add_co_u32 v3, vcc_lo, s44, v30
	v_add_co_ci_u32_e32 v4, vcc_lo, s45, v31, vcc_lo
	s_mov_b32 s62, exec_lo
	global_load_b64 v[30:31], v[27:28], off offset:-8
	global_load_b64 v[32:33], v[3:4], off
	s_waitcnt vmcnt(1)
	v_add_f64 v[30:31], v[30:31], -v[38:39]
	s_waitcnt vmcnt(0)
	v_add_f64 v[34:35], v[32:33], v[32:33]
	s_delay_alu instid0(VALU_DEP_1) | instskip(SKIP_1) | instid1(VALU_DEP_2)
	v_div_scale_f64 v[36:37], null, v[34:35], v[34:35], v[30:31]
	v_div_scale_f64 v[44:45], vcc_lo, v[30:31], v[34:35], v[30:31]
	v_rcp_f64_e32 v[40:41], v[36:37]
	s_waitcnt_depctr 0xfff
	v_fma_f64 v[42:43], -v[36:37], v[40:41], 1.0
	s_delay_alu instid0(VALU_DEP_1) | instskip(NEXT) | instid1(VALU_DEP_1)
	v_fma_f64 v[40:41], v[40:41], v[42:43], v[40:41]
	v_fma_f64 v[42:43], -v[36:37], v[40:41], 1.0
	s_delay_alu instid0(VALU_DEP_1) | instskip(NEXT) | instid1(VALU_DEP_1)
	v_fma_f64 v[40:41], v[40:41], v[42:43], v[40:41]
	v_mul_f64 v[42:43], v[44:45], v[40:41]
	s_delay_alu instid0(VALU_DEP_1) | instskip(NEXT) | instid1(VALU_DEP_1)
	v_fma_f64 v[36:37], -v[36:37], v[42:43], v[44:45]
	v_div_fmas_f64 v[36:37], v[36:37], v[40:41], v[42:43]
	s_delay_alu instid0(VALU_DEP_1) | instskip(NEXT) | instid1(VALU_DEP_1)
	v_div_fixup_f64 v[30:31], v[36:37], v[34:35], v[30:31]
	v_fma_f64 v[34:35], v[30:31], v[30:31], 1.0
	s_delay_alu instid0(VALU_DEP_1) | instskip(SKIP_1) | instid1(VALU_DEP_1)
	v_cmp_gt_f64_e32 vcc_lo, 0x10000000, v[34:35]
	v_cndmask_b32_e64 v2, 0, 1, vcc_lo
	v_lshlrev_b32_e32 v2, 8, v2
	s_delay_alu instid0(VALU_DEP_1) | instskip(SKIP_1) | instid1(VALU_DEP_2)
	v_ldexp_f64 v[34:35], v[34:35], v2
	v_cndmask_b32_e64 v2, 0, 0xffffff80, vcc_lo
	v_rsq_f64_e32 v[36:37], v[34:35]
	v_cmp_class_f64_e64 vcc_lo, v[34:35], 0x260
	s_waitcnt_depctr 0xfff
	v_mul_f64 v[40:41], v[34:35], v[36:37]
	v_mul_f64 v[36:37], v[36:37], 0.5
	s_delay_alu instid0(VALU_DEP_1) | instskip(NEXT) | instid1(VALU_DEP_1)
	v_fma_f64 v[42:43], -v[36:37], v[40:41], 0.5
	v_fma_f64 v[40:41], v[40:41], v[42:43], v[40:41]
	v_fma_f64 v[36:37], v[36:37], v[42:43], v[36:37]
	s_delay_alu instid0(VALU_DEP_2) | instskip(NEXT) | instid1(VALU_DEP_1)
	v_fma_f64 v[42:43], -v[40:41], v[40:41], v[34:35]
	v_fma_f64 v[40:41], v[42:43], v[36:37], v[40:41]
	s_delay_alu instid0(VALU_DEP_1) | instskip(NEXT) | instid1(VALU_DEP_1)
	v_fma_f64 v[42:43], -v[40:41], v[40:41], v[34:35]
	v_fma_f64 v[36:37], v[42:43], v[36:37], v[40:41]
	s_delay_alu instid0(VALU_DEP_1) | instskip(NEXT) | instid1(VALU_DEP_1)
	v_ldexp_f64 v[36:37], v[36:37], v2
	v_cndmask_b32_e32 v2, v37, v35, vcc_lo
	s_delay_alu instid0(VALU_DEP_2) | instskip(SKIP_1) | instid1(VALU_DEP_3)
	v_cndmask_b32_e32 v34, v36, v34, vcc_lo
	v_cmp_nle_f64_e32 vcc_lo, 0, v[30:31]
	v_and_b32_e32 v9, 0x7fffffff, v2
	v_or_b32_e32 v2, 0x80000000, v2
	s_delay_alu instid0(VALU_DEP_1) | instskip(SKIP_2) | instid1(VALU_DEP_2)
	v_cndmask_b32_e32 v35, v9, v2, vcc_lo
	v_ashrrev_i32_e32 v2, 31, v1
	v_mov_b32_e32 v9, v8
	v_lshlrev_b64 v[40:41], 3, v[1:2]
	v_add_nc_u32_e32 v2, 1, v29
	v_add_f64 v[30:31], v[30:31], v[34:35]
	s_delay_alu instid0(VALU_DEP_3) | instskip(NEXT) | instid1(VALU_DEP_4)
	v_add_co_u32 v36, vcc_lo, s18, v40
	v_add_co_ci_u32_e32 v37, vcc_lo, s19, v41, vcc_lo
	global_load_b64 v[42:43], v[36:37], off
	ds_store_b32 v8, v2 offset:36
	ds_store_b64 v8, v[8:9]
	v_div_scale_f64 v[34:35], null, v[30:31], v[30:31], v[32:33]
	s_delay_alu instid0(VALU_DEP_1) | instskip(SKIP_2) | instid1(VALU_DEP_1)
	v_rcp_f64_e32 v[44:45], v[34:35]
	s_waitcnt_depctr 0xfff
	v_fma_f64 v[46:47], -v[34:35], v[44:45], 1.0
	v_fma_f64 v[44:45], v[44:45], v[46:47], v[44:45]
	s_delay_alu instid0(VALU_DEP_1) | instskip(NEXT) | instid1(VALU_DEP_1)
	v_fma_f64 v[46:47], -v[34:35], v[44:45], 1.0
	v_fma_f64 v[44:45], v[44:45], v[46:47], v[44:45]
	v_div_scale_f64 v[46:47], vcc_lo, v[32:33], v[30:31], v[32:33]
	s_delay_alu instid0(VALU_DEP_1) | instskip(NEXT) | instid1(VALU_DEP_1)
	v_mul_f64 v[48:49], v[46:47], v[44:45]
	v_fma_f64 v[34:35], -v[34:35], v[48:49], v[46:47]
	s_delay_alu instid0(VALU_DEP_1) | instskip(SKIP_2) | instid1(VALU_DEP_2)
	v_div_fmas_f64 v[34:35], v[34:35], v[44:45], v[48:49]
	s_waitcnt vmcnt(0)
	v_add_f64 v[44:45], v[42:43], -v[38:39]
	v_div_fixup_f64 v[30:31], v[34:35], v[30:31], v[32:33]
	v_mov_b32_e32 v34, 0
	v_mov_b32_e32 v35, 0
	s_delay_alu instid0(VALU_DEP_3)
	v_add_f64 v[30:31], v[44:45], v[30:31]
	v_cmpx_lt_i32_e64 v1, v26
	s_cbranch_execz .LBB192_179
; %bb.154:                              ;   in Loop: Header=BB192_137 Depth=2
	v_add_co_u32 v32, vcc_lo, s10, v40
	v_add_co_ci_u32_e32 v33, vcc_lo, s74, v41, vcc_lo
	s_mov_b32 s3, exec_lo
	v_mov_b32_e32 v48, 0
	v_mov_b32_e32 v49, 0
	global_load_b64 v[38:39], v[32:33], off
	v_mov_b32_e32 v32, 0
	v_mov_b32_e32 v33, 0x3ff00000
	s_waitcnt vmcnt(0)
	v_cmpx_neq_f64_e32 0, v[38:39]
	s_cbranch_execz .LBB192_162
; %bb.155:                              ;   in Loop: Header=BB192_137 Depth=2
	v_mov_b32_e32 v48, 0
	v_dual_mov_b32 v49, 0x3ff00000 :: v_dual_mov_b32 v32, 0
	v_mov_b32_e32 v33, 0
	s_mov_b32 s63, exec_lo
	v_cmpx_neq_f64_e32 0, v[30:31]
	s_cbranch_execz .LBB192_161
; %bb.156:                              ;   in Loop: Header=BB192_137 Depth=2
	v_cmp_ngt_f64_e64 s64, |v[38:39]|, |v[30:31]|
                                        ; implicit-def: $vgpr48_vgpr49
                                        ; implicit-def: $vgpr32_vgpr33
	s_delay_alu instid0(VALU_DEP_1) | instskip(NEXT) | instid1(SALU_CYCLE_1)
	s_and_saveexec_b32 s65, s64
	s_xor_b32 s64, exec_lo, s65
	s_cbranch_execz .LBB192_158
; %bb.157:                              ;   in Loop: Header=BB192_137 Depth=2
	v_div_scale_f64 v[32:33], null, v[30:31], v[30:31], -v[38:39]
	v_div_scale_f64 v[46:47], vcc_lo, -v[38:39], v[30:31], -v[38:39]
	s_delay_alu instid0(VALU_DEP_2) | instskip(SKIP_2) | instid1(VALU_DEP_1)
	v_rcp_f64_e32 v[34:35], v[32:33]
	s_waitcnt_depctr 0xfff
	v_fma_f64 v[44:45], -v[32:33], v[34:35], 1.0
	v_fma_f64 v[34:35], v[34:35], v[44:45], v[34:35]
	s_delay_alu instid0(VALU_DEP_1) | instskip(NEXT) | instid1(VALU_DEP_1)
	v_fma_f64 v[44:45], -v[32:33], v[34:35], 1.0
	v_fma_f64 v[34:35], v[34:35], v[44:45], v[34:35]
	s_delay_alu instid0(VALU_DEP_1) | instskip(NEXT) | instid1(VALU_DEP_1)
	v_mul_f64 v[44:45], v[46:47], v[34:35]
	v_fma_f64 v[32:33], -v[32:33], v[44:45], v[46:47]
	s_delay_alu instid0(VALU_DEP_1) | instskip(NEXT) | instid1(VALU_DEP_1)
	v_div_fmas_f64 v[32:33], v[32:33], v[34:35], v[44:45]
	v_div_fixup_f64 v[29:30], v[32:33], v[30:31], -v[38:39]
	s_delay_alu instid0(VALU_DEP_1) | instskip(NEXT) | instid1(VALU_DEP_1)
	v_fma_f64 v[31:32], v[29:30], v[29:30], 1.0
	v_cmp_gt_f64_e32 vcc_lo, 0x10000000, v[31:32]
	v_cndmask_b32_e64 v2, 0, 1, vcc_lo
	s_delay_alu instid0(VALU_DEP_1) | instskip(NEXT) | instid1(VALU_DEP_1)
	v_lshlrev_b32_e32 v2, 8, v2
	v_ldexp_f64 v[31:32], v[31:32], v2
	v_cndmask_b32_e64 v2, 0, 0xffffff80, vcc_lo
	s_delay_alu instid0(VALU_DEP_2) | instskip(SKIP_4) | instid1(VALU_DEP_1)
	v_rsq_f64_e32 v[33:34], v[31:32]
	v_cmp_class_f64_e64 vcc_lo, v[31:32], 0x260
	s_waitcnt_depctr 0xfff
	v_mul_f64 v[44:45], v[31:32], v[33:34]
	v_mul_f64 v[33:34], v[33:34], 0.5
	v_fma_f64 v[46:47], -v[33:34], v[44:45], 0.5
	s_delay_alu instid0(VALU_DEP_1) | instskip(SKIP_1) | instid1(VALU_DEP_2)
	v_fma_f64 v[44:45], v[44:45], v[46:47], v[44:45]
	v_fma_f64 v[33:34], v[33:34], v[46:47], v[33:34]
	v_fma_f64 v[46:47], -v[44:45], v[44:45], v[31:32]
	s_delay_alu instid0(VALU_DEP_1) | instskip(NEXT) | instid1(VALU_DEP_1)
	v_fma_f64 v[44:45], v[46:47], v[33:34], v[44:45]
	v_fma_f64 v[46:47], -v[44:45], v[44:45], v[31:32]
	s_delay_alu instid0(VALU_DEP_1) | instskip(NEXT) | instid1(VALU_DEP_1)
	v_fma_f64 v[33:34], v[46:47], v[33:34], v[44:45]
	v_ldexp_f64 v[33:34], v[33:34], v2
	s_delay_alu instid0(VALU_DEP_1) | instskip(NEXT) | instid1(VALU_DEP_1)
	v_dual_cndmask_b32 v31, v33, v31 :: v_dual_cndmask_b32 v32, v34, v32
	v_div_scale_f64 v[33:34], null, v[31:32], v[31:32], 1.0
	s_delay_alu instid0(VALU_DEP_1) | instskip(SKIP_2) | instid1(VALU_DEP_1)
	v_rcp_f64_e32 v[44:45], v[33:34]
	s_waitcnt_depctr 0xfff
	v_fma_f64 v[46:47], -v[33:34], v[44:45], 1.0
	v_fma_f64 v[44:45], v[44:45], v[46:47], v[44:45]
	s_delay_alu instid0(VALU_DEP_1) | instskip(NEXT) | instid1(VALU_DEP_1)
	v_fma_f64 v[46:47], -v[33:34], v[44:45], 1.0
	v_fma_f64 v[44:45], v[44:45], v[46:47], v[44:45]
	v_div_scale_f64 v[46:47], vcc_lo, 1.0, v[31:32], 1.0
	s_delay_alu instid0(VALU_DEP_1) | instskip(NEXT) | instid1(VALU_DEP_1)
	v_mul_f64 v[48:49], v[46:47], v[44:45]
	v_fma_f64 v[33:34], -v[33:34], v[48:49], v[46:47]
	s_delay_alu instid0(VALU_DEP_1) | instskip(NEXT) | instid1(VALU_DEP_1)
	v_div_fmas_f64 v[33:34], v[33:34], v[44:45], v[48:49]
	v_div_fixup_f64 v[32:33], v[33:34], v[31:32], 1.0
	s_delay_alu instid0(VALU_DEP_1)
	v_mul_f64 v[48:49], v[29:30], v[32:33]
                                        ; implicit-def: $vgpr30_vgpr31
.LBB192_158:                            ;   in Loop: Header=BB192_137 Depth=2
	s_and_not1_saveexec_b32 s64, s64
	s_cbranch_execz .LBB192_160
; %bb.159:                              ;   in Loop: Header=BB192_137 Depth=2
	v_div_scale_f64 v[32:33], null, v[38:39], v[38:39], -v[30:31]
	v_div_scale_f64 v[46:47], vcc_lo, -v[30:31], v[38:39], -v[30:31]
	s_delay_alu instid0(VALU_DEP_2) | instskip(SKIP_2) | instid1(VALU_DEP_1)
	v_rcp_f64_e32 v[34:35], v[32:33]
	s_waitcnt_depctr 0xfff
	v_fma_f64 v[44:45], -v[32:33], v[34:35], 1.0
	v_fma_f64 v[34:35], v[34:35], v[44:45], v[34:35]
	s_delay_alu instid0(VALU_DEP_1) | instskip(NEXT) | instid1(VALU_DEP_1)
	v_fma_f64 v[44:45], -v[32:33], v[34:35], 1.0
	v_fma_f64 v[34:35], v[34:35], v[44:45], v[34:35]
	s_delay_alu instid0(VALU_DEP_1) | instskip(NEXT) | instid1(VALU_DEP_1)
	v_mul_f64 v[44:45], v[46:47], v[34:35]
	v_fma_f64 v[32:33], -v[32:33], v[44:45], v[46:47]
	s_delay_alu instid0(VALU_DEP_1) | instskip(NEXT) | instid1(VALU_DEP_1)
	v_div_fmas_f64 v[32:33], v[32:33], v[34:35], v[44:45]
	v_div_fixup_f64 v[29:30], v[32:33], v[38:39], -v[30:31]
	s_delay_alu instid0(VALU_DEP_1) | instskip(NEXT) | instid1(VALU_DEP_1)
	v_fma_f64 v[31:32], v[29:30], v[29:30], 1.0
	v_cmp_gt_f64_e32 vcc_lo, 0x10000000, v[31:32]
	v_cndmask_b32_e64 v2, 0, 1, vcc_lo
	s_delay_alu instid0(VALU_DEP_1) | instskip(NEXT) | instid1(VALU_DEP_1)
	v_lshlrev_b32_e32 v2, 8, v2
	v_ldexp_f64 v[31:32], v[31:32], v2
	v_cndmask_b32_e64 v2, 0, 0xffffff80, vcc_lo
	s_delay_alu instid0(VALU_DEP_2) | instskip(SKIP_4) | instid1(VALU_DEP_1)
	v_rsq_f64_e32 v[33:34], v[31:32]
	v_cmp_class_f64_e64 vcc_lo, v[31:32], 0x260
	s_waitcnt_depctr 0xfff
	v_mul_f64 v[44:45], v[31:32], v[33:34]
	v_mul_f64 v[33:34], v[33:34], 0.5
	v_fma_f64 v[46:47], -v[33:34], v[44:45], 0.5
	s_delay_alu instid0(VALU_DEP_1) | instskip(SKIP_1) | instid1(VALU_DEP_2)
	v_fma_f64 v[44:45], v[44:45], v[46:47], v[44:45]
	v_fma_f64 v[33:34], v[33:34], v[46:47], v[33:34]
	v_fma_f64 v[46:47], -v[44:45], v[44:45], v[31:32]
	s_delay_alu instid0(VALU_DEP_1) | instskip(NEXT) | instid1(VALU_DEP_1)
	v_fma_f64 v[44:45], v[46:47], v[33:34], v[44:45]
	v_fma_f64 v[46:47], -v[44:45], v[44:45], v[31:32]
	s_delay_alu instid0(VALU_DEP_1) | instskip(NEXT) | instid1(VALU_DEP_1)
	v_fma_f64 v[33:34], v[46:47], v[33:34], v[44:45]
	v_ldexp_f64 v[33:34], v[33:34], v2
	s_delay_alu instid0(VALU_DEP_1) | instskip(NEXT) | instid1(VALU_DEP_1)
	v_dual_cndmask_b32 v31, v33, v31 :: v_dual_cndmask_b32 v32, v34, v32
	v_div_scale_f64 v[33:34], null, v[31:32], v[31:32], 1.0
	s_delay_alu instid0(VALU_DEP_1) | instskip(SKIP_2) | instid1(VALU_DEP_1)
	v_rcp_f64_e32 v[44:45], v[33:34]
	s_waitcnt_depctr 0xfff
	v_fma_f64 v[46:47], -v[33:34], v[44:45], 1.0
	v_fma_f64 v[44:45], v[44:45], v[46:47], v[44:45]
	s_delay_alu instid0(VALU_DEP_1) | instskip(NEXT) | instid1(VALU_DEP_1)
	v_fma_f64 v[46:47], -v[33:34], v[44:45], 1.0
	v_fma_f64 v[44:45], v[44:45], v[46:47], v[44:45]
	v_div_scale_f64 v[46:47], vcc_lo, 1.0, v[31:32], 1.0
	s_delay_alu instid0(VALU_DEP_1) | instskip(NEXT) | instid1(VALU_DEP_1)
	v_mul_f64 v[48:49], v[46:47], v[44:45]
	v_fma_f64 v[33:34], -v[33:34], v[48:49], v[46:47]
	s_delay_alu instid0(VALU_DEP_1) | instskip(NEXT) | instid1(VALU_DEP_1)
	v_div_fmas_f64 v[33:34], v[33:34], v[44:45], v[48:49]
	v_div_fixup_f64 v[48:49], v[33:34], v[31:32], 1.0
	s_delay_alu instid0(VALU_DEP_1)
	v_mul_f64 v[32:33], v[29:30], v[48:49]
.LBB192_160:                            ;   in Loop: Header=BB192_137 Depth=2
	s_or_b32 exec_lo, exec_lo, s64
.LBB192_161:                            ;   in Loop: Header=BB192_137 Depth=2
	s_delay_alu instid0(SALU_CYCLE_1)
	s_or_b32 exec_lo, exec_lo, s63
.LBB192_162:                            ;   in Loop: Header=BB192_137 Depth=2
	s_delay_alu instid0(SALU_CYCLE_1)
	s_or_b32 exec_lo, exec_lo, s3
	global_load_b64 v[29:30], v[36:37], off offset:8
	v_add_f64 v[34:35], v[32:33], v[32:33]
	s_mov_b32 s63, exec_lo
	s_waitcnt vmcnt(0)
	v_add_f64 v[29:30], v[29:30], -v[42:43]
	s_delay_alu instid0(VALU_DEP_1) | instskip(NEXT) | instid1(VALU_DEP_1)
	v_mul_f64 v[29:30], v[48:49], v[29:30]
	v_fma_f64 v[29:30], v[38:39], v[34:35], -v[29:30]
	s_delay_alu instid0(VALU_DEP_1)
	v_mul_f64 v[34:35], v[29:30], -v[48:49]
	v_fma_f64 v[42:43], v[29:30], -v[48:49], v[42:43]
	v_fma_f64 v[30:31], v[32:33], v[29:30], -v[38:39]
	v_add_co_u32 v39, vcc_lo, s77, v40
	v_add_co_ci_u32_e32 v40, vcc_lo, s78, v41, vcc_lo
	v_xor_b32_e32 v49, 0x80000000, v49
	v_add_nc_u32_e32 v38, 1, v1
	s_delay_alu instid0(VALU_DEP_4) | instskip(NEXT) | instid1(VALU_DEP_4)
	v_add_co_u32 v44, vcc_lo, v39, s48
	v_add_co_ci_u32_e32 v45, vcc_lo, s49, v40, vcc_lo
	ds_store_b64 v8, v[34:35]
	global_store_b64 v[36:37], v[42:43], off
	s_clause 0x1
	global_store_b64 v[39:40], v[32:33], off
	global_store_b64 v[44:45], v[48:49], off offset:-8
	v_cmpx_lt_i32_e64 v38, v26
	s_cbranch_execz .LBB192_178
; %bb.163:                              ;   in Loop: Header=BB192_137 Depth=2
	v_ashrrev_i32_e32 v39, 31, v38
	s_mov_b32 s65, 1
	s_mov_b32 s64, 0
	s_delay_alu instid0(VALU_DEP_1) | instskip(NEXT) | instid1(VALU_DEP_1)
	v_lshlrev_b64 v[40:41], 3, v[38:39]
	v_add_co_u32 v36, vcc_lo, s77, v40
	s_delay_alu instid0(VALU_DEP_2)
	v_add_co_ci_u32_e32 v37, vcc_lo, s78, v41, vcc_lo
	v_add_co_u32 v38, vcc_lo, s44, v40
	v_add_co_ci_u32_e32 v39, vcc_lo, s45, v41, vcc_lo
	v_add_co_u32 v40, vcc_lo, s79, v40
	v_add_co_ci_u32_e32 v41, vcc_lo, s80, v41, vcc_lo
	s_branch .LBB192_165
.LBB192_164:                            ;   in Loop: Header=BB192_165 Depth=3
	global_load_b128 v[50:53], v[40:41], off
	v_mul_f64 v[31:32], v[32:33], v[42:43]
	v_add_f64 v[42:43], v[46:47], v[46:47]
	v_add_co_u32 v38, vcc_lo, v38, 8
	v_add_co_ci_u32_e32 v39, vcc_lo, 0, v39, vcc_lo
	s_add_i32 s65, s65, 1
	s_waitcnt vmcnt(0)
	v_add_f64 v[29:30], v[50:51], -v[34:35]
	s_delay_alu instid0(VALU_DEP_1) | instskip(NEXT) | instid1(VALU_DEP_1)
	v_add_f64 v[34:35], v[52:53], -v[29:30]
	v_mul_f64 v[33:34], v[48:49], v[34:35]
	s_delay_alu instid0(VALU_DEP_1) | instskip(NEXT) | instid1(VALU_DEP_1)
	v_fma_f64 v[42:43], v[31:32], v[42:43], -v[33:34]
	v_fma_f64 v[44:45], v[42:43], -v[48:49], v[29:30]
	v_mul_f64 v[34:35], v[42:43], -v[48:49]
	v_fma_f64 v[30:31], v[46:47], v[42:43], -v[31:32]
	v_add_co_u32 v32, vcc_lo, v40, 8
	v_add_co_ci_u32_e32 v33, vcc_lo, 0, v41, vcc_lo
	v_add_nc_u32_e32 v2, s65, v1
	v_add_co_u32 v42, vcc_lo, v36, s7
	v_add_co_ci_u32_e32 v43, vcc_lo, s83, v37, vcc_lo
	v_xor_b32_e32 v49, 0x80000000, v49
	global_store_b64 v[40:41], v[44:45], off
	global_store_b64 v[36:37], v[46:47], off
	v_mov_b32_e32 v41, v33
	v_cmp_ge_i32_e32 vcc_lo, v2, v26
	v_add_co_u32 v36, s3, v36, 8
	v_mov_b32_e32 v40, v32
	v_dual_mov_b32 v32, v46 :: v_dual_mov_b32 v33, v47
	v_add_co_ci_u32_e64 v37, s3, 0, v37, s3
	s_or_b32 s64, vcc_lo, s64
	global_store_b64 v[42:43], v[48:49], off
	s_and_not1_b32 exec_lo, exec_lo, s64
	s_cbranch_execz .LBB192_177
.LBB192_165:                            ;   Parent Loop BB192_7 Depth=1
                                        ;     Parent Loop BB192_137 Depth=2
                                        ; =>    This Inner Loop Header: Depth=3
	global_load_b64 v[42:43], v[38:39], off offset:8
	v_mov_b32_e32 v46, 0
	v_mov_b32_e32 v47, 0x3ff00000
	s_mov_b32 s3, exec_lo
	s_waitcnt vmcnt(0)
	v_mul_f64 v[44:45], v[48:49], v[42:43]
	v_mov_b32_e32 v48, 0
	v_mov_b32_e32 v49, 0
	s_delay_alu instid0(VALU_DEP_3)
	v_cmpx_neq_f64_e32 0, v[44:45]
	s_cbranch_execz .LBB192_175
; %bb.166:                              ;   in Loop: Header=BB192_165 Depth=3
	s_mov_b32 s66, exec_lo
                                        ; implicit-def: $vgpr48_vgpr49
                                        ; implicit-def: $vgpr46_vgpr47
	v_cmpx_neq_f64_e32 0, v[30:31]
	s_xor_b32 s66, exec_lo, s66
	s_cbranch_execz .LBB192_172
; %bb.167:                              ;   in Loop: Header=BB192_165 Depth=3
	v_cmp_ngt_f64_e64 s67, |v[44:45]|, |v[30:31]|
                                        ; implicit-def: $vgpr48_vgpr49
                                        ; implicit-def: $vgpr46_vgpr47
	s_delay_alu instid0(VALU_DEP_1) | instskip(NEXT) | instid1(SALU_CYCLE_1)
	s_and_saveexec_b32 s68, s67
	s_xor_b32 s67, exec_lo, s68
	s_cbranch_execz .LBB192_169
; %bb.168:                              ;   in Loop: Header=BB192_165 Depth=3
	v_div_scale_f64 v[46:47], null, v[30:31], v[30:31], -v[44:45]
	v_div_scale_f64 v[52:53], vcc_lo, -v[44:45], v[30:31], -v[44:45]
	s_delay_alu instid0(VALU_DEP_2) | instskip(SKIP_2) | instid1(VALU_DEP_1)
	v_rcp_f64_e32 v[48:49], v[46:47]
	s_waitcnt_depctr 0xfff
	v_fma_f64 v[50:51], -v[46:47], v[48:49], 1.0
	v_fma_f64 v[48:49], v[48:49], v[50:51], v[48:49]
	s_delay_alu instid0(VALU_DEP_1) | instskip(NEXT) | instid1(VALU_DEP_1)
	v_fma_f64 v[50:51], -v[46:47], v[48:49], 1.0
	v_fma_f64 v[48:49], v[48:49], v[50:51], v[48:49]
	s_delay_alu instid0(VALU_DEP_1) | instskip(NEXT) | instid1(VALU_DEP_1)
	v_mul_f64 v[50:51], v[52:53], v[48:49]
	v_fma_f64 v[46:47], -v[46:47], v[50:51], v[52:53]
	s_delay_alu instid0(VALU_DEP_1) | instskip(NEXT) | instid1(VALU_DEP_1)
	v_div_fmas_f64 v[46:47], v[46:47], v[48:49], v[50:51]
	v_div_fixup_f64 v[48:49], v[46:47], v[30:31], -v[44:45]
	s_delay_alu instid0(VALU_DEP_1) | instskip(NEXT) | instid1(VALU_DEP_1)
	v_fma_f64 v[46:47], v[48:49], v[48:49], 1.0
	v_cmp_gt_f64_e32 vcc_lo, 0x10000000, v[46:47]
	v_cndmask_b32_e64 v2, 0, 1, vcc_lo
	s_delay_alu instid0(VALU_DEP_1) | instskip(NEXT) | instid1(VALU_DEP_1)
	v_lshlrev_b32_e32 v2, 8, v2
	v_ldexp_f64 v[46:47], v[46:47], v2
	v_cndmask_b32_e64 v2, 0, 0xffffff80, vcc_lo
	s_delay_alu instid0(VALU_DEP_2) | instskip(SKIP_4) | instid1(VALU_DEP_1)
	v_rsq_f64_e32 v[50:51], v[46:47]
	v_cmp_class_f64_e64 vcc_lo, v[46:47], 0x260
	s_waitcnt_depctr 0xfff
	v_mul_f64 v[52:53], v[46:47], v[50:51]
	v_mul_f64 v[50:51], v[50:51], 0.5
	v_fma_f64 v[54:55], -v[50:51], v[52:53], 0.5
	s_delay_alu instid0(VALU_DEP_1) | instskip(SKIP_1) | instid1(VALU_DEP_2)
	v_fma_f64 v[52:53], v[52:53], v[54:55], v[52:53]
	v_fma_f64 v[50:51], v[50:51], v[54:55], v[50:51]
	v_fma_f64 v[54:55], -v[52:53], v[52:53], v[46:47]
	s_delay_alu instid0(VALU_DEP_1) | instskip(NEXT) | instid1(VALU_DEP_1)
	v_fma_f64 v[52:53], v[54:55], v[50:51], v[52:53]
	v_fma_f64 v[54:55], -v[52:53], v[52:53], v[46:47]
	s_delay_alu instid0(VALU_DEP_1) | instskip(NEXT) | instid1(VALU_DEP_1)
	v_fma_f64 v[50:51], v[54:55], v[50:51], v[52:53]
	v_ldexp_f64 v[50:51], v[50:51], v2
	s_delay_alu instid0(VALU_DEP_1) | instskip(NEXT) | instid1(VALU_DEP_1)
	v_dual_cndmask_b32 v47, v51, v47 :: v_dual_cndmask_b32 v46, v50, v46
	v_div_scale_f64 v[50:51], null, v[46:47], v[46:47], 1.0
	s_delay_alu instid0(VALU_DEP_1) | instskip(SKIP_2) | instid1(VALU_DEP_1)
	v_rcp_f64_e32 v[52:53], v[50:51]
	s_waitcnt_depctr 0xfff
	v_fma_f64 v[54:55], -v[50:51], v[52:53], 1.0
	v_fma_f64 v[52:53], v[52:53], v[54:55], v[52:53]
	s_delay_alu instid0(VALU_DEP_1) | instskip(NEXT) | instid1(VALU_DEP_1)
	v_fma_f64 v[54:55], -v[50:51], v[52:53], 1.0
	v_fma_f64 v[52:53], v[52:53], v[54:55], v[52:53]
	v_div_scale_f64 v[54:55], vcc_lo, 1.0, v[46:47], 1.0
	s_delay_alu instid0(VALU_DEP_1) | instskip(NEXT) | instid1(VALU_DEP_1)
	v_mul_f64 v[60:61], v[54:55], v[52:53]
	v_fma_f64 v[50:51], -v[50:51], v[60:61], v[54:55]
	s_delay_alu instid0(VALU_DEP_1) | instskip(NEXT) | instid1(VALU_DEP_1)
	v_div_fmas_f64 v[50:51], v[50:51], v[52:53], v[60:61]
	v_div_fixup_f64 v[46:47], v[50:51], v[46:47], 1.0
	s_delay_alu instid0(VALU_DEP_1)
	v_mul_f64 v[48:49], v[48:49], v[46:47]
.LBB192_169:                            ;   in Loop: Header=BB192_165 Depth=3
	s_and_not1_saveexec_b32 s67, s67
	s_cbranch_execz .LBB192_171
; %bb.170:                              ;   in Loop: Header=BB192_165 Depth=3
	v_div_scale_f64 v[46:47], null, v[44:45], v[44:45], -v[30:31]
	v_div_scale_f64 v[52:53], vcc_lo, -v[30:31], v[44:45], -v[30:31]
	s_delay_alu instid0(VALU_DEP_2) | instskip(SKIP_2) | instid1(VALU_DEP_1)
	v_rcp_f64_e32 v[48:49], v[46:47]
	s_waitcnt_depctr 0xfff
	v_fma_f64 v[50:51], -v[46:47], v[48:49], 1.0
	v_fma_f64 v[48:49], v[48:49], v[50:51], v[48:49]
	s_delay_alu instid0(VALU_DEP_1) | instskip(NEXT) | instid1(VALU_DEP_1)
	v_fma_f64 v[50:51], -v[46:47], v[48:49], 1.0
	v_fma_f64 v[48:49], v[48:49], v[50:51], v[48:49]
	s_delay_alu instid0(VALU_DEP_1) | instskip(NEXT) | instid1(VALU_DEP_1)
	v_mul_f64 v[50:51], v[52:53], v[48:49]
	v_fma_f64 v[46:47], -v[46:47], v[50:51], v[52:53]
	s_delay_alu instid0(VALU_DEP_1) | instskip(NEXT) | instid1(VALU_DEP_1)
	v_div_fmas_f64 v[46:47], v[46:47], v[48:49], v[50:51]
	v_div_fixup_f64 v[46:47], v[46:47], v[44:45], -v[30:31]
	s_delay_alu instid0(VALU_DEP_1) | instskip(NEXT) | instid1(VALU_DEP_1)
	v_fma_f64 v[48:49], v[46:47], v[46:47], 1.0
	v_cmp_gt_f64_e32 vcc_lo, 0x10000000, v[48:49]
	v_cndmask_b32_e64 v2, 0, 1, vcc_lo
	s_delay_alu instid0(VALU_DEP_1) | instskip(NEXT) | instid1(VALU_DEP_1)
	v_lshlrev_b32_e32 v2, 8, v2
	v_ldexp_f64 v[48:49], v[48:49], v2
	v_cndmask_b32_e64 v2, 0, 0xffffff80, vcc_lo
	s_delay_alu instid0(VALU_DEP_2) | instskip(SKIP_4) | instid1(VALU_DEP_1)
	v_rsq_f64_e32 v[50:51], v[48:49]
	v_cmp_class_f64_e64 vcc_lo, v[48:49], 0x260
	s_waitcnt_depctr 0xfff
	v_mul_f64 v[52:53], v[48:49], v[50:51]
	v_mul_f64 v[50:51], v[50:51], 0.5
	v_fma_f64 v[54:55], -v[50:51], v[52:53], 0.5
	s_delay_alu instid0(VALU_DEP_1) | instskip(SKIP_1) | instid1(VALU_DEP_2)
	v_fma_f64 v[52:53], v[52:53], v[54:55], v[52:53]
	v_fma_f64 v[50:51], v[50:51], v[54:55], v[50:51]
	v_fma_f64 v[54:55], -v[52:53], v[52:53], v[48:49]
	s_delay_alu instid0(VALU_DEP_1) | instskip(NEXT) | instid1(VALU_DEP_1)
	v_fma_f64 v[52:53], v[54:55], v[50:51], v[52:53]
	v_fma_f64 v[54:55], -v[52:53], v[52:53], v[48:49]
	s_delay_alu instid0(VALU_DEP_1) | instskip(NEXT) | instid1(VALU_DEP_1)
	v_fma_f64 v[50:51], v[54:55], v[50:51], v[52:53]
	v_ldexp_f64 v[50:51], v[50:51], v2
	s_delay_alu instid0(VALU_DEP_1) | instskip(NEXT) | instid1(VALU_DEP_1)
	v_dual_cndmask_b32 v49, v51, v49 :: v_dual_cndmask_b32 v48, v50, v48
	v_div_scale_f64 v[50:51], null, v[48:49], v[48:49], 1.0
	s_delay_alu instid0(VALU_DEP_1) | instskip(SKIP_2) | instid1(VALU_DEP_1)
	v_rcp_f64_e32 v[52:53], v[50:51]
	s_waitcnt_depctr 0xfff
	v_fma_f64 v[54:55], -v[50:51], v[52:53], 1.0
	v_fma_f64 v[52:53], v[52:53], v[54:55], v[52:53]
	s_delay_alu instid0(VALU_DEP_1) | instskip(NEXT) | instid1(VALU_DEP_1)
	v_fma_f64 v[54:55], -v[50:51], v[52:53], 1.0
	v_fma_f64 v[52:53], v[52:53], v[54:55], v[52:53]
	v_div_scale_f64 v[54:55], vcc_lo, 1.0, v[48:49], 1.0
	s_delay_alu instid0(VALU_DEP_1) | instskip(NEXT) | instid1(VALU_DEP_1)
	v_mul_f64 v[60:61], v[54:55], v[52:53]
	v_fma_f64 v[50:51], -v[50:51], v[60:61], v[54:55]
	s_delay_alu instid0(VALU_DEP_1) | instskip(NEXT) | instid1(VALU_DEP_1)
	v_div_fmas_f64 v[50:51], v[50:51], v[52:53], v[60:61]
	v_div_fixup_f64 v[48:49], v[50:51], v[48:49], 1.0
	s_delay_alu instid0(VALU_DEP_1)
	v_mul_f64 v[46:47], v[46:47], v[48:49]
.LBB192_171:                            ;   in Loop: Header=BB192_165 Depth=3
	s_or_b32 exec_lo, exec_lo, s67
	s_delay_alu instid0(VALU_DEP_1) | instskip(NEXT) | instid1(VALU_DEP_1)
	v_mul_f64 v[44:45], v[44:45], v[48:49]
	v_fma_f64 v[30:31], v[30:31], v[46:47], -v[44:45]
                                        ; implicit-def: $vgpr44_vgpr45
.LBB192_172:                            ;   in Loop: Header=BB192_165 Depth=3
	s_and_not1_saveexec_b32 s66, s66
; %bb.173:                              ;   in Loop: Header=BB192_165 Depth=3
	v_xor_b32_e32 v45, 0x80000000, v45
	v_mov_b32_e32 v48, 0
	v_dual_mov_b32 v49, 0x3ff00000 :: v_dual_mov_b32 v46, 0
	v_dual_mov_b32 v47, 0 :: v_dual_mov_b32 v30, v44
	s_delay_alu instid0(VALU_DEP_4)
	v_mov_b32_e32 v31, v45
; %bb.174:                              ;   in Loop: Header=BB192_165 Depth=3
	s_or_b32 exec_lo, exec_lo, s66
.LBB192_175:                            ;   in Loop: Header=BB192_165 Depth=3
	s_delay_alu instid0(SALU_CYCLE_1)
	s_or_b32 exec_lo, exec_lo, s3
	s_cmp_eq_u32 s65, 0
	s_cbranch_scc1 .LBB192_164
; %bb.176:                              ;   in Loop: Header=BB192_165 Depth=3
	global_store_b64 v[38:39], v[30:31], off
	s_branch .LBB192_164
.LBB192_177:                            ;   in Loop: Header=BB192_137 Depth=2
	s_or_b32 exec_lo, exec_lo, s64
	ds_store_b64 v8, v[34:35]
.LBB192_178:                            ;   in Loop: Header=BB192_137 Depth=2
	s_or_b32 exec_lo, exec_lo, s63
	global_load_b64 v[38:39], v[27:28], off
.LBB192_179:                            ;   in Loop: Header=BB192_137 Depth=2
	s_or_b32 exec_lo, exec_lo, s62
	s_waitcnt vmcnt(0)
	v_add_f64 v[1:2], v[38:39], -v[34:35]
                                        ; implicit-def: $vgpr26
                                        ; implicit-def: $vgpr38_vgpr39
	global_store_b64 v[27:28], v[1:2], off
	global_store_b64 v[3:4], v[30:31], off
                                        ; implicit-def: $vgpr27_vgpr28
                                        ; implicit-def: $vgpr30_vgpr31
                                        ; implicit-def: $vgpr1
.LBB192_180:                            ;   in Loop: Header=BB192_137 Depth=2
	s_and_not1_saveexec_b32 s60, s60
	s_cbranch_execz .LBB192_217
; %bb.181:                              ;   in Loop: Header=BB192_137 Depth=2
	v_ashrrev_i32_e32 v2, 31, v1
                                        ; implicit-def: $vgpr42_vgpr43
	s_delay_alu instid0(VALU_DEP_1) | instskip(NEXT) | instid1(VALU_DEP_1)
	v_lshlrev_b64 v[32:33], 3, v[1:2]
	v_add_co_u32 v1, vcc_lo, s18, v32
	s_delay_alu instid0(VALU_DEP_2)
	v_add_co_ci_u32_e32 v2, vcc_lo, s19, v33, vcc_lo
	v_add_co_u32 v3, vcc_lo, s10, v32
	v_add_co_ci_u32_e32 v4, vcc_lo, s74, v33, vcc_lo
	global_load_b64 v[1:2], v[1:2], off
	global_load_b64 v[40:41], v[3:4], off
	s_waitcnt vmcnt(1)
	v_add_f64 v[36:37], v[1:2], -v[38:39]
	s_waitcnt vmcnt(0)
	v_add_f64 v[34:35], v[40:41], v[40:41]
	s_delay_alu instid0(VALU_DEP_1) | instskip(NEXT) | instid1(VALU_DEP_1)
	v_cmp_ngt_f64_e64 s3, |v[36:37]|, |v[34:35]|
	s_and_saveexec_b32 s62, s3
	s_delay_alu instid0(SALU_CYCLE_1)
	s_xor_b32 s3, exec_lo, s62
	s_cbranch_execz .LBB192_187
; %bb.182:                              ;   in Loop: Header=BB192_137 Depth=2
	v_cmp_nlt_f64_e64 s62, |v[36:37]|, |v[34:35]|
                                        ; implicit-def: $vgpr42_vgpr43
	s_delay_alu instid0(VALU_DEP_1) | instskip(NEXT) | instid1(SALU_CYCLE_1)
	s_and_saveexec_b32 s63, s62
	s_xor_b32 s62, exec_lo, s63
; %bb.183:                              ;   in Loop: Header=BB192_137 Depth=2
	v_mul_f64 v[42:43], |v[34:35]|, s[58:59]
; %bb.184:                              ;   in Loop: Header=BB192_137 Depth=2
	s_and_not1_saveexec_b32 s62, s62
	s_cbranch_execz .LBB192_186
; %bb.185:                              ;   in Loop: Header=BB192_137 Depth=2
	v_dual_mov_b32 v3, v36 :: v_dual_and_b32 v4, 0x7fffffff, v37
	v_dual_mov_b32 v42, v34 :: v_dual_and_b32 v43, 0x7fffffff, v35
	s_delay_alu instid0(VALU_DEP_1) | instskip(SKIP_1) | instid1(VALU_DEP_2)
	v_div_scale_f64 v[44:45], null, v[42:43], v[42:43], v[3:4]
	v_div_scale_f64 v[3:4], vcc_lo, v[3:4], v[42:43], v[3:4]
	v_rcp_f64_e32 v[46:47], v[44:45]
	s_waitcnt_depctr 0xfff
	v_fma_f64 v[48:49], -v[44:45], v[46:47], 1.0
	s_delay_alu instid0(VALU_DEP_1) | instskip(NEXT) | instid1(VALU_DEP_1)
	v_fma_f64 v[46:47], v[46:47], v[48:49], v[46:47]
	v_fma_f64 v[48:49], -v[44:45], v[46:47], 1.0
	s_delay_alu instid0(VALU_DEP_1) | instskip(NEXT) | instid1(VALU_DEP_1)
	v_fma_f64 v[42:43], v[46:47], v[48:49], v[46:47]
	v_mul_f64 v[46:47], v[3:4], v[42:43]
	s_delay_alu instid0(VALU_DEP_1) | instskip(NEXT) | instid1(VALU_DEP_1)
	v_fma_f64 v[3:4], -v[44:45], v[46:47], v[3:4]
	v_div_fmas_f64 v[3:4], v[3:4], v[42:43], v[46:47]
	s_delay_alu instid0(VALU_DEP_1) | instskip(NEXT) | instid1(VALU_DEP_1)
	v_div_fixup_f64 v[3:4], v[3:4], |v[34:35]|, |v[36:37]|
	v_fma_f64 v[3:4], v[3:4], v[3:4], 1.0
	s_delay_alu instid0(VALU_DEP_1) | instskip(SKIP_1) | instid1(VALU_DEP_1)
	v_cmp_gt_f64_e32 vcc_lo, 0x10000000, v[3:4]
	v_cndmask_b32_e64 v9, 0, 1, vcc_lo
	v_lshlrev_b32_e32 v9, 8, v9
	s_delay_alu instid0(VALU_DEP_1) | instskip(SKIP_1) | instid1(VALU_DEP_2)
	v_ldexp_f64 v[3:4], v[3:4], v9
	v_cndmask_b32_e64 v9, 0, 0xffffff80, vcc_lo
	v_rsq_f64_e32 v[42:43], v[3:4]
	v_cmp_class_f64_e64 vcc_lo, v[3:4], 0x260
	s_waitcnt_depctr 0xfff
	v_mul_f64 v[44:45], v[3:4], v[42:43]
	v_mul_f64 v[42:43], v[42:43], 0.5
	s_delay_alu instid0(VALU_DEP_1) | instskip(NEXT) | instid1(VALU_DEP_1)
	v_fma_f64 v[46:47], -v[42:43], v[44:45], 0.5
	v_fma_f64 v[44:45], v[44:45], v[46:47], v[44:45]
	v_fma_f64 v[42:43], v[42:43], v[46:47], v[42:43]
	s_delay_alu instid0(VALU_DEP_2) | instskip(NEXT) | instid1(VALU_DEP_1)
	v_fma_f64 v[46:47], -v[44:45], v[44:45], v[3:4]
	v_fma_f64 v[44:45], v[46:47], v[42:43], v[44:45]
	s_delay_alu instid0(VALU_DEP_1) | instskip(NEXT) | instid1(VALU_DEP_1)
	v_fma_f64 v[46:47], -v[44:45], v[44:45], v[3:4]
	v_fma_f64 v[42:43], v[46:47], v[42:43], v[44:45]
	s_delay_alu instid0(VALU_DEP_1) | instskip(NEXT) | instid1(VALU_DEP_1)
	v_ldexp_f64 v[42:43], v[42:43], v9
	v_dual_cndmask_b32 v4, v43, v4 :: v_dual_cndmask_b32 v3, v42, v3
	s_delay_alu instid0(VALU_DEP_1)
	v_mul_f64 v[42:43], |v[34:35]|, v[3:4]
.LBB192_186:                            ;   in Loop: Header=BB192_137 Depth=2
	s_or_b32 exec_lo, exec_lo, s62
.LBB192_187:                            ;   in Loop: Header=BB192_137 Depth=2
	s_and_not1_saveexec_b32 s3, s3
	s_cbranch_execz .LBB192_189
; %bb.188:                              ;   in Loop: Header=BB192_137 Depth=2
	v_dual_mov_b32 v3, v34 :: v_dual_and_b32 v4, 0x7fffffff, v35
	v_dual_mov_b32 v42, v36 :: v_dual_and_b32 v43, 0x7fffffff, v37
	s_delay_alu instid0(VALU_DEP_1) | instskip(SKIP_1) | instid1(VALU_DEP_2)
	v_div_scale_f64 v[44:45], null, v[42:43], v[42:43], v[3:4]
	v_div_scale_f64 v[3:4], vcc_lo, v[3:4], v[42:43], v[3:4]
	v_rcp_f64_e32 v[46:47], v[44:45]
	s_waitcnt_depctr 0xfff
	v_fma_f64 v[48:49], -v[44:45], v[46:47], 1.0
	s_delay_alu instid0(VALU_DEP_1) | instskip(NEXT) | instid1(VALU_DEP_1)
	v_fma_f64 v[46:47], v[46:47], v[48:49], v[46:47]
	v_fma_f64 v[48:49], -v[44:45], v[46:47], 1.0
	s_delay_alu instid0(VALU_DEP_1) | instskip(NEXT) | instid1(VALU_DEP_1)
	v_fma_f64 v[42:43], v[46:47], v[48:49], v[46:47]
	v_mul_f64 v[46:47], v[3:4], v[42:43]
	s_delay_alu instid0(VALU_DEP_1) | instskip(NEXT) | instid1(VALU_DEP_1)
	v_fma_f64 v[3:4], -v[44:45], v[46:47], v[3:4]
	v_div_fmas_f64 v[3:4], v[3:4], v[42:43], v[46:47]
	s_delay_alu instid0(VALU_DEP_1) | instskip(NEXT) | instid1(VALU_DEP_1)
	v_div_fixup_f64 v[3:4], v[3:4], |v[36:37]|, |v[34:35]|
	v_fma_f64 v[3:4], v[3:4], v[3:4], 1.0
	s_delay_alu instid0(VALU_DEP_1) | instskip(SKIP_1) | instid1(VALU_DEP_1)
	v_cmp_gt_f64_e32 vcc_lo, 0x10000000, v[3:4]
	v_cndmask_b32_e64 v9, 0, 1, vcc_lo
	v_lshlrev_b32_e32 v9, 8, v9
	s_delay_alu instid0(VALU_DEP_1) | instskip(SKIP_1) | instid1(VALU_DEP_2)
	v_ldexp_f64 v[3:4], v[3:4], v9
	v_cndmask_b32_e64 v9, 0, 0xffffff80, vcc_lo
	v_rsq_f64_e32 v[42:43], v[3:4]
	v_cmp_class_f64_e64 vcc_lo, v[3:4], 0x260
	s_waitcnt_depctr 0xfff
	v_mul_f64 v[44:45], v[3:4], v[42:43]
	v_mul_f64 v[42:43], v[42:43], 0.5
	s_delay_alu instid0(VALU_DEP_1) | instskip(NEXT) | instid1(VALU_DEP_1)
	v_fma_f64 v[46:47], -v[42:43], v[44:45], 0.5
	v_fma_f64 v[44:45], v[44:45], v[46:47], v[44:45]
	v_fma_f64 v[42:43], v[42:43], v[46:47], v[42:43]
	s_delay_alu instid0(VALU_DEP_2) | instskip(NEXT) | instid1(VALU_DEP_1)
	v_fma_f64 v[46:47], -v[44:45], v[44:45], v[3:4]
	v_fma_f64 v[44:45], v[46:47], v[42:43], v[44:45]
	s_delay_alu instid0(VALU_DEP_1) | instskip(NEXT) | instid1(VALU_DEP_1)
	v_fma_f64 v[46:47], -v[44:45], v[44:45], v[3:4]
	v_fma_f64 v[42:43], v[46:47], v[42:43], v[44:45]
	s_delay_alu instid0(VALU_DEP_1) | instskip(NEXT) | instid1(VALU_DEP_1)
	v_ldexp_f64 v[42:43], v[42:43], v9
	v_dual_cndmask_b32 v4, v43, v4 :: v_dual_cndmask_b32 v3, v42, v3
	s_delay_alu instid0(VALU_DEP_1)
	v_mul_f64 v[42:43], |v[36:37]|, v[3:4]
.LBB192_189:                            ;   in Loop: Header=BB192_137 Depth=2
	s_or_b32 exec_lo, exec_lo, s3
	v_cmp_gt_f64_e64 vcc_lo, |v[1:2]|, |v[38:39]|
	v_add_f64 v[46:47], v[38:39], v[1:2]
	s_mov_b32 s62, exec_lo
                                        ; implicit-def: $vgpr9
                                        ; implicit-def: $vgpr3_vgpr4
	v_dual_cndmask_b32 v45, v2, v39 :: v_dual_cndmask_b32 v44, v1, v38
	v_dual_cndmask_b32 v39, v39, v2 :: v_dual_cndmask_b32 v38, v38, v1
	s_delay_alu instid0(VALU_DEP_3)
	v_cmpx_ngt_f64_e32 0, v[46:47]
	s_xor_b32 s62, exec_lo, s62
	s_cbranch_execz .LBB192_195
; %bb.190:                              ;   in Loop: Header=BB192_137 Depth=2
	s_mov_b32 s63, exec_lo
                                        ; implicit-def: $sgpr3
                                        ; implicit-def: $vgpr3_vgpr4
	v_cmpx_nlt_f64_e32 0, v[46:47]
	s_xor_b32 s63, exec_lo, s63
; %bb.191:                              ;   in Loop: Header=BB192_137 Depth=2
	v_mul_f64 v[1:2], v[42:43], 0.5
	v_mul_f64 v[3:4], v[42:43], -0.5
	s_mov_b32 s3, 1
                                        ; implicit-def: $vgpr46_vgpr47
                                        ; implicit-def: $vgpr38_vgpr39
                                        ; implicit-def: $vgpr40_vgpr41
                                        ; implicit-def: $vgpr44_vgpr45
; %bb.192:                              ;   in Loop: Header=BB192_137 Depth=2
	s_or_saveexec_b32 s63, s63
	v_mov_b32_e32 v9, s3
	s_xor_b32 exec_lo, exec_lo, s63
	s_cbranch_execz .LBB192_194
; %bb.193:                              ;   in Loop: Header=BB192_137 Depth=2
	v_add_f64 v[1:2], v[46:47], v[42:43]
	v_mov_b32_e32 v9, 1
	s_delay_alu instid0(VALU_DEP_2) | instskip(NEXT) | instid1(VALU_DEP_1)
	v_mul_f64 v[1:2], v[1:2], 0.5
	v_div_scale_f64 v[3:4], null, v[1:2], v[1:2], v[38:39]
	v_div_scale_f64 v[46:47], null, v[1:2], v[1:2], v[40:41]
	v_div_scale_f64 v[60:61], vcc_lo, v[38:39], v[1:2], v[38:39]
	s_delay_alu instid0(VALU_DEP_3) | instskip(NEXT) | instid1(VALU_DEP_2)
	v_rcp_f64_e32 v[48:49], v[3:4]
	v_rcp_f64_e32 v[50:51], v[46:47]
	s_waitcnt_depctr 0xfff
	v_fma_f64 v[52:53], -v[3:4], v[48:49], 1.0
	v_fma_f64 v[54:55], -v[46:47], v[50:51], 1.0
	s_delay_alu instid0(VALU_DEP_2) | instskip(NEXT) | instid1(VALU_DEP_2)
	v_fma_f64 v[48:49], v[48:49], v[52:53], v[48:49]
	v_fma_f64 v[50:51], v[50:51], v[54:55], v[50:51]
	s_delay_alu instid0(VALU_DEP_2) | instskip(NEXT) | instid1(VALU_DEP_2)
	v_fma_f64 v[52:53], -v[3:4], v[48:49], 1.0
	v_fma_f64 v[54:55], -v[46:47], v[50:51], 1.0
	s_delay_alu instid0(VALU_DEP_2) | instskip(SKIP_1) | instid1(VALU_DEP_3)
	v_fma_f64 v[48:49], v[48:49], v[52:53], v[48:49]
	v_div_scale_f64 v[52:53], s3, v[40:41], v[1:2], v[40:41]
	v_fma_f64 v[50:51], v[50:51], v[54:55], v[50:51]
	s_delay_alu instid0(VALU_DEP_3) | instskip(NEXT) | instid1(VALU_DEP_2)
	v_mul_f64 v[54:55], v[60:61], v[48:49]
	v_mul_f64 v[62:63], v[52:53], v[50:51]
	s_delay_alu instid0(VALU_DEP_2) | instskip(NEXT) | instid1(VALU_DEP_2)
	v_fma_f64 v[3:4], -v[3:4], v[54:55], v[60:61]
	v_fma_f64 v[46:47], -v[46:47], v[62:63], v[52:53]
	s_delay_alu instid0(VALU_DEP_2) | instskip(SKIP_1) | instid1(VALU_DEP_2)
	v_div_fmas_f64 v[3:4], v[3:4], v[48:49], v[54:55]
	s_mov_b32 vcc_lo, s3
	v_div_fmas_f64 v[46:47], v[46:47], v[50:51], v[62:63]
	s_delay_alu instid0(VALU_DEP_2) | instskip(NEXT) | instid1(VALU_DEP_2)
	v_div_fixup_f64 v[3:4], v[3:4], v[1:2], v[38:39]
	v_div_fixup_f64 v[46:47], v[46:47], v[1:2], v[40:41]
	s_delay_alu instid0(VALU_DEP_1) | instskip(NEXT) | instid1(VALU_DEP_1)
	v_mul_f64 v[38:39], v[40:41], v[46:47]
	v_fma_f64 v[3:4], v[44:45], v[3:4], -v[38:39]
.LBB192_194:                            ;   in Loop: Header=BB192_137 Depth=2
	s_or_b32 exec_lo, exec_lo, s63
                                        ; implicit-def: $vgpr46_vgpr47
                                        ; implicit-def: $vgpr38_vgpr39
                                        ; implicit-def: $vgpr40_vgpr41
                                        ; implicit-def: $vgpr44_vgpr45
.LBB192_195:                            ;   in Loop: Header=BB192_137 Depth=2
	s_and_not1_saveexec_b32 s62, s62
	s_cbranch_execz .LBB192_197
; %bb.196:                              ;   in Loop: Header=BB192_137 Depth=2
	v_add_f64 v[1:2], v[46:47], -v[42:43]
	v_mov_b32_e32 v9, -1
	s_delay_alu instid0(VALU_DEP_2) | instskip(NEXT) | instid1(VALU_DEP_1)
	v_mul_f64 v[1:2], v[1:2], 0.5
	v_div_scale_f64 v[3:4], null, v[1:2], v[1:2], v[38:39]
	v_div_scale_f64 v[46:47], null, v[1:2], v[1:2], v[40:41]
	v_div_scale_f64 v[60:61], vcc_lo, v[38:39], v[1:2], v[38:39]
	s_delay_alu instid0(VALU_DEP_3) | instskip(NEXT) | instid1(VALU_DEP_2)
	v_rcp_f64_e32 v[48:49], v[3:4]
	v_rcp_f64_e32 v[50:51], v[46:47]
	s_waitcnt_depctr 0xfff
	v_fma_f64 v[52:53], -v[3:4], v[48:49], 1.0
	v_fma_f64 v[54:55], -v[46:47], v[50:51], 1.0
	s_delay_alu instid0(VALU_DEP_2) | instskip(NEXT) | instid1(VALU_DEP_2)
	v_fma_f64 v[48:49], v[48:49], v[52:53], v[48:49]
	v_fma_f64 v[50:51], v[50:51], v[54:55], v[50:51]
	s_delay_alu instid0(VALU_DEP_2) | instskip(NEXT) | instid1(VALU_DEP_2)
	v_fma_f64 v[52:53], -v[3:4], v[48:49], 1.0
	v_fma_f64 v[54:55], -v[46:47], v[50:51], 1.0
	s_delay_alu instid0(VALU_DEP_2) | instskip(SKIP_1) | instid1(VALU_DEP_3)
	v_fma_f64 v[48:49], v[48:49], v[52:53], v[48:49]
	v_div_scale_f64 v[52:53], s3, v[40:41], v[1:2], v[40:41]
	v_fma_f64 v[50:51], v[50:51], v[54:55], v[50:51]
	s_delay_alu instid0(VALU_DEP_3) | instskip(NEXT) | instid1(VALU_DEP_2)
	v_mul_f64 v[54:55], v[60:61], v[48:49]
	v_mul_f64 v[62:63], v[52:53], v[50:51]
	s_delay_alu instid0(VALU_DEP_2) | instskip(NEXT) | instid1(VALU_DEP_2)
	v_fma_f64 v[3:4], -v[3:4], v[54:55], v[60:61]
	v_fma_f64 v[46:47], -v[46:47], v[62:63], v[52:53]
	s_delay_alu instid0(VALU_DEP_2) | instskip(SKIP_1) | instid1(VALU_DEP_2)
	v_div_fmas_f64 v[3:4], v[3:4], v[48:49], v[54:55]
	s_mov_b32 vcc_lo, s3
	v_div_fmas_f64 v[46:47], v[46:47], v[50:51], v[62:63]
	s_delay_alu instid0(VALU_DEP_2) | instskip(NEXT) | instid1(VALU_DEP_2)
	v_div_fixup_f64 v[3:4], v[3:4], v[1:2], v[38:39]
	v_div_fixup_f64 v[46:47], v[46:47], v[1:2], v[40:41]
	s_delay_alu instid0(VALU_DEP_1) | instskip(NEXT) | instid1(VALU_DEP_1)
	v_mul_f64 v[38:39], v[40:41], v[46:47]
	v_fma_f64 v[3:4], v[44:45], v[3:4], -v[38:39]
.LBB192_197:                            ;   in Loop: Header=BB192_137 Depth=2
	s_or_b32 exec_lo, exec_lo, s62
	s_delay_alu instid0(SALU_CYCLE_1)
	s_mov_b32 s62, exec_lo
                                        ; implicit-def: $vgpr38_vgpr39
                                        ; implicit-def: $sgpr3
	v_cmpx_le_f64_e32 0, v[36:37]
	s_xor_b32 s62, exec_lo, s62
; %bb.198:                              ;   in Loop: Header=BB192_137 Depth=2
	v_add_f64 v[38:39], v[36:37], v[42:43]
	s_mov_b32 s3, 1
                                        ; implicit-def: $vgpr36_vgpr37
                                        ; implicit-def: $vgpr42_vgpr43
; %bb.199:                              ;   in Loop: Header=BB192_137 Depth=2
	s_or_saveexec_b32 s62, s62
	v_mov_b32_e32 v29, s3
	s_xor_b32 exec_lo, exec_lo, s62
; %bb.200:                              ;   in Loop: Header=BB192_137 Depth=2
	v_add_f64 v[38:39], v[36:37], -v[42:43]
	v_mov_b32_e32 v29, -1
; %bb.201:                              ;   in Loop: Header=BB192_137 Depth=2
	s_or_b32 exec_lo, exec_lo, s62
	s_delay_alu instid0(VALU_DEP_2) | instskip(NEXT) | instid1(VALU_DEP_1)
	v_cmp_ngt_f64_e64 s3, |v[38:39]|, |v[34:35]|
                                        ; implicit-def: $vgpr36_vgpr37
                                        ; implicit-def: $vgpr40_vgpr41
	s_and_saveexec_b32 s62, s3
	s_delay_alu instid0(SALU_CYCLE_1)
	s_xor_b32 s3, exec_lo, s62
	s_cbranch_execz .LBB192_205
; %bb.202:                              ;   in Loop: Header=BB192_137 Depth=2
	v_mov_b32_e32 v36, 0
	v_dual_mov_b32 v37, 0 :: v_dual_mov_b32 v40, 0
	v_mov_b32_e32 v41, 0x3ff00000
	s_mov_b32 s62, exec_lo
	v_cmpx_neq_f64_e32 0, v[34:35]
	s_cbranch_execz .LBB192_204
; %bb.203:                              ;   in Loop: Header=BB192_137 Depth=2
	v_div_scale_f64 v[36:37], null, v[34:35], v[34:35], -v[38:39]
	v_div_scale_f64 v[44:45], vcc_lo, -v[38:39], v[34:35], -v[38:39]
	s_delay_alu instid0(VALU_DEP_2) | instskip(SKIP_2) | instid1(VALU_DEP_1)
	v_rcp_f64_e32 v[40:41], v[36:37]
	s_waitcnt_depctr 0xfff
	v_fma_f64 v[42:43], -v[36:37], v[40:41], 1.0
	v_fma_f64 v[40:41], v[40:41], v[42:43], v[40:41]
	s_delay_alu instid0(VALU_DEP_1) | instskip(NEXT) | instid1(VALU_DEP_1)
	v_fma_f64 v[42:43], -v[36:37], v[40:41], 1.0
	v_fma_f64 v[40:41], v[40:41], v[42:43], v[40:41]
	s_delay_alu instid0(VALU_DEP_1) | instskip(NEXT) | instid1(VALU_DEP_1)
	v_mul_f64 v[42:43], v[44:45], v[40:41]
	v_fma_f64 v[36:37], -v[36:37], v[42:43], v[44:45]
	s_delay_alu instid0(VALU_DEP_1) | instskip(NEXT) | instid1(VALU_DEP_1)
	v_div_fmas_f64 v[36:37], v[36:37], v[40:41], v[42:43]
	v_div_fixup_f64 v[34:35], v[36:37], v[34:35], -v[38:39]
	s_delay_alu instid0(VALU_DEP_1) | instskip(NEXT) | instid1(VALU_DEP_1)
	v_fma_f64 v[36:37], v[34:35], v[34:35], 1.0
	v_cmp_gt_f64_e32 vcc_lo, 0x10000000, v[36:37]
	v_cndmask_b32_e64 v38, 0, 1, vcc_lo
	s_delay_alu instid0(VALU_DEP_1) | instskip(NEXT) | instid1(VALU_DEP_1)
	v_lshlrev_b32_e32 v38, 8, v38
	v_ldexp_f64 v[36:37], v[36:37], v38
	s_delay_alu instid0(VALU_DEP_1) | instskip(SKIP_3) | instid1(VALU_DEP_1)
	v_rsq_f64_e32 v[38:39], v[36:37]
	s_waitcnt_depctr 0xfff
	v_mul_f64 v[40:41], v[36:37], v[38:39]
	v_mul_f64 v[38:39], v[38:39], 0.5
	v_fma_f64 v[42:43], -v[38:39], v[40:41], 0.5
	s_delay_alu instid0(VALU_DEP_1) | instskip(SKIP_1) | instid1(VALU_DEP_2)
	v_fma_f64 v[40:41], v[40:41], v[42:43], v[40:41]
	v_fma_f64 v[38:39], v[38:39], v[42:43], v[38:39]
	v_fma_f64 v[42:43], -v[40:41], v[40:41], v[36:37]
	s_delay_alu instid0(VALU_DEP_1) | instskip(NEXT) | instid1(VALU_DEP_1)
	v_fma_f64 v[40:41], v[42:43], v[38:39], v[40:41]
	v_fma_f64 v[42:43], -v[40:41], v[40:41], v[36:37]
	s_delay_alu instid0(VALU_DEP_1) | instskip(SKIP_2) | instid1(VALU_DEP_2)
	v_fma_f64 v[38:39], v[42:43], v[38:39], v[40:41]
	v_cndmask_b32_e64 v40, 0, 0xffffff80, vcc_lo
	v_cmp_class_f64_e64 vcc_lo, v[36:37], 0x260
	v_ldexp_f64 v[38:39], v[38:39], v40
	s_delay_alu instid0(VALU_DEP_1) | instskip(NEXT) | instid1(VALU_DEP_1)
	v_dual_cndmask_b32 v37, v39, v37 :: v_dual_cndmask_b32 v36, v38, v36
	v_div_scale_f64 v[38:39], null, v[36:37], v[36:37], 1.0
	s_delay_alu instid0(VALU_DEP_1) | instskip(SKIP_2) | instid1(VALU_DEP_1)
	v_rcp_f64_e32 v[40:41], v[38:39]
	s_waitcnt_depctr 0xfff
	v_fma_f64 v[42:43], -v[38:39], v[40:41], 1.0
	v_fma_f64 v[40:41], v[40:41], v[42:43], v[40:41]
	s_delay_alu instid0(VALU_DEP_1) | instskip(NEXT) | instid1(VALU_DEP_1)
	v_fma_f64 v[42:43], -v[38:39], v[40:41], 1.0
	v_fma_f64 v[40:41], v[40:41], v[42:43], v[40:41]
	v_div_scale_f64 v[42:43], vcc_lo, 1.0, v[36:37], 1.0
	s_delay_alu instid0(VALU_DEP_1) | instskip(NEXT) | instid1(VALU_DEP_1)
	v_mul_f64 v[44:45], v[42:43], v[40:41]
	v_fma_f64 v[38:39], -v[38:39], v[44:45], v[42:43]
	s_delay_alu instid0(VALU_DEP_1) | instskip(NEXT) | instid1(VALU_DEP_1)
	v_div_fmas_f64 v[38:39], v[38:39], v[40:41], v[44:45]
	v_div_fixup_f64 v[40:41], v[38:39], v[36:37], 1.0
	s_delay_alu instid0(VALU_DEP_1)
	v_mul_f64 v[36:37], v[34:35], v[40:41]
.LBB192_204:                            ;   in Loop: Header=BB192_137 Depth=2
	s_or_b32 exec_lo, exec_lo, s62
                                        ; implicit-def: $vgpr38_vgpr39
                                        ; implicit-def: $vgpr34_vgpr35
.LBB192_205:                            ;   in Loop: Header=BB192_137 Depth=2
	s_and_not1_saveexec_b32 s3, s3
	s_cbranch_execz .LBB192_207
; %bb.206:                              ;   in Loop: Header=BB192_137 Depth=2
	v_div_scale_f64 v[36:37], null, v[38:39], v[38:39], -v[34:35]
	v_div_scale_f64 v[44:45], vcc_lo, -v[34:35], v[38:39], -v[34:35]
	s_delay_alu instid0(VALU_DEP_2) | instskip(SKIP_2) | instid1(VALU_DEP_1)
	v_rcp_f64_e32 v[40:41], v[36:37]
	s_waitcnt_depctr 0xfff
	v_fma_f64 v[42:43], -v[36:37], v[40:41], 1.0
	v_fma_f64 v[40:41], v[40:41], v[42:43], v[40:41]
	s_delay_alu instid0(VALU_DEP_1) | instskip(NEXT) | instid1(VALU_DEP_1)
	v_fma_f64 v[42:43], -v[36:37], v[40:41], 1.0
	v_fma_f64 v[40:41], v[40:41], v[42:43], v[40:41]
	s_delay_alu instid0(VALU_DEP_1) | instskip(NEXT) | instid1(VALU_DEP_1)
	v_mul_f64 v[42:43], v[44:45], v[40:41]
	v_fma_f64 v[36:37], -v[36:37], v[42:43], v[44:45]
	s_delay_alu instid0(VALU_DEP_1) | instskip(NEXT) | instid1(VALU_DEP_1)
	v_div_fmas_f64 v[36:37], v[36:37], v[40:41], v[42:43]
	v_div_fixup_f64 v[34:35], v[36:37], v[38:39], -v[34:35]
	s_delay_alu instid0(VALU_DEP_1) | instskip(NEXT) | instid1(VALU_DEP_1)
	v_fma_f64 v[36:37], v[34:35], v[34:35], 1.0
	v_cmp_gt_f64_e32 vcc_lo, 0x10000000, v[36:37]
	v_cndmask_b32_e64 v38, 0, 1, vcc_lo
	s_delay_alu instid0(VALU_DEP_1) | instskip(NEXT) | instid1(VALU_DEP_1)
	v_lshlrev_b32_e32 v38, 8, v38
	v_ldexp_f64 v[36:37], v[36:37], v38
	s_delay_alu instid0(VALU_DEP_1) | instskip(SKIP_3) | instid1(VALU_DEP_1)
	v_rsq_f64_e32 v[38:39], v[36:37]
	s_waitcnt_depctr 0xfff
	v_mul_f64 v[40:41], v[36:37], v[38:39]
	v_mul_f64 v[38:39], v[38:39], 0.5
	v_fma_f64 v[42:43], -v[38:39], v[40:41], 0.5
	s_delay_alu instid0(VALU_DEP_1) | instskip(SKIP_1) | instid1(VALU_DEP_2)
	v_fma_f64 v[40:41], v[40:41], v[42:43], v[40:41]
	v_fma_f64 v[38:39], v[38:39], v[42:43], v[38:39]
	v_fma_f64 v[42:43], -v[40:41], v[40:41], v[36:37]
	s_delay_alu instid0(VALU_DEP_1) | instskip(NEXT) | instid1(VALU_DEP_1)
	v_fma_f64 v[40:41], v[42:43], v[38:39], v[40:41]
	v_fma_f64 v[42:43], -v[40:41], v[40:41], v[36:37]
	s_delay_alu instid0(VALU_DEP_1) | instskip(SKIP_2) | instid1(VALU_DEP_2)
	v_fma_f64 v[38:39], v[42:43], v[38:39], v[40:41]
	v_cndmask_b32_e64 v40, 0, 0xffffff80, vcc_lo
	v_cmp_class_f64_e64 vcc_lo, v[36:37], 0x260
	v_ldexp_f64 v[38:39], v[38:39], v40
	s_delay_alu instid0(VALU_DEP_1) | instskip(NEXT) | instid1(VALU_DEP_1)
	v_dual_cndmask_b32 v37, v39, v37 :: v_dual_cndmask_b32 v36, v38, v36
	v_div_scale_f64 v[38:39], null, v[36:37], v[36:37], 1.0
	s_delay_alu instid0(VALU_DEP_1) | instskip(SKIP_2) | instid1(VALU_DEP_1)
	v_rcp_f64_e32 v[40:41], v[38:39]
	s_waitcnt_depctr 0xfff
	v_fma_f64 v[42:43], -v[38:39], v[40:41], 1.0
	v_fma_f64 v[40:41], v[40:41], v[42:43], v[40:41]
	s_delay_alu instid0(VALU_DEP_1) | instskip(NEXT) | instid1(VALU_DEP_1)
	v_fma_f64 v[42:43], -v[38:39], v[40:41], 1.0
	v_fma_f64 v[40:41], v[40:41], v[42:43], v[40:41]
	v_div_scale_f64 v[42:43], vcc_lo, 1.0, v[36:37], 1.0
	s_delay_alu instid0(VALU_DEP_1) | instskip(NEXT) | instid1(VALU_DEP_1)
	v_mul_f64 v[44:45], v[42:43], v[40:41]
	v_fma_f64 v[38:39], -v[38:39], v[44:45], v[42:43]
	s_delay_alu instid0(VALU_DEP_1) | instskip(NEXT) | instid1(VALU_DEP_1)
	v_div_fmas_f64 v[38:39], v[38:39], v[40:41], v[44:45]
	v_div_fixup_f64 v[36:37], v[38:39], v[36:37], 1.0
	s_delay_alu instid0(VALU_DEP_1)
	v_mul_f64 v[40:41], v[34:35], v[36:37]
.LBB192_207:                            ;   in Loop: Header=BB192_137 Depth=2
	s_or_b32 exec_lo, exec_lo, s3
	s_delay_alu instid0(VALU_DEP_1) | instskip(SKIP_2) | instid1(VALU_DEP_1)
	v_xor_b32_e32 v34, 0x80000000, v37
	v_cmp_eq_u32_e32 vcc_lo, v9, v29
	v_add_co_u32 v32, s3, s77, v32
	v_add_co_ci_u32_e64 v33, s3, s78, v33, s3
	s_delay_alu instid0(VALU_DEP_4) | instskip(SKIP_1) | instid1(VALU_DEP_4)
	v_dual_cndmask_b32 v35, v41, v34 :: v_dual_cndmask_b32 v34, v40, v36
	v_dual_cndmask_b32 v37, v37, v41 :: v_dual_cndmask_b32 v36, v36, v40
	v_add_co_u32 v38, vcc_lo, v32, s48
	s_delay_alu instid0(VALU_DEP_4)
	v_add_co_ci_u32_e32 v39, vcc_lo, s49, v33, vcc_lo
	v_dual_mov_b32 v9, v8 :: v_dual_add_nc_u32 v26, -2, v26
	v_add_co_u32 v29, vcc_lo, s44, v30
	v_add_co_ci_u32_e32 v30, vcc_lo, s45, v31, vcc_lo
	s_clause 0x1
	global_store_b64 v[32:33], v[34:35], off
	global_store_b64 v[38:39], v[36:37], off offset:-8
	global_store_b128 v[27:28], v[1:4], off offset:-8
	global_store_b64 v[29:30], v[8:9], off
	ds_store_b32 v8, v26 offset:16
	s_or_b32 exec_lo, exec_lo, s60
                                        ; implicit-def: $vgpr2
.LBB192_208:                            ;   in Loop: Header=BB192_137 Depth=2
	s_and_not1_saveexec_b32 s3, s37
	s_cbranch_execz .LBB192_210
.LBB192_209:                            ;   in Loop: Header=BB192_137 Depth=2
	ds_store_b32 v8, v2 offset:16
.LBB192_210:                            ;   in Loop: Header=BB192_137 Depth=2
	s_or_b32 exec_lo, exec_lo, s3
.LBB192_211:                            ;   in Loop: Header=BB192_137 Depth=2
	s_delay_alu instid0(SALU_CYCLE_1)
	s_or_b32 exec_lo, exec_lo, s5
	s_waitcnt lgkmcnt(0)
	s_waitcnt_vscnt null, 0x0
	s_barrier
	buffer_gl0_inv
	ds_load_b64 v[1:2], v8 offset:16
	s_waitcnt lgkmcnt(0)
	v_readfirstlane_b32 s62, v2
	s_delay_alu instid0(VALU_DEP_1)
	v_cmp_eq_u32_e32 vcc_lo, s62, v1
	v_mov_b32_e32 v26, s62
	s_cbranch_vccnz .LBB192_136
; %bb.212:                              ;   in Loop: Header=BB192_137 Depth=2
	s_and_saveexec_b32 s5, s2
	s_cbranch_execz .LBB192_135
; %bb.213:                              ;   in Loop: Header=BB192_137 Depth=2
	ds_load_b32 v1, v8 offset:28
	s_ashr_i32 s63, s62, 31
	s_mul_i32 s64, s62, s11
	s_lshl_b64 s[66:67], s[62:63], 3
	v_mov_b32_e32 v28, v6
	s_waitcnt lgkmcnt(0)
	v_readfirstlane_b32 s3, v1
	s_delay_alu instid0(VALU_DEP_1)
	s_sub_i32 s37, s3, s62
	s_add_u32 s62, s77, s66
	s_addc_u32 s63, s78, s67
	s_ashr_i32 s65, s64, 31
	s_mul_hi_i32 s69, s37, s42
	s_lshl_b64 s[64:65], s[64:65], 4
	s_mul_i32 s68, s37, s42
	s_add_u32 s60, s75, s64
	s_addc_u32 s66, s76, s65
	s_cmp_gt_i32 s37, 0
	v_add_co_u32 v26, vcc_lo, v7, s64
	v_add_co_ci_u32_e32 v27, vcc_lo, s65, v57, vcc_lo
	s_cselect_b32 s67, -1, 0
	s_lshl_b64 s[64:65], s[68:69], 4
	s_mov_b32 s68, 0
	s_add_u32 s69, s60, s64
	s_addc_u32 s70, s66, s65
	s_branch .LBB192_215
.LBB192_214:                            ;   in Loop: Header=BB192_215 Depth=3
	v_add_nc_u32_e32 v28, s34, v28
	v_add_co_u32 v29, vcc_lo, s69, v29
	v_add_co_ci_u32_e32 v30, vcc_lo, s70, v30, vcc_lo
	s_delay_alu instid0(VALU_DEP_3) | instskip(SKIP_1) | instid1(VALU_DEP_1)
	v_cmp_le_i32_e32 vcc_lo, s6, v28
	v_add_co_u32 v26, s3, v26, s56
	v_add_co_ci_u32_e64 v27, s3, s57, v27, s3
	s_or_b32 s68, vcc_lo, s68
	s_waitcnt vmcnt(0)
	global_store_b128 v[29:30], v[1:4], off
	s_and_not1_b32 exec_lo, exec_lo, s68
	s_cbranch_execz .LBB192_135
.LBB192_215:                            ;   Parent Loop BB192_7 Depth=1
                                        ;     Parent Loop BB192_137 Depth=2
                                        ; =>    This Loop Header: Depth=3
                                        ;         Child Loop BB192_216 Depth 4
	v_ashrrev_i32_e32 v29, 31, v28
	v_dual_mov_b32 v32, v27 :: v_dual_mov_b32 v31, v26
	s_mov_b64 s[64:65], s[62:63]
	s_mov_b32 s3, s37
	s_delay_alu instid0(VALU_DEP_2) | instskip(NEXT) | instid1(VALU_DEP_1)
	v_lshlrev_b64 v[29:30], 4, v[28:29]
	v_add_co_u32 v1, vcc_lo, s60, v29
	s_delay_alu instid0(VALU_DEP_2)
	v_add_co_ci_u32_e32 v2, vcc_lo, s66, v30, vcc_lo
	s_and_not1_b32 vcc_lo, exec_lo, s67
	global_load_b128 v[1:4], v[1:2], off
	s_cbranch_vccnz .LBB192_214
	.p2align	6
.LBB192_216:                            ;   Parent Loop BB192_7 Depth=1
                                        ;     Parent Loop BB192_137 Depth=2
                                        ;       Parent Loop BB192_215 Depth=3
                                        ; =>      This Inner Loop Header: Depth=4
	s_delay_alu instid0(VALU_DEP_1) | instskip(NEXT) | instid1(VALU_DEP_2)
	v_add_co_u32 v41, vcc_lo, v31, s54
	v_add_co_ci_u32_e32 v42, vcc_lo, s55, v32, vcc_lo
	s_add_u32 s72, s64, s7
	s_addc_u32 s73, s65, s83
	global_load_b64 v[37:38], v8, s[72:73]
	global_load_b128 v[33:36], v[41:42], off offset:-8
	global_load_b64 v[43:44], v8, s[64:65]
	s_add_i32 s3, s3, -1
	s_add_u32 s64, s64, 8
	s_addc_u32 s65, s65, 0
	s_cmp_eq_u32 s3, 0
	s_waitcnt vmcnt(2)
	v_mul_f64 v[47:48], v[1:2], v[37:38]
	s_waitcnt vmcnt(1)
	v_mul_f64 v[39:40], v[37:38], v[33:34]
	v_mul_f64 v[45:46], v[37:38], v[35:36]
	;; [unrolled: 1-line block ×3, first 2 shown]
	s_waitcnt vmcnt(0)
	s_delay_alu instid0(VALU_DEP_3) | instskip(NEXT) | instid1(VALU_DEP_3)
	v_fma_f64 v[37:38], v[1:2], v[43:44], v[39:40]
	v_fma_f64 v[39:40], v[3:4], v[43:44], v[45:46]
	v_fma_f64 v[1:2], v[43:44], v[33:34], -v[47:48]
	s_delay_alu instid0(VALU_DEP_4)
	v_fma_f64 v[3:4], v[43:44], v[35:36], -v[49:50]
	global_store_b128 v[31:32], v[37:40], off offset:-8
	v_dual_mov_b32 v31, v41 :: v_dual_mov_b32 v32, v42
	s_cbranch_scc0 .LBB192_216
	s_branch .LBB192_214
.LBB192_217:                            ;   in Loop: Header=BB192_137 Depth=2
	s_or_b32 exec_lo, exec_lo, s60
                                        ; implicit-def: $vgpr2
	s_and_not1_saveexec_b32 s3, s37
	s_cbranch_execnz .LBB192_209
	s_branch .LBB192_210
.LBB192_218:                            ;   in Loop: Header=BB192_7 Depth=1
	v_mov_b32_e32 v31, v23
	v_dual_mov_b32 v33, v25 :: v_dual_mov_b32 v32, v24
	v_dual_mov_b32 v27, v59 :: v_dual_mov_b32 v30, v22
.LBB192_219:                            ;   in Loop: Header=BB192_7 Depth=1
	s_barrier
	buffer_gl0_inv
	ds_load_b64 v[1:2], v8 offset:8
	s_waitcnt lgkmcnt(0)
	v_cmp_nlt_f64_e32 vcc_lo, s[40:41], v[1:2]
	s_cbranch_vccnz .LBB192_226
; %bb.220:                              ;   in Loop: Header=BB192_7 Depth=1
	v_div_scale_f64 v[3:4], null, v[1:2], v[1:2], s[40:41]
	s_delay_alu instid0(VALU_DEP_1) | instskip(SKIP_2) | instid1(VALU_DEP_1)
	v_rcp_f64_e32 v[22:23], v[3:4]
	s_waitcnt_depctr 0xfff
	v_fma_f64 v[24:25], -v[3:4], v[22:23], 1.0
	v_fma_f64 v[22:23], v[22:23], v[24:25], v[22:23]
	s_delay_alu instid0(VALU_DEP_1) | instskip(NEXT) | instid1(VALU_DEP_1)
	v_fma_f64 v[24:25], -v[3:4], v[22:23], 1.0
	v_fma_f64 v[22:23], v[22:23], v[24:25], v[22:23]
	v_div_scale_f64 v[24:25], vcc_lo, s[40:41], v[1:2], s[40:41]
	s_delay_alu instid0(VALU_DEP_1) | instskip(NEXT) | instid1(VALU_DEP_1)
	v_mul_f64 v[28:29], v[24:25], v[22:23]
	v_fma_f64 v[3:4], -v[3:4], v[28:29], v[24:25]
	s_delay_alu instid0(VALU_DEP_1)
	v_div_fmas_f64 v[3:4], v[3:4], v[22:23], v[28:29]
	ds_load_2addr_b32 v[22:23], v8 offset0:7 offset1:10
	v_div_fixup_f64 v[3:4], v[3:4], v[1:2], s[40:41]
	s_and_saveexec_b32 s3, s4
	s_cbranch_execz .LBB192_222
; %bb.221:                              ;   in Loop: Header=BB192_7 Depth=1
	s_waitcnt lgkmcnt(0)
	v_ashrrev_i32_e32 v25, 31, v23
	v_mov_b32_e32 v24, v23
	s_delay_alu instid0(VALU_DEP_1) | instskip(NEXT) | instid1(VALU_DEP_1)
	v_lshlrev_b64 v[24:25], 3, v[24:25]
	v_add_co_u32 v24, vcc_lo, s18, v24
	s_delay_alu instid0(VALU_DEP_2)
	v_add_co_ci_u32_e32 v25, vcc_lo, s19, v25, vcc_lo
	global_load_b64 v[28:29], v[24:25], off
	s_waitcnt vmcnt(0)
	v_mul_f64 v[28:29], v[3:4], v[28:29]
	global_store_b64 v[24:25], v[28:29], off
.LBB192_222:                            ;   in Loop: Header=BB192_7 Depth=1
	s_or_b32 exec_lo, exec_lo, s3
	s_waitcnt lgkmcnt(0)
	v_add_nc_u32_e32 v24, v22, v6
	s_mov_b32 s5, exec_lo
	s_delay_alu instid0(VALU_DEP_1)
	v_cmpx_lt_i32_e64 v24, v23
	s_cbranch_execz .LBB192_225
; %bb.223:                              ;   in Loop: Header=BB192_7 Depth=1
	v_ashrrev_i32_e32 v25, 31, v24
	s_mov_b32 s37, 0
	s_delay_alu instid0(VALU_DEP_1)
	v_lshlrev_b64 v[25:26], 3, v[24:25]
	.p2align	6
.LBB192_224:                            ;   Parent Loop BB192_7 Depth=1
                                        ; =>  This Inner Loop Header: Depth=2
	s_delay_alu instid0(VALU_DEP_1) | instskip(NEXT) | instid1(VALU_DEP_2)
	v_add_co_u32 v28, vcc_lo, s18, v25
	v_add_co_ci_u32_e32 v29, vcc_lo, s19, v26, vcc_lo
	v_add_co_u32 v36, vcc_lo, s10, v25
	v_add_co_ci_u32_e32 v37, vcc_lo, s74, v26, vcc_lo
	global_load_b64 v[34:35], v[28:29], off
	v_add_nc_u32_e32 v24, s34, v24
	v_add_co_u32 v25, s3, v25, s50
	s_delay_alu instid0(VALU_DEP_1) | instskip(NEXT) | instid1(VALU_DEP_3)
	v_add_co_ci_u32_e64 v26, s3, s51, v26, s3
	v_cmp_ge_i32_e32 vcc_lo, v24, v23
	s_or_b32 s37, vcc_lo, s37
	s_waitcnt vmcnt(0)
	v_mul_f64 v[34:35], v[3:4], v[34:35]
	global_store_b64 v[28:29], v[34:35], off
	global_load_b64 v[28:29], v[36:37], off
	s_waitcnt vmcnt(0)
	v_mul_f64 v[28:29], v[3:4], v[28:29]
	global_store_b64 v[36:37], v[28:29], off
	s_and_not1_b32 exec_lo, exec_lo, s37
	s_cbranch_execnz .LBB192_224
.LBB192_225:                            ;   in Loop: Header=BB192_7 Depth=1
	s_or_b32 exec_lo, exec_lo, s5
.LBB192_226:                            ;   in Loop: Header=BB192_7 Depth=1
	v_cmp_ngt_f64_e32 vcc_lo, s[26:27], v[1:2]
	s_cbranch_vccnz .LBB192_5
; %bb.227:                              ;   in Loop: Header=BB192_7 Depth=1
	v_div_scale_f64 v[3:4], null, v[1:2], v[1:2], s[26:27]
	s_delay_alu instid0(VALU_DEP_1) | instskip(SKIP_2) | instid1(VALU_DEP_1)
	v_rcp_f64_e32 v[22:23], v[3:4]
	s_waitcnt_depctr 0xfff
	v_fma_f64 v[24:25], -v[3:4], v[22:23], 1.0
	v_fma_f64 v[22:23], v[22:23], v[24:25], v[22:23]
	s_delay_alu instid0(VALU_DEP_1) | instskip(NEXT) | instid1(VALU_DEP_1)
	v_fma_f64 v[24:25], -v[3:4], v[22:23], 1.0
	v_fma_f64 v[22:23], v[22:23], v[24:25], v[22:23]
	v_div_scale_f64 v[24:25], vcc_lo, s[26:27], v[1:2], s[26:27]
	s_delay_alu instid0(VALU_DEP_1) | instskip(NEXT) | instid1(VALU_DEP_1)
	v_mul_f64 v[28:29], v[24:25], v[22:23]
	v_fma_f64 v[3:4], -v[3:4], v[28:29], v[24:25]
	s_delay_alu instid0(VALU_DEP_1) | instskip(NEXT) | instid1(VALU_DEP_1)
	v_div_fmas_f64 v[3:4], v[3:4], v[22:23], v[28:29]
	v_div_fixup_f64 v[1:2], v[3:4], v[1:2], s[26:27]
	ds_load_2addr_b32 v[3:4], v8 offset0:7 offset1:10
	s_and_saveexec_b32 s3, s4
	s_cbranch_execz .LBB192_229
; %bb.228:                              ;   in Loop: Header=BB192_7 Depth=1
	s_waitcnt lgkmcnt(0)
	v_ashrrev_i32_e32 v23, 31, v4
	v_mov_b32_e32 v22, v4
	s_delay_alu instid0(VALU_DEP_1) | instskip(NEXT) | instid1(VALU_DEP_1)
	v_lshlrev_b64 v[22:23], 3, v[22:23]
	v_add_co_u32 v22, vcc_lo, s18, v22
	s_delay_alu instid0(VALU_DEP_2)
	v_add_co_ci_u32_e32 v23, vcc_lo, s19, v23, vcc_lo
	global_load_b64 v[24:25], v[22:23], off
	s_waitcnt vmcnt(0)
	v_mul_f64 v[24:25], v[1:2], v[24:25]
	global_store_b64 v[22:23], v[24:25], off
.LBB192_229:                            ;   in Loop: Header=BB192_7 Depth=1
	s_or_b32 exec_lo, exec_lo, s3
	s_waitcnt lgkmcnt(0)
	v_add_nc_u32_e32 v22, v3, v6
	s_mov_b32 s5, exec_lo
	s_delay_alu instid0(VALU_DEP_1)
	v_cmpx_lt_i32_e64 v22, v4
	s_cbranch_execz .LBB192_4
; %bb.230:                              ;   in Loop: Header=BB192_7 Depth=1
	v_ashrrev_i32_e32 v23, 31, v22
	s_mov_b32 s37, 0
	s_delay_alu instid0(VALU_DEP_1)
	v_lshlrev_b64 v[23:24], 3, v[22:23]
	.p2align	6
.LBB192_231:                            ;   Parent Loop BB192_7 Depth=1
                                        ; =>  This Inner Loop Header: Depth=2
	s_delay_alu instid0(VALU_DEP_1) | instskip(NEXT) | instid1(VALU_DEP_2)
	v_add_co_u32 v25, vcc_lo, s18, v23
	v_add_co_ci_u32_e32 v26, vcc_lo, s19, v24, vcc_lo
	v_add_co_u32 v34, vcc_lo, s10, v23
	v_add_co_ci_u32_e32 v35, vcc_lo, s74, v24, vcc_lo
	global_load_b64 v[28:29], v[25:26], off
	v_add_nc_u32_e32 v22, s34, v22
	v_add_co_u32 v23, s3, v23, s50
	s_delay_alu instid0(VALU_DEP_1) | instskip(NEXT) | instid1(VALU_DEP_3)
	v_add_co_ci_u32_e64 v24, s3, s51, v24, s3
	v_cmp_ge_i32_e32 vcc_lo, v22, v4
	s_or_b32 s37, vcc_lo, s37
	s_waitcnt vmcnt(0)
	v_mul_f64 v[28:29], v[1:2], v[28:29]
	global_store_b64 v[25:26], v[28:29], off
	global_load_b64 v[25:26], v[34:35], off
	s_waitcnt vmcnt(0)
	v_mul_f64 v[25:26], v[1:2], v[25:26]
	global_store_b64 v[34:35], v[25:26], off
	s_and_not1_b32 exec_lo, exec_lo, s37
	s_cbranch_execnz .LBB192_231
	s_branch .LBB192_4
.LBB192_232:
	s_mov_b32 s3, exec_lo
	v_cmpx_gt_i32_e64 s36, v6
	s_cbranch_execz .LBB192_238
; %bb.233:
	v_ashrrev_i32_e32 v7, 31, v6
	s_lshl_b64 s[24:25], s[28:29], 2
	v_mov_b32_e32 v3, 0
	s_add_u32 s14, s14, s24
	s_addc_u32 s15, s15, s25
	v_lshlrev_b64 v[1:2], 3, v[6:7]
	s_lshl_b64 s[24:25], s[38:39], 3
	s_delay_alu instid0(SALU_CYCLE_1) | instskip(SKIP_2) | instid1(VALU_DEP_1)
	s_add_u32 s2, s20, s24
	s_addc_u32 s5, s21, s25
	s_ashr_i32 s35, s34, 31
	v_add_co_u32 v1, vcc_lo, s2, v1
	v_add_co_ci_u32_e32 v2, vcc_lo, s5, v2, vcc_lo
	s_lshl_b64 s[20:21], s[34:35], 3
	s_mov_b32 s5, 0
	s_set_inst_prefetch_distance 0x1
	s_branch .LBB192_235
	.p2align	6
.LBB192_234:                            ;   in Loop: Header=BB192_235 Depth=1
	s_or_b32 exec_lo, exec_lo, s2
	v_add_nc_u32_e32 v6, s34, v6
	v_add_co_u32 v1, s2, v1, s20
	s_delay_alu instid0(VALU_DEP_1) | instskip(NEXT) | instid1(VALU_DEP_3)
	v_add_co_ci_u32_e64 v2, s2, s21, v2, s2
	v_cmp_le_i32_e32 vcc_lo, s36, v6
	s_or_b32 s5, vcc_lo, s5
	s_delay_alu instid0(SALU_CYCLE_1)
	s_and_not1_b32 exec_lo, exec_lo, s5
	s_cbranch_execz .LBB192_238
.LBB192_235:                            ; =>This Inner Loop Header: Depth=1
	global_load_b64 v[7:8], v[1:2], off
	s_mov_b32 s2, exec_lo
	s_waitcnt vmcnt(0)
	v_cmpx_neq_f64_e32 0, v[7:8]
	s_cbranch_execz .LBB192_234
; %bb.236:                              ;   in Loop: Header=BB192_235 Depth=1
	s_mov_b32 s7, exec_lo
	s_delay_alu instid0(SALU_CYCLE_1) | instskip(NEXT) | instid1(VALU_DEP_1)
	v_mbcnt_lo_u32_b32 v4, s7, 0
	v_cmp_eq_u32_e32 vcc_lo, 0, v4
	s_and_b32 s10, exec_lo, vcc_lo
	s_delay_alu instid0(SALU_CYCLE_1)
	s_mov_b32 exec_lo, s10
	s_cbranch_execz .LBB192_234
; %bb.237:                              ;   in Loop: Header=BB192_235 Depth=1
	s_bcnt1_i32_b32 s7, s7
	s_delay_alu instid0(SALU_CYCLE_1)
	v_mov_b32_e32 v4, s7
	global_atomic_add_u32 v3, v4, s[14:15]
	s_branch .LBB192_234
.LBB192_238:
	s_set_inst_prefetch_distance 0x2
	s_or_b32 exec_lo, exec_lo, s3
	s_cmp_lt_i32 s6, 2
	s_cbranch_scc1 .LBB192_251
; %bb.239:
	s_load_b64 s[0:1], s[0:1], 0x4
	v_bfe_u32 v1, v0, 10, 10
	v_bfe_u32 v0, v0, 20, 10
	v_mov_b32_e32 v7, 0
	s_waitcnt lgkmcnt(0)
	s_lshr_b32 s0, s0, 16
	v_mul_u32_u24_e32 v1, s1, v1
	s_mul_i32 s0, s0, s1
	s_add_u32 s5, s18, -8
	v_mul_lo_u32 v2, s0, v5
	s_addc_u32 s7, s19, -1
	s_add_u32 s0, s22, s16
	s_addc_u32 s1, s23, s17
	s_add_u32 s0, s0, 8
	s_addc_u32 s1, s1, 0
	s_lshl_b64 s[2:3], s[12:13], 4
	s_lshl_b64 s[12:13], s[30:31], 4
	v_add3_u32 v0, v2, v1, v0
	s_add_u32 s2, s2, s12
	s_addc_u32 s3, s3, s13
	s_add_u32 s10, s8, s2
	s_addc_u32 s16, s9, s3
	v_lshl_add_u32 v6, v0, 4, 48
	s_mov_b32 s2, 1
	s_branch .LBB192_241
.LBB192_240:                            ;   in Loop: Header=BB192_241 Depth=1
	s_add_i32 s2, s2, 1
	s_add_u32 s0, s0, 8
	s_addc_u32 s1, s1, 0
	s_cmp_lg_u32 s2, s6
	s_waitcnt lgkmcnt(0)
	s_waitcnt_vscnt null, 0x0
	s_barrier
	buffer_gl0_inv
	s_cbranch_scc0 .LBB192_251
.LBB192_241:                            ; =>This Loop Header: Depth=1
                                        ;     Child Loop BB192_244 Depth 2
                                        ;     Child Loop BB192_250 Depth 2
	s_and_saveexec_b32 s17, s4
	s_cbranch_execz .LBB192_248
; %bb.242:                              ;   in Loop: Header=BB192_241 Depth=1
	s_ashr_i32 s3, s2, 31
	s_mov_b64 s[14:15], s[0:1]
	s_lshl_b64 s[8:9], s[2:3], 3
	s_add_i32 s3, s2, -1
	s_add_u32 s8, s5, s8
	s_addc_u32 s9, s7, s9
	v_dual_mov_b32 v4, s3 :: v_dual_mov_b32 v5, s3
	global_load_b64 v[0:1], v7, s[8:9]
	s_mov_b32 s12, s3
	s_mov_b32 s13, s2
	s_waitcnt vmcnt(0)
	v_dual_mov_b32 v3, v1 :: v_dual_mov_b32 v2, v0
	ds_store_2addr_b64 v7, v[0:1], v[4:5] offset1:2
	s_branch .LBB192_244
	.p2align	6
.LBB192_243:                            ;   in Loop: Header=BB192_244 Depth=2
	s_add_i32 s13, s13, 1
	s_add_u32 s14, s14, 8
	s_addc_u32 s15, s15, 0
	s_cmp_ge_i32 s13, s6
	s_cbranch_scc1 .LBB192_246
.LBB192_244:                            ;   Parent Loop BB192_241 Depth=1
                                        ; =>  This Inner Loop Header: Depth=2
	global_load_b64 v[4:5], v7, s[14:15]
	s_waitcnt vmcnt(0)
	v_cmp_nlt_f64_e32 vcc_lo, v[4:5], v[2:3]
	s_cbranch_vccnz .LBB192_243
; %bb.245:                              ;   in Loop: Header=BB192_244 Depth=2
	v_mov_b32_e32 v2, v4
	v_dual_mov_b32 v8, s13 :: v_dual_mov_b32 v3, v5
	s_mov_b32 s12, s13
	ds_store_b32 v7, v8 offset:20
	ds_store_b64 v7, v[4:5]
	s_branch .LBB192_243
.LBB192_246:                            ;   in Loop: Header=BB192_241 Depth=1
	s_cmp_lg_u32 s12, s3
	s_cbranch_scc0 .LBB192_248
; %bb.247:                              ;   in Loop: Header=BB192_241 Depth=1
	s_ashr_i32 s13, s12, 31
	s_delay_alu instid0(SALU_CYCLE_1) | instskip(NEXT) | instid1(SALU_CYCLE_1)
	s_lshl_b64 s[12:13], s[12:13], 3
	s_add_u32 s12, s18, s12
	s_addc_u32 s13, s19, s13
	s_clause 0x1
	global_store_b64 v7, v[0:1], s[12:13]
	global_store_b64 v7, v[2:3], s[8:9]
.LBB192_248:                            ;   in Loop: Header=BB192_241 Depth=1
	s_or_b32 exec_lo, exec_lo, s17
	s_waitcnt lgkmcnt(0)
	s_waitcnt_vscnt null, 0x0
	s_barrier
	buffer_gl0_inv
	ds_load_b64 v[0:1], v7 offset:16
	s_waitcnt lgkmcnt(0)
	v_readfirstlane_b32 s3, v0
	v_readfirstlane_b32 s8, v1
	s_delay_alu instid0(VALU_DEP_1)
	s_cmp_eq_u32 s8, s3
	s_cbranch_scc1 .LBB192_240
; %bb.249:                              ;   in Loop: Header=BB192_241 Depth=1
	s_mul_i32 s8, s8, s11
	s_mul_i32 s12, s3, s11
	s_ashr_i32 s9, s8, 31
	s_mov_b32 s3, s6
	s_lshl_b64 s[8:9], s[8:9], 4
	s_delay_alu instid0(SALU_CYCLE_1) | instskip(SKIP_2) | instid1(SALU_CYCLE_1)
	s_add_u32 s8, s10, s8
	s_addc_u32 s9, s16, s9
	s_ashr_i32 s13, s12, 31
	s_lshl_b64 s[12:13], s[12:13], 4
	s_delay_alu instid0(SALU_CYCLE_1)
	s_add_u32 s12, s10, s12
	s_addc_u32 s13, s16, s13
	.p2align	6
.LBB192_250:                            ;   Parent Loop BB192_241 Depth=1
                                        ; =>  This Inner Loop Header: Depth=2
	s_clause 0x1
	global_load_b128 v[0:3], v7, s[8:9]
	global_load_b128 v[8:11], v7, s[12:13]
	s_add_i32 s3, s3, -1
	s_waitcnt vmcnt(1)
	global_store_b128 v7, v[0:3], s[12:13]
	s_waitcnt vmcnt(0)
	global_store_b128 v7, v[8:11], s[8:9]
	s_add_u32 s8, s8, 16
	s_addc_u32 s9, s9, 0
	s_add_u32 s12, s12, 16
	s_addc_u32 s13, s13, 0
	s_cmp_lg_u32 s3, 0
	ds_store_2addr_b64 v6, v[8:9], v[10:11] offset1:1
	s_cbranch_scc1 .LBB192_250
	s_branch .LBB192_240
.LBB192_251:
	s_nop 0
	s_sendmsg sendmsg(MSG_DEALLOC_VGPRS)
	s_endpgm
	.section	.rodata,"a",@progbits
	.p2align	6, 0x0
	.amdhsa_kernel _ZN9rocsolver6v33100L12steqr_kernelI19rocblas_complex_numIdEdPS3_EEviPT0_lS6_lT1_iilPiS6_iS5_S5_S5_
		.amdhsa_group_segment_fixed_size 16432
		.amdhsa_private_segment_fixed_size 0
		.amdhsa_kernarg_size 368
		.amdhsa_user_sgpr_count 14
		.amdhsa_user_sgpr_dispatch_ptr 1
		.amdhsa_user_sgpr_queue_ptr 0
		.amdhsa_user_sgpr_kernarg_segment_ptr 1
		.amdhsa_user_sgpr_dispatch_id 0
		.amdhsa_user_sgpr_private_segment_size 0
		.amdhsa_wavefront_size32 1
		.amdhsa_uses_dynamic_stack 0
		.amdhsa_enable_private_segment 0
		.amdhsa_system_sgpr_workgroup_id_x 1
		.amdhsa_system_sgpr_workgroup_id_y 1
		.amdhsa_system_sgpr_workgroup_id_z 0
		.amdhsa_system_sgpr_workgroup_info 0
		.amdhsa_system_vgpr_workitem_id 2
		.amdhsa_next_free_vgpr 70
		.amdhsa_next_free_sgpr 91
		.amdhsa_reserve_vcc 1
		.amdhsa_float_round_mode_32 0
		.amdhsa_float_round_mode_16_64 0
		.amdhsa_float_denorm_mode_32 3
		.amdhsa_float_denorm_mode_16_64 3
		.amdhsa_dx10_clamp 1
		.amdhsa_ieee_mode 1
		.amdhsa_fp16_overflow 0
		.amdhsa_workgroup_processor_mode 1
		.amdhsa_memory_ordered 1
		.amdhsa_forward_progress 0
		.amdhsa_shared_vgpr_count 0
		.amdhsa_exception_fp_ieee_invalid_op 0
		.amdhsa_exception_fp_denorm_src 0
		.amdhsa_exception_fp_ieee_div_zero 0
		.amdhsa_exception_fp_ieee_overflow 0
		.amdhsa_exception_fp_ieee_underflow 0
		.amdhsa_exception_fp_ieee_inexact 0
		.amdhsa_exception_int_div_zero 0
	.end_amdhsa_kernel
	.section	.text._ZN9rocsolver6v33100L12steqr_kernelI19rocblas_complex_numIdEdPS3_EEviPT0_lS6_lT1_iilPiS6_iS5_S5_S5_,"axG",@progbits,_ZN9rocsolver6v33100L12steqr_kernelI19rocblas_complex_numIdEdPS3_EEviPT0_lS6_lT1_iilPiS6_iS5_S5_S5_,comdat
.Lfunc_end192:
	.size	_ZN9rocsolver6v33100L12steqr_kernelI19rocblas_complex_numIdEdPS3_EEviPT0_lS6_lT1_iilPiS6_iS5_S5_S5_, .Lfunc_end192-_ZN9rocsolver6v33100L12steqr_kernelI19rocblas_complex_numIdEdPS3_EEviPT0_lS6_lT1_iilPiS6_iS5_S5_S5_
                                        ; -- End function
	.section	.AMDGPU.csdata,"",@progbits
; Kernel info:
; codeLenInByte = 17656
; NumSgprs: 93
; NumVgprs: 70
; ScratchSize: 0
; MemoryBound: 0
; FloatMode: 240
; IeeeMode: 1
; LDSByteSize: 16432 bytes/workgroup (compile time only)
; SGPRBlocks: 11
; VGPRBlocks: 8
; NumSGPRsForWavesPerEU: 93
; NumVGPRsForWavesPerEU: 70
; Occupancy: 16
; WaveLimiterHint : 0
; COMPUTE_PGM_RSRC2:SCRATCH_EN: 0
; COMPUTE_PGM_RSRC2:USER_SGPR: 14
; COMPUTE_PGM_RSRC2:TRAP_HANDLER: 0
; COMPUTE_PGM_RSRC2:TGID_X_EN: 1
; COMPUTE_PGM_RSRC2:TGID_Y_EN: 1
; COMPUTE_PGM_RSRC2:TGID_Z_EN: 0
; COMPUTE_PGM_RSRC2:TIDIG_COMP_CNT: 2
	.section	.text._ZN9rocsolver6v33100L8copy_matI19rocblas_complex_numIdEdLb0EPS3_TnNSt9enable_ifIX18rocblas_is_complexIT_EEiE4typeELi0EEEvNS0_17copymat_directionEiiT2_iilPT0_13rocblas_fill_17rocblas_diagonal_,"axG",@progbits,_ZN9rocsolver6v33100L8copy_matI19rocblas_complex_numIdEdLb0EPS3_TnNSt9enable_ifIX18rocblas_is_complexIT_EEiE4typeELi0EEEvNS0_17copymat_directionEiiT2_iilPT0_13rocblas_fill_17rocblas_diagonal_,comdat
	.globl	_ZN9rocsolver6v33100L8copy_matI19rocblas_complex_numIdEdLb0EPS3_TnNSt9enable_ifIX18rocblas_is_complexIT_EEiE4typeELi0EEEvNS0_17copymat_directionEiiT2_iilPT0_13rocblas_fill_17rocblas_diagonal_ ; -- Begin function _ZN9rocsolver6v33100L8copy_matI19rocblas_complex_numIdEdLb0EPS3_TnNSt9enable_ifIX18rocblas_is_complexIT_EEiE4typeELi0EEEvNS0_17copymat_directionEiiT2_iilPT0_13rocblas_fill_17rocblas_diagonal_
	.p2align	8
	.type	_ZN9rocsolver6v33100L8copy_matI19rocblas_complex_numIdEdLb0EPS3_TnNSt9enable_ifIX18rocblas_is_complexIT_EEiE4typeELi0EEEvNS0_17copymat_directionEiiT2_iilPT0_13rocblas_fill_17rocblas_diagonal_,@function
_ZN9rocsolver6v33100L8copy_matI19rocblas_complex_numIdEdLb0EPS3_TnNSt9enable_ifIX18rocblas_is_complexIT_EEiE4typeELi0EEEvNS0_17copymat_directionEiiT2_iilPT0_13rocblas_fill_17rocblas_diagonal_: ; @_ZN9rocsolver6v33100L8copy_matI19rocblas_complex_numIdEdLb0EPS3_TnNSt9enable_ifIX18rocblas_is_complexIT_EEiE4typeELi0EEEvNS0_17copymat_directionEiiT2_iilPT0_13rocblas_fill_17rocblas_diagonal_
; %bb.0:
	s_clause 0x1
	s_load_b32 s2, s[0:1], 0x44
	s_load_b128 s[8:11], s[0:1], 0x0
	v_and_b32_e32 v2, 0x3ff, v0
	v_bfe_u32 v3, v0, 10, 10
	s_waitcnt lgkmcnt(0)
	s_lshr_b32 s3, s2, 16
	s_and_b32 s2, s2, 0xffff
	s_delay_alu instid0(VALU_DEP_1) | instid1(SALU_CYCLE_1)
	v_mad_u64_u32 v[0:1], null, s13, s2, v[2:3]
	v_mad_u64_u32 v[1:2], null, s14, s3, v[3:4]
	s_delay_alu instid0(VALU_DEP_2) | instskip(NEXT) | instid1(VALU_DEP_2)
	v_cmp_gt_u32_e32 vcc_lo, s9, v0
	v_cmp_gt_u32_e64 s2, s10, v1
	s_delay_alu instid0(VALU_DEP_1) | instskip(NEXT) | instid1(SALU_CYCLE_1)
	s_and_b32 s2, s2, vcc_lo
	s_and_saveexec_b32 s3, s2
	s_cbranch_execz .LBB193_16
; %bb.1:
	s_load_b64 s[4:5], s[0:1], 0x30
	s_mov_b32 s11, s9
	s_waitcnt lgkmcnt(0)
	s_cmpk_lt_i32 s4, 0x7a
	s_cbranch_scc1 .LBB193_4
; %bb.2:
	s_cmpk_gt_i32 s4, 0x7a
	s_cbranch_scc0 .LBB193_5
; %bb.3:
	s_cmpk_lg_i32 s4, 0x7b
	s_mov_b32 s3, -1
	s_cselect_b32 s6, -1, 0
	s_cbranch_execz .LBB193_6
	s_branch .LBB193_7
.LBB193_4:
	s_mov_b32 s6, 0
	s_mov_b32 s3, 0
	s_cbranch_execnz .LBB193_8
	s_branch .LBB193_10
.LBB193_5:
	s_mov_b32 s3, 0
	s_mov_b32 s6, 0
.LBB193_6:
	v_cmp_gt_u32_e32 vcc_lo, v0, v1
	v_cmp_le_u32_e64 s2, v0, v1
	s_and_not1_b32 s3, s3, exec_lo
	s_and_not1_b32 s6, s6, exec_lo
	s_and_b32 s7, vcc_lo, exec_lo
	s_delay_alu instid0(VALU_DEP_1)
	s_and_b32 s2, s2, exec_lo
	s_or_b32 s3, s3, s7
	s_or_b32 s6, s6, s2
.LBB193_7:
	s_branch .LBB193_10
.LBB193_8:
	s_cmpk_eq_i32 s4, 0x79
	s_mov_b32 s6, -1
	s_cbranch_scc0 .LBB193_10
; %bb.9:
	v_cmp_gt_u32_e32 vcc_lo, v1, v0
	v_cmp_le_u32_e64 s2, v1, v0
	s_and_not1_b32 s3, s3, exec_lo
	s_and_b32 s4, vcc_lo, exec_lo
	s_delay_alu instid0(VALU_DEP_1)
	s_or_not1_b32 s6, s2, exec_lo
	s_or_b32 s3, s3, s4
.LBB193_10:
	s_and_saveexec_b32 s2, s6
; %bb.11:
	v_cmp_eq_u32_e32 vcc_lo, v0, v1
	s_cmpk_eq_i32 s5, 0x83
	s_cselect_b32 s4, -1, 0
	s_and_not1_b32 s3, s3, exec_lo
	s_and_b32 s4, s4, vcc_lo
	s_delay_alu instid0(SALU_CYCLE_1) | instskip(NEXT) | instid1(SALU_CYCLE_1)
	s_and_b32 s4, s4, exec_lo
	s_or_b32 s3, s3, s4
; %bb.12:
	s_or_b32 exec_lo, exec_lo, s2
	s_delay_alu instid0(SALU_CYCLE_1)
	s_and_b32 exec_lo, exec_lo, s3
	s_cbranch_execz .LBB193_16
; %bb.13:
	s_load_b256 s[0:7], s[0:1], 0x10
	s_ashr_i32 s12, s9, 31
	s_ashr_i32 s13, s10, 31
	s_mul_i32 s16, s12, s15
	s_mul_hi_u32 s14, s9, s15
	s_mul_i32 s9, s9, s15
	s_delay_alu instid0(SALU_CYCLE_1)
	s_mul_i32 s17, s9, s13
	s_mul_hi_u32 s18, s9, s10
	s_waitcnt lgkmcnt(0)
	s_mul_i32 s5, s15, s5
	s_mul_hi_u32 s12, s15, s4
	s_mul_i32 s4, s15, s4
	s_add_i32 s5, s12, s5
	s_ashr_i32 s13, s2, 31
	s_lshl_b64 s[4:5], s[4:5], 4
	s_mov_b32 s12, s2
	s_add_u32 s2, s0, s4
	s_addc_u32 s4, s1, s5
	s_lshl_b64 s[0:1], s[12:13], 4
	v_mad_u64_u32 v[3:4], null, v1, s3, v[0:1]
	s_add_u32 s0, s2, s0
	s_addc_u32 s1, s4, s1
	s_add_i32 s2, s14, s16
	v_mov_b32_e32 v4, 0
	s_add_i32 s3, s18, s17
	s_mul_i32 s2, s2, s10
	s_mov_b32 s4, 0
	s_add_i32 s3, s3, s2
	s_mul_i32 s2, s9, s10
	v_lshlrev_b64 v[2:3], 4, v[3:4]
	s_lshl_b64 s[2:3], s[2:3], 3
	s_delay_alu instid0(SALU_CYCLE_1)
	s_add_u32 s2, s6, s2
	s_addc_u32 s3, s7, s3
	s_cmp_lg_u32 s8, 0
	s_cbranch_scc0 .LBB193_17
; %bb.14:
	v_mad_u64_u32 v[5:6], null, v1, s11, v[0:1]
	v_mov_b32_e32 v6, v4
	s_delay_alu instid0(VALU_DEP_1) | instskip(NEXT) | instid1(VALU_DEP_1)
	v_lshlrev_b64 v[4:5], 3, v[5:6]
	v_add_co_u32 v4, vcc_lo, s2, v4
	s_delay_alu instid0(VALU_DEP_2)
	v_add_co_ci_u32_e32 v5, vcc_lo, s3, v5, vcc_lo
	v_add_co_u32 v6, vcc_lo, s0, v2
	v_add_co_ci_u32_e32 v7, vcc_lo, s1, v3, vcc_lo
	global_load_b64 v[4:5], v[4:5], off
	s_waitcnt vmcnt(0)
	global_store_b64 v[6:7], v[4:5], off offset:8
	s_and_not1_b32 vcc_lo, exec_lo, s4
	s_cbranch_vccnz .LBB193_16
.LBB193_15:
	v_add_co_u32 v2, vcc_lo, s0, v2
	v_add_co_ci_u32_e32 v3, vcc_lo, s1, v3, vcc_lo
	v_mad_u64_u32 v[4:5], null, v1, s11, v[0:1]
	v_mov_b32_e32 v5, 0
	global_load_b64 v[2:3], v[2:3], off offset:8
	v_lshlrev_b64 v[0:1], 3, v[4:5]
	s_delay_alu instid0(VALU_DEP_1) | instskip(NEXT) | instid1(VALU_DEP_2)
	v_add_co_u32 v0, vcc_lo, s2, v0
	v_add_co_ci_u32_e32 v1, vcc_lo, s3, v1, vcc_lo
	s_waitcnt vmcnt(0)
	global_store_b64 v[0:1], v[2:3], off
.LBB193_16:
	s_nop 0
	s_sendmsg sendmsg(MSG_DEALLOC_VGPRS)
	s_endpgm
.LBB193_17:
	s_branch .LBB193_15
	.section	.rodata,"a",@progbits
	.p2align	6, 0x0
	.amdhsa_kernel _ZN9rocsolver6v33100L8copy_matI19rocblas_complex_numIdEdLb0EPS3_TnNSt9enable_ifIX18rocblas_is_complexIT_EEiE4typeELi0EEEvNS0_17copymat_directionEiiT2_iilPT0_13rocblas_fill_17rocblas_diagonal_
		.amdhsa_group_segment_fixed_size 0
		.amdhsa_private_segment_fixed_size 0
		.amdhsa_kernarg_size 312
		.amdhsa_user_sgpr_count 13
		.amdhsa_user_sgpr_dispatch_ptr 0
		.amdhsa_user_sgpr_queue_ptr 0
		.amdhsa_user_sgpr_kernarg_segment_ptr 1
		.amdhsa_user_sgpr_dispatch_id 0
		.amdhsa_user_sgpr_private_segment_size 0
		.amdhsa_wavefront_size32 1
		.amdhsa_uses_dynamic_stack 0
		.amdhsa_enable_private_segment 0
		.amdhsa_system_sgpr_workgroup_id_x 1
		.amdhsa_system_sgpr_workgroup_id_y 1
		.amdhsa_system_sgpr_workgroup_id_z 1
		.amdhsa_system_sgpr_workgroup_info 0
		.amdhsa_system_vgpr_workitem_id 1
		.amdhsa_next_free_vgpr 8
		.amdhsa_next_free_sgpr 19
		.amdhsa_reserve_vcc 1
		.amdhsa_float_round_mode_32 0
		.amdhsa_float_round_mode_16_64 0
		.amdhsa_float_denorm_mode_32 3
		.amdhsa_float_denorm_mode_16_64 3
		.amdhsa_dx10_clamp 1
		.amdhsa_ieee_mode 1
		.amdhsa_fp16_overflow 0
		.amdhsa_workgroup_processor_mode 1
		.amdhsa_memory_ordered 1
		.amdhsa_forward_progress 0
		.amdhsa_shared_vgpr_count 0
		.amdhsa_exception_fp_ieee_invalid_op 0
		.amdhsa_exception_fp_denorm_src 0
		.amdhsa_exception_fp_ieee_div_zero 0
		.amdhsa_exception_fp_ieee_overflow 0
		.amdhsa_exception_fp_ieee_underflow 0
		.amdhsa_exception_fp_ieee_inexact 0
		.amdhsa_exception_int_div_zero 0
	.end_amdhsa_kernel
	.section	.text._ZN9rocsolver6v33100L8copy_matI19rocblas_complex_numIdEdLb0EPS3_TnNSt9enable_ifIX18rocblas_is_complexIT_EEiE4typeELi0EEEvNS0_17copymat_directionEiiT2_iilPT0_13rocblas_fill_17rocblas_diagonal_,"axG",@progbits,_ZN9rocsolver6v33100L8copy_matI19rocblas_complex_numIdEdLb0EPS3_TnNSt9enable_ifIX18rocblas_is_complexIT_EEiE4typeELi0EEEvNS0_17copymat_directionEiiT2_iilPT0_13rocblas_fill_17rocblas_diagonal_,comdat
.Lfunc_end193:
	.size	_ZN9rocsolver6v33100L8copy_matI19rocblas_complex_numIdEdLb0EPS3_TnNSt9enable_ifIX18rocblas_is_complexIT_EEiE4typeELi0EEEvNS0_17copymat_directionEiiT2_iilPT0_13rocblas_fill_17rocblas_diagonal_, .Lfunc_end193-_ZN9rocsolver6v33100L8copy_matI19rocblas_complex_numIdEdLb0EPS3_TnNSt9enable_ifIX18rocblas_is_complexIT_EEiE4typeELi0EEEvNS0_17copymat_directionEiiT2_iilPT0_13rocblas_fill_17rocblas_diagonal_
                                        ; -- End function
	.section	.AMDGPU.csdata,"",@progbits
; Kernel info:
; codeLenInByte = 644
; NumSgprs: 21
; NumVgprs: 8
; ScratchSize: 0
; MemoryBound: 0
; FloatMode: 240
; IeeeMode: 1
; LDSByteSize: 0 bytes/workgroup (compile time only)
; SGPRBlocks: 2
; VGPRBlocks: 0
; NumSGPRsForWavesPerEU: 21
; NumVGPRsForWavesPerEU: 8
; Occupancy: 16
; WaveLimiterHint : 0
; COMPUTE_PGM_RSRC2:SCRATCH_EN: 0
; COMPUTE_PGM_RSRC2:USER_SGPR: 13
; COMPUTE_PGM_RSRC2:TRAP_HANDLER: 0
; COMPUTE_PGM_RSRC2:TGID_X_EN: 1
; COMPUTE_PGM_RSRC2:TGID_Y_EN: 1
; COMPUTE_PGM_RSRC2:TGID_Z_EN: 1
; COMPUTE_PGM_RSRC2:TIDIG_COMP_CNT: 1
	.section	.text._ZN9rocsolver6v33100L8set_zeroI19rocblas_complex_numIdEPS3_EEviiT0_iil13rocblas_fill_,"axG",@progbits,_ZN9rocsolver6v33100L8set_zeroI19rocblas_complex_numIdEPS3_EEviiT0_iil13rocblas_fill_,comdat
	.globl	_ZN9rocsolver6v33100L8set_zeroI19rocblas_complex_numIdEPS3_EEviiT0_iil13rocblas_fill_ ; -- Begin function _ZN9rocsolver6v33100L8set_zeroI19rocblas_complex_numIdEPS3_EEviiT0_iil13rocblas_fill_
	.p2align	8
	.type	_ZN9rocsolver6v33100L8set_zeroI19rocblas_complex_numIdEPS3_EEviiT0_iil13rocblas_fill_,@function
_ZN9rocsolver6v33100L8set_zeroI19rocblas_complex_numIdEPS3_EEviiT0_iil13rocblas_fill_: ; @_ZN9rocsolver6v33100L8set_zeroI19rocblas_complex_numIdEPS3_EEviiT0_iil13rocblas_fill_
; %bb.0:
	s_clause 0x1
	s_load_b32 s4, s[0:1], 0x34
	s_load_b64 s[2:3], s[0:1], 0x0
	v_and_b32_e32 v2, 0x3ff, v0
	v_bfe_u32 v3, v0, 10, 10
	s_waitcnt lgkmcnt(0)
	s_lshr_b32 s5, s4, 16
	s_and_b32 s4, s4, 0xffff
	s_delay_alu instid0(VALU_DEP_1) | instid1(SALU_CYCLE_1)
	v_mad_u64_u32 v[0:1], null, s13, s4, v[2:3]
	v_mad_u64_u32 v[1:2], null, s14, s5, v[3:4]
	s_delay_alu instid0(VALU_DEP_2) | instskip(NEXT) | instid1(VALU_DEP_2)
	v_cmp_gt_u32_e32 vcc_lo, s2, v0
	v_cmp_gt_u32_e64 s2, s3, v1
	s_delay_alu instid0(VALU_DEP_1) | instskip(NEXT) | instid1(SALU_CYCLE_1)
	s_and_b32 s2, vcc_lo, s2
	s_and_saveexec_b32 s3, s2
	s_cbranch_execz .LBB194_12
; %bb.1:
	s_load_b32 s3, s[0:1], 0x20
	s_waitcnt lgkmcnt(0)
	s_cmpk_lt_i32 s3, 0x7a
	s_cbranch_scc1 .LBB194_4
; %bb.2:
	s_cmpk_gt_i32 s3, 0x7a
	s_cbranch_scc0 .LBB194_5
; %bb.3:
	s_cmpk_eq_i32 s3, 0x7b
	s_cselect_b32 s2, -1, 0
	s_cbranch_execz .LBB194_6
	s_branch .LBB194_7
.LBB194_4:
	s_mov_b32 s2, 0
	s_cbranch_execnz .LBB194_8
	s_branch .LBB194_10
.LBB194_5:
	s_mov_b32 s2, 0
.LBB194_6:
	v_cmp_gt_u32_e32 vcc_lo, v1, v0
	s_and_not1_b32 s2, s2, exec_lo
	s_and_b32 s4, vcc_lo, exec_lo
	s_delay_alu instid0(SALU_CYCLE_1)
	s_or_b32 s2, s2, s4
.LBB194_7:
	s_branch .LBB194_10
.LBB194_8:
	s_cmpk_eq_i32 s3, 0x79
	s_cbranch_scc0 .LBB194_10
; %bb.9:
	v_cmp_gt_u32_e32 vcc_lo, v0, v1
	s_and_not1_b32 s2, s2, exec_lo
	s_and_b32 s3, vcc_lo, exec_lo
	s_delay_alu instid0(SALU_CYCLE_1)
	s_or_b32 s2, s2, s3
.LBB194_10:
	s_delay_alu instid0(SALU_CYCLE_1)
	s_and_b32 exec_lo, exec_lo, s2
	s_cbranch_execz .LBB194_12
; %bb.11:
	s_clause 0x1
	s_load_b64 s[4:5], s[0:1], 0x18
	s_load_b128 s[0:3], s[0:1], 0x8
	s_waitcnt lgkmcnt(0)
	s_mul_i32 s5, s15, s5
	v_mad_u64_u32 v[2:3], null, v1, s3, v[0:1]
	s_mul_hi_u32 s6, s15, s4
	v_mov_b32_e32 v3, 0
	s_mul_i32 s4, s15, s4
	s_add_i32 s5, s6, s5
	s_ashr_i32 s3, s2, 31
	s_lshl_b64 s[4:5], s[4:5], 4
	s_delay_alu instid0(VALU_DEP_2)
	v_lshlrev_b64 v[0:1], 4, v[2:3]
	s_add_u32 s4, s0, s4
	s_addc_u32 s5, s1, s5
	s_lshl_b64 s[0:1], s[2:3], 4
	v_mov_b32_e32 v4, v3
	s_add_u32 s0, s4, s0
	s_addc_u32 s1, s5, s1
	v_add_co_u32 v0, vcc_lo, s0, v0
	v_mov_b32_e32 v2, v3
	v_add_co_ci_u32_e32 v1, vcc_lo, s1, v1, vcc_lo
	v_mov_b32_e32 v5, v3
	global_store_b128 v[0:1], v[2:5], off
.LBB194_12:
	s_nop 0
	s_sendmsg sendmsg(MSG_DEALLOC_VGPRS)
	s_endpgm
	.section	.rodata,"a",@progbits
	.p2align	6, 0x0
	.amdhsa_kernel _ZN9rocsolver6v33100L8set_zeroI19rocblas_complex_numIdEPS3_EEviiT0_iil13rocblas_fill_
		.amdhsa_group_segment_fixed_size 0
		.amdhsa_private_segment_fixed_size 0
		.amdhsa_kernarg_size 296
		.amdhsa_user_sgpr_count 13
		.amdhsa_user_sgpr_dispatch_ptr 0
		.amdhsa_user_sgpr_queue_ptr 0
		.amdhsa_user_sgpr_kernarg_segment_ptr 1
		.amdhsa_user_sgpr_dispatch_id 0
		.amdhsa_user_sgpr_private_segment_size 0
		.amdhsa_wavefront_size32 1
		.amdhsa_uses_dynamic_stack 0
		.amdhsa_enable_private_segment 0
		.amdhsa_system_sgpr_workgroup_id_x 1
		.amdhsa_system_sgpr_workgroup_id_y 1
		.amdhsa_system_sgpr_workgroup_id_z 1
		.amdhsa_system_sgpr_workgroup_info 0
		.amdhsa_system_vgpr_workitem_id 1
		.amdhsa_next_free_vgpr 6
		.amdhsa_next_free_sgpr 16
		.amdhsa_reserve_vcc 1
		.amdhsa_float_round_mode_32 0
		.amdhsa_float_round_mode_16_64 0
		.amdhsa_float_denorm_mode_32 3
		.amdhsa_float_denorm_mode_16_64 3
		.amdhsa_dx10_clamp 1
		.amdhsa_ieee_mode 1
		.amdhsa_fp16_overflow 0
		.amdhsa_workgroup_processor_mode 1
		.amdhsa_memory_ordered 1
		.amdhsa_forward_progress 0
		.amdhsa_shared_vgpr_count 0
		.amdhsa_exception_fp_ieee_invalid_op 0
		.amdhsa_exception_fp_denorm_src 0
		.amdhsa_exception_fp_ieee_div_zero 0
		.amdhsa_exception_fp_ieee_overflow 0
		.amdhsa_exception_fp_ieee_underflow 0
		.amdhsa_exception_fp_ieee_inexact 0
		.amdhsa_exception_int_div_zero 0
	.end_amdhsa_kernel
	.section	.text._ZN9rocsolver6v33100L8set_zeroI19rocblas_complex_numIdEPS3_EEviiT0_iil13rocblas_fill_,"axG",@progbits,_ZN9rocsolver6v33100L8set_zeroI19rocblas_complex_numIdEPS3_EEviiT0_iil13rocblas_fill_,comdat
.Lfunc_end194:
	.size	_ZN9rocsolver6v33100L8set_zeroI19rocblas_complex_numIdEPS3_EEviiT0_iil13rocblas_fill_, .Lfunc_end194-_ZN9rocsolver6v33100L8set_zeroI19rocblas_complex_numIdEPS3_EEviiT0_iil13rocblas_fill_
                                        ; -- End function
	.section	.AMDGPU.csdata,"",@progbits
; Kernel info:
; codeLenInByte = 364
; NumSgprs: 18
; NumVgprs: 6
; ScratchSize: 0
; MemoryBound: 0
; FloatMode: 240
; IeeeMode: 1
; LDSByteSize: 0 bytes/workgroup (compile time only)
; SGPRBlocks: 2
; VGPRBlocks: 0
; NumSGPRsForWavesPerEU: 18
; NumVGPRsForWavesPerEU: 6
; Occupancy: 16
; WaveLimiterHint : 0
; COMPUTE_PGM_RSRC2:SCRATCH_EN: 0
; COMPUTE_PGM_RSRC2:USER_SGPR: 13
; COMPUTE_PGM_RSRC2:TRAP_HANDLER: 0
; COMPUTE_PGM_RSRC2:TGID_X_EN: 1
; COMPUTE_PGM_RSRC2:TGID_Y_EN: 1
; COMPUTE_PGM_RSRC2:TGID_Z_EN: 1
; COMPUTE_PGM_RSRC2:TIDIG_COMP_CNT: 1
	.section	.text._ZN9rocsolver6v33100L8copy_matI19rocblas_complex_numIdEdLb1EPS3_TnNSt9enable_ifIX18rocblas_is_complexIT_EEiE4typeELi0EEEvNS0_17copymat_directionEiiT2_iilPT0_13rocblas_fill_17rocblas_diagonal_,"axG",@progbits,_ZN9rocsolver6v33100L8copy_matI19rocblas_complex_numIdEdLb1EPS3_TnNSt9enable_ifIX18rocblas_is_complexIT_EEiE4typeELi0EEEvNS0_17copymat_directionEiiT2_iilPT0_13rocblas_fill_17rocblas_diagonal_,comdat
	.globl	_ZN9rocsolver6v33100L8copy_matI19rocblas_complex_numIdEdLb1EPS3_TnNSt9enable_ifIX18rocblas_is_complexIT_EEiE4typeELi0EEEvNS0_17copymat_directionEiiT2_iilPT0_13rocblas_fill_17rocblas_diagonal_ ; -- Begin function _ZN9rocsolver6v33100L8copy_matI19rocblas_complex_numIdEdLb1EPS3_TnNSt9enable_ifIX18rocblas_is_complexIT_EEiE4typeELi0EEEvNS0_17copymat_directionEiiT2_iilPT0_13rocblas_fill_17rocblas_diagonal_
	.p2align	8
	.type	_ZN9rocsolver6v33100L8copy_matI19rocblas_complex_numIdEdLb1EPS3_TnNSt9enable_ifIX18rocblas_is_complexIT_EEiE4typeELi0EEEvNS0_17copymat_directionEiiT2_iilPT0_13rocblas_fill_17rocblas_diagonal_,@function
_ZN9rocsolver6v33100L8copy_matI19rocblas_complex_numIdEdLb1EPS3_TnNSt9enable_ifIX18rocblas_is_complexIT_EEiE4typeELi0EEEvNS0_17copymat_directionEiiT2_iilPT0_13rocblas_fill_17rocblas_diagonal_: ; @_ZN9rocsolver6v33100L8copy_matI19rocblas_complex_numIdEdLb1EPS3_TnNSt9enable_ifIX18rocblas_is_complexIT_EEiE4typeELi0EEEvNS0_17copymat_directionEiiT2_iilPT0_13rocblas_fill_17rocblas_diagonal_
; %bb.0:
	s_clause 0x1
	s_load_b32 s2, s[0:1], 0x44
	s_load_b128 s[8:11], s[0:1], 0x0
	v_and_b32_e32 v2, 0x3ff, v0
	v_bfe_u32 v3, v0, 10, 10
	s_waitcnt lgkmcnt(0)
	s_lshr_b32 s3, s2, 16
	s_and_b32 s2, s2, 0xffff
	s_delay_alu instid0(VALU_DEP_1) | instid1(SALU_CYCLE_1)
	v_mad_u64_u32 v[0:1], null, s13, s2, v[2:3]
	v_mad_u64_u32 v[1:2], null, s14, s3, v[3:4]
	s_delay_alu instid0(VALU_DEP_2) | instskip(NEXT) | instid1(VALU_DEP_2)
	v_cmp_gt_u32_e32 vcc_lo, s9, v0
	v_cmp_gt_u32_e64 s2, s10, v1
	s_delay_alu instid0(VALU_DEP_1) | instskip(NEXT) | instid1(SALU_CYCLE_1)
	s_and_b32 s2, s2, vcc_lo
	s_and_saveexec_b32 s3, s2
	s_cbranch_execz .LBB195_16
; %bb.1:
	s_load_b64 s[4:5], s[0:1], 0x30
	s_mov_b32 s11, s9
	s_waitcnt lgkmcnt(0)
	s_cmpk_lt_i32 s4, 0x7a
	s_cbranch_scc1 .LBB195_4
; %bb.2:
	s_cmpk_gt_i32 s4, 0x7a
	s_cbranch_scc0 .LBB195_5
; %bb.3:
	s_cmpk_lg_i32 s4, 0x7b
	s_mov_b32 s3, -1
	s_cselect_b32 s6, -1, 0
	s_cbranch_execz .LBB195_6
	s_branch .LBB195_7
.LBB195_4:
	s_mov_b32 s6, 0
	s_mov_b32 s3, 0
	s_cbranch_execnz .LBB195_8
	s_branch .LBB195_10
.LBB195_5:
	s_mov_b32 s3, 0
	s_mov_b32 s6, 0
.LBB195_6:
	v_cmp_gt_u32_e32 vcc_lo, v0, v1
	v_cmp_le_u32_e64 s2, v0, v1
	s_and_not1_b32 s3, s3, exec_lo
	s_and_not1_b32 s6, s6, exec_lo
	s_and_b32 s7, vcc_lo, exec_lo
	s_delay_alu instid0(VALU_DEP_1)
	s_and_b32 s2, s2, exec_lo
	s_or_b32 s3, s3, s7
	s_or_b32 s6, s6, s2
.LBB195_7:
	s_branch .LBB195_10
.LBB195_8:
	s_cmpk_eq_i32 s4, 0x79
	s_mov_b32 s6, -1
	s_cbranch_scc0 .LBB195_10
; %bb.9:
	v_cmp_gt_u32_e32 vcc_lo, v1, v0
	v_cmp_le_u32_e64 s2, v1, v0
	s_and_not1_b32 s3, s3, exec_lo
	s_and_b32 s4, vcc_lo, exec_lo
	s_delay_alu instid0(VALU_DEP_1)
	s_or_not1_b32 s6, s2, exec_lo
	s_or_b32 s3, s3, s4
.LBB195_10:
	s_and_saveexec_b32 s2, s6
; %bb.11:
	v_cmp_eq_u32_e32 vcc_lo, v0, v1
	s_cmpk_eq_i32 s5, 0x83
	s_cselect_b32 s4, -1, 0
	s_and_not1_b32 s3, s3, exec_lo
	s_and_b32 s4, s4, vcc_lo
	s_delay_alu instid0(SALU_CYCLE_1) | instskip(NEXT) | instid1(SALU_CYCLE_1)
	s_and_b32 s4, s4, exec_lo
	s_or_b32 s3, s3, s4
; %bb.12:
	s_or_b32 exec_lo, exec_lo, s2
	s_delay_alu instid0(SALU_CYCLE_1)
	s_and_b32 exec_lo, exec_lo, s3
	s_cbranch_execz .LBB195_16
; %bb.13:
	s_load_b256 s[0:7], s[0:1], 0x10
	s_ashr_i32 s12, s9, 31
	s_ashr_i32 s13, s10, 31
	s_mul_i32 s16, s12, s15
	s_mul_hi_u32 s14, s9, s15
	s_mul_i32 s9, s9, s15
	s_delay_alu instid0(SALU_CYCLE_1)
	s_mul_i32 s17, s9, s13
	s_waitcnt lgkmcnt(0)
	s_mul_i32 s5, s15, s5
	s_mul_hi_u32 s12, s15, s4
	s_mul_i32 s4, s15, s4
	s_add_i32 s5, s12, s5
	s_ashr_i32 s13, s2, 31
	s_lshl_b64 s[4:5], s[4:5], 4
	s_mov_b32 s12, s2
	s_add_u32 s2, s0, s4
	s_addc_u32 s4, s1, s5
	s_lshl_b64 s[0:1], s[12:13], 4
	s_mul_hi_u32 s5, s9, s10
	s_add_u32 s0, s2, s0
	s_addc_u32 s1, s4, s1
	s_add_i32 s2, s14, s16
	s_add_i32 s4, s5, s17
	s_mul_i32 s2, s2, s10
	s_delay_alu instid0(SALU_CYCLE_1) | instskip(SKIP_1) | instid1(SALU_CYCLE_1)
	s_add_i32 s5, s4, s2
	s_mul_i32 s4, s9, s10
	s_lshl_b64 s[4:5], s[4:5], 3
	s_delay_alu instid0(SALU_CYCLE_1)
	s_add_u32 s2, s6, s4
	s_addc_u32 s4, s7, s5
	s_cmp_lg_u32 s8, 0
	s_mov_b32 s5, 0
	s_cbranch_scc0 .LBB195_17
; %bb.14:
	v_mad_u64_u32 v[2:3], null, v1, s11, v[0:1]
	v_mov_b32_e32 v3, 0
	v_mad_u64_u32 v[6:7], null, v1, s3, v[0:1]
	s_delay_alu instid0(VALU_DEP_2) | instskip(NEXT) | instid1(VALU_DEP_4)
	v_mov_b32_e32 v7, v3
	v_lshlrev_b64 v[4:5], 3, v[2:3]
	s_delay_alu instid0(VALU_DEP_2) | instskip(NEXT) | instid1(VALU_DEP_2)
	v_lshlrev_b64 v[2:3], 4, v[6:7]
	v_add_co_u32 v4, vcc_lo, s2, v4
	s_delay_alu instid0(VALU_DEP_3) | instskip(NEXT) | instid1(VALU_DEP_3)
	v_add_co_ci_u32_e32 v5, vcc_lo, s4, v5, vcc_lo
	v_add_co_u32 v2, vcc_lo, s0, v2
	s_delay_alu instid0(VALU_DEP_4)
	v_add_co_ci_u32_e32 v3, vcc_lo, s1, v3, vcc_lo
	global_load_b64 v[4:5], v[4:5], off
	s_waitcnt vmcnt(0)
	global_store_b64 v[2:3], v[4:5], off
	s_and_not1_b32 vcc_lo, exec_lo, s5
	s_cbranch_vccnz .LBB195_16
.LBB195_15:
	v_mad_u64_u32 v[2:3], null, v1, s3, v[0:1]
	v_mov_b32_e32 v3, 0
	v_mad_u64_u32 v[6:7], null, v1, s11, v[0:1]
	s_delay_alu instid0(VALU_DEP_2) | instskip(NEXT) | instid1(VALU_DEP_4)
	v_mov_b32_e32 v7, v3
	v_lshlrev_b64 v[4:5], 4, v[2:3]
	s_delay_alu instid0(VALU_DEP_2) | instskip(NEXT) | instid1(VALU_DEP_2)
	v_lshlrev_b64 v[0:1], 3, v[6:7]
	v_add_co_u32 v4, vcc_lo, s0, v4
	s_delay_alu instid0(VALU_DEP_3) | instskip(NEXT) | instid1(VALU_DEP_3)
	v_add_co_ci_u32_e32 v5, vcc_lo, s1, v5, vcc_lo
	v_add_co_u32 v0, vcc_lo, s2, v0
	s_delay_alu instid0(VALU_DEP_4)
	v_add_co_ci_u32_e32 v1, vcc_lo, s4, v1, vcc_lo
	global_load_b64 v[4:5], v[4:5], off
	s_waitcnt vmcnt(0)
	global_store_b64 v[0:1], v[4:5], off
.LBB195_16:
	s_nop 0
	s_sendmsg sendmsg(MSG_DEALLOC_VGPRS)
	s_endpgm
.LBB195_17:
	s_branch .LBB195_15
	.section	.rodata,"a",@progbits
	.p2align	6, 0x0
	.amdhsa_kernel _ZN9rocsolver6v33100L8copy_matI19rocblas_complex_numIdEdLb1EPS3_TnNSt9enable_ifIX18rocblas_is_complexIT_EEiE4typeELi0EEEvNS0_17copymat_directionEiiT2_iilPT0_13rocblas_fill_17rocblas_diagonal_
		.amdhsa_group_segment_fixed_size 0
		.amdhsa_private_segment_fixed_size 0
		.amdhsa_kernarg_size 312
		.amdhsa_user_sgpr_count 13
		.amdhsa_user_sgpr_dispatch_ptr 0
		.amdhsa_user_sgpr_queue_ptr 0
		.amdhsa_user_sgpr_kernarg_segment_ptr 1
		.amdhsa_user_sgpr_dispatch_id 0
		.amdhsa_user_sgpr_private_segment_size 0
		.amdhsa_wavefront_size32 1
		.amdhsa_uses_dynamic_stack 0
		.amdhsa_enable_private_segment 0
		.amdhsa_system_sgpr_workgroup_id_x 1
		.amdhsa_system_sgpr_workgroup_id_y 1
		.amdhsa_system_sgpr_workgroup_id_z 1
		.amdhsa_system_sgpr_workgroup_info 0
		.amdhsa_system_vgpr_workitem_id 1
		.amdhsa_next_free_vgpr 8
		.amdhsa_next_free_sgpr 18
		.amdhsa_reserve_vcc 1
		.amdhsa_float_round_mode_32 0
		.amdhsa_float_round_mode_16_64 0
		.amdhsa_float_denorm_mode_32 3
		.amdhsa_float_denorm_mode_16_64 3
		.amdhsa_dx10_clamp 1
		.amdhsa_ieee_mode 1
		.amdhsa_fp16_overflow 0
		.amdhsa_workgroup_processor_mode 1
		.amdhsa_memory_ordered 1
		.amdhsa_forward_progress 0
		.amdhsa_shared_vgpr_count 0
		.amdhsa_exception_fp_ieee_invalid_op 0
		.amdhsa_exception_fp_denorm_src 0
		.amdhsa_exception_fp_ieee_div_zero 0
		.amdhsa_exception_fp_ieee_overflow 0
		.amdhsa_exception_fp_ieee_underflow 0
		.amdhsa_exception_fp_ieee_inexact 0
		.amdhsa_exception_int_div_zero 0
	.end_amdhsa_kernel
	.section	.text._ZN9rocsolver6v33100L8copy_matI19rocblas_complex_numIdEdLb1EPS3_TnNSt9enable_ifIX18rocblas_is_complexIT_EEiE4typeELi0EEEvNS0_17copymat_directionEiiT2_iilPT0_13rocblas_fill_17rocblas_diagonal_,"axG",@progbits,_ZN9rocsolver6v33100L8copy_matI19rocblas_complex_numIdEdLb1EPS3_TnNSt9enable_ifIX18rocblas_is_complexIT_EEiE4typeELi0EEEvNS0_17copymat_directionEiiT2_iilPT0_13rocblas_fill_17rocblas_diagonal_,comdat
.Lfunc_end195:
	.size	_ZN9rocsolver6v33100L8copy_matI19rocblas_complex_numIdEdLb1EPS3_TnNSt9enable_ifIX18rocblas_is_complexIT_EEiE4typeELi0EEEvNS0_17copymat_directionEiiT2_iilPT0_13rocblas_fill_17rocblas_diagonal_, .Lfunc_end195-_ZN9rocsolver6v33100L8copy_matI19rocblas_complex_numIdEdLb1EPS3_TnNSt9enable_ifIX18rocblas_is_complexIT_EEiE4typeELi0EEEvNS0_17copymat_directionEiiT2_iilPT0_13rocblas_fill_17rocblas_diagonal_
                                        ; -- End function
	.section	.AMDGPU.csdata,"",@progbits
; Kernel info:
; codeLenInByte = 688
; NumSgprs: 20
; NumVgprs: 8
; ScratchSize: 0
; MemoryBound: 0
; FloatMode: 240
; IeeeMode: 1
; LDSByteSize: 0 bytes/workgroup (compile time only)
; SGPRBlocks: 2
; VGPRBlocks: 0
; NumSGPRsForWavesPerEU: 20
; NumVGPRsForWavesPerEU: 8
; Occupancy: 16
; WaveLimiterHint : 0
; COMPUTE_PGM_RSRC2:SCRATCH_EN: 0
; COMPUTE_PGM_RSRC2:USER_SGPR: 13
; COMPUTE_PGM_RSRC2:TRAP_HANDLER: 0
; COMPUTE_PGM_RSRC2:TGID_X_EN: 1
; COMPUTE_PGM_RSRC2:TGID_Y_EN: 1
; COMPUTE_PGM_RSRC2:TGID_Z_EN: 1
; COMPUTE_PGM_RSRC2:TIDIG_COMP_CNT: 1
	.section	.text._ZN9rocsolver6v33100L11stedc_copyCI19rocblas_complex_numIdEPS3_S4_EEviT0_iilT1_iil,"axG",@progbits,_ZN9rocsolver6v33100L11stedc_copyCI19rocblas_complex_numIdEPS3_S4_EEviT0_iilT1_iil,comdat
	.globl	_ZN9rocsolver6v33100L11stedc_copyCI19rocblas_complex_numIdEPS3_S4_EEviT0_iilT1_iil ; -- Begin function _ZN9rocsolver6v33100L11stedc_copyCI19rocblas_complex_numIdEPS3_S4_EEviT0_iilT1_iil
	.p2align	8
	.type	_ZN9rocsolver6v33100L11stedc_copyCI19rocblas_complex_numIdEPS3_S4_EEviT0_iilT1_iil,@function
_ZN9rocsolver6v33100L11stedc_copyCI19rocblas_complex_numIdEPS3_S4_EEviT0_iilT1_iil: ; @_ZN9rocsolver6v33100L11stedc_copyCI19rocblas_complex_numIdEPS3_S4_EEviT0_iilT1_iil
; %bb.0:
	s_clause 0x1
	s_load_b32 s2, s[0:1], 0x44
	s_load_b32 s18, s[0:1], 0x0
	s_waitcnt lgkmcnt(0)
	s_and_b32 s16, s2, 0xffff
	s_add_i32 s4, s18, -1
	s_lshl_b32 s17, s16, 4
	s_abs_i32 s5, s4
	v_cvt_f32_u32_e32 v1, s17
	s_sub_i32 s3, 0, s17
	s_ashr_i32 s4, s4, 31
	s_delay_alu instid0(VALU_DEP_1) | instskip(SKIP_2) | instid1(VALU_DEP_1)
	v_rcp_iflag_f32_e32 v1, v1
	s_waitcnt_depctr 0xfff
	v_mul_f32_e32 v1, 0x4f7ffffe, v1
	v_cvt_u32_f32_e32 v1, v1
	s_delay_alu instid0(VALU_DEP_1) | instskip(NEXT) | instid1(VALU_DEP_1)
	v_readfirstlane_b32 s2, v1
	s_mul_i32 s3, s3, s2
	s_delay_alu instid0(SALU_CYCLE_1) | instskip(NEXT) | instid1(SALU_CYCLE_1)
	s_mul_hi_u32 s3, s2, s3
	s_add_i32 s2, s2, s3
	s_delay_alu instid0(SALU_CYCLE_1) | instskip(NEXT) | instid1(SALU_CYCLE_1)
	s_mul_hi_u32 s2, s5, s2
	s_mul_i32 s3, s2, s17
	s_delay_alu instid0(SALU_CYCLE_1)
	s_sub_i32 s3, s5, s3
	s_add_i32 s5, s2, 1
	s_sub_i32 s6, s3, s17
	s_cmp_ge_u32 s3, s17
	s_cselect_b32 s2, s5, s2
	s_cselect_b32 s3, s6, s3
	s_add_i32 s5, s2, 1
	s_cmp_ge_u32 s3, s17
	s_cselect_b32 s2, s5, s2
	s_delay_alu instid0(SALU_CYCLE_1) | instskip(NEXT) | instid1(SALU_CYCLE_1)
	s_xor_b32 s2, s2, s4
	s_sub_i32 s12, s2, s4
	s_delay_alu instid0(SALU_CYCLE_1)
	s_cmp_lt_i32 s12, 0
	s_cbranch_scc1 .LBB196_67
; %bb.1:
	s_clause 0x1
	s_load_b256 s[4:11], s[0:1], 0x8
	s_load_b128 s[0:3], s[0:1], 0x28
	s_ashr_i32 s13, s15, 31
	s_movk_i32 s19, 0x50
	s_movk_i32 s22, 0x60
	v_add_nc_u32_e64 v36, s19, 0
	v_add_nc_u32_e64 v37, s22, 0
	s_movk_i32 s23, 0x70
	s_movk_i32 s24, 0x80
	;; [unrolled: 1-line block ×3, first 2 shown]
	v_add_nc_u32_e64 v32, 0, 16
	v_add_nc_u32_e64 v33, 0, 32
	v_add_nc_u32_e64 v34, 0, 48
	v_add_nc_u32_e64 v35, 0, 64
	v_add_nc_u32_e64 v38, s23, 0
	v_add_nc_u32_e64 v39, s24, 0
	v_add_nc_u32_e64 v40, s25, 0
	s_mul_i32 s25, s16, 3
	s_mul_i32 s27, s16, 5
	;; [unrolled: 1-line block ×3, first 2 shown]
	s_waitcnt lgkmcnt(0)
	s_ashr_i32 s21, s6, 31
	s_mov_b32 s20, s6
	s_mul_i32 s6, s15, s9
	s_mul_hi_u32 s9, s15, s8
	s_mul_i32 s26, s13, s8
	s_add_i32 s6, s9, s6
	s_mul_i32 s8, s15, s8
	s_add_i32 s9, s6, s26
	s_mul_i32 s3, s15, s3
	s_lshl_b64 s[8:9], s[8:9], 4
	s_mul_hi_u32 s6, s15, s2
	s_add_u32 s8, s4, s8
	s_addc_u32 s9, s5, s9
	s_lshl_b64 s[4:5], s[20:21], 4
	s_mul_i32 s13, s13, s2
	s_add_u32 s8, s8, s4
	s_addc_u32 s9, s9, s5
	s_add_i32 s3, s6, s3
	s_mul_i32 s2, s15, s2
	s_add_i32 s3, s3, s13
	s_mov_b32 s4, s0
	s_lshl_b64 s[2:3], s[2:3], 4
	s_ashr_i32 s5, s0, 31
	s_add_u32 s0, s10, s2
	s_addc_u32 s6, s11, s3
	s_lshl_b64 s[2:3], s[4:5], 4
	s_mul_i32 s4, s14, s7
	s_add_u32 s7, s0, s2
	s_addc_u32 s6, s6, s3
	s_ashr_i32 s5, s4, 31
	s_mul_i32 s0, s14, s1
	s_lshl_b64 s[2:3], s[4:5], 4
	s_mul_i32 s29, s16, 7
	s_add_u32 s19, s8, s2
	s_addc_u32 s20, s9, s3
	s_ashr_i32 s1, s0, 31
	s_mul_i32 s31, s16, 9
	s_lshl_b64 s[0:1], s[0:1], 4
	s_mul_i32 s33, s16, 10
	s_add_u32 s21, s7, s0
	s_addc_u32 s22, s6, s1
	s_movk_i32 s0, 0xa0
	s_movk_i32 s1, 0xb0
	v_add_nc_u32_e64 v41, s0, 0
	v_add_nc_u32_e64 v42, s1, 0
	s_movk_i32 s0, 0xc0
	s_movk_i32 s1, 0xd0
	v_add_nc_u32_e64 v43, s0, 0
	v_add_nc_u32_e64 v44, s1, 0
	;; [unrolled: 4-line block ×3, first 2 shown]
	s_add_i32 s23, s12, 1
	s_lshl_b32 s24, s16, 1
	s_lshl_b32 s26, s16, 2
	;; [unrolled: 1-line block ×3, first 2 shown]
	s_mul_i32 s34, s16, 11
	s_mul_i32 s35, s16, 12
	;; [unrolled: 1-line block ×5, first 2 shown]
	s_branch .LBB196_3
.LBB196_2:                              ;   in Loop: Header=BB196_3 Depth=1
	s_or_b32 exec_lo, exec_lo, s0
	v_add_nc_u32_e32 v0, s17, v0
	s_add_i32 s23, s23, -1
	s_delay_alu instid0(SALU_CYCLE_1)
	s_cmp_eq_u32 s23, 0
	s_cbranch_scc1 .LBB196_67
.LBB196_3:                              ; =>This Inner Loop Header: Depth=1
	s_delay_alu instid0(VALU_DEP_1)
	v_cmp_gt_i32_e32 vcc_lo, s18, v0
	v_ashrrev_i32_e32 v1, 31, v0
	s_and_saveexec_b32 s1, vcc_lo
	s_cbranch_execz .LBB196_5
; %bb.4:                                ;   in Loop: Header=BB196_3 Depth=1
	s_delay_alu instid0(VALU_DEP_1) | instskip(NEXT) | instid1(VALU_DEP_1)
	v_lshlrev_b64 v[2:3], 4, v[0:1]
	v_add_co_u32 v2, s0, s19, v2
	s_delay_alu instid0(VALU_DEP_1)
	v_add_co_ci_u32_e64 v3, s0, s20, v3, s0
	global_load_b128 v[2:5], v[2:3], off
	s_waitcnt vmcnt(0)
	scratch_store_b128 off, v[2:5], off
.LBB196_5:                              ;   in Loop: Header=BB196_3 Depth=1
	s_or_b32 exec_lo, exec_lo, s1
	v_add_nc_u32_e32 v2, s16, v0
	s_delay_alu instid0(VALU_DEP_1) | instskip(SKIP_1) | instid1(VALU_DEP_2)
	v_cmp_gt_i32_e64 s0, s18, v2
	v_ashrrev_i32_e32 v3, 31, v2
	s_and_saveexec_b32 s2, s0
	s_cbranch_execz .LBB196_7
; %bb.6:                                ;   in Loop: Header=BB196_3 Depth=1
	s_delay_alu instid0(VALU_DEP_1) | instskip(NEXT) | instid1(VALU_DEP_1)
	v_lshlrev_b64 v[4:5], 4, v[2:3]
	v_add_co_u32 v4, s1, s19, v4
	s_delay_alu instid0(VALU_DEP_1)
	v_add_co_ci_u32_e64 v5, s1, s20, v5, s1
	global_load_b128 v[4:7], v[4:5], off
	s_waitcnt vmcnt(0)
	scratch_store_b128 v32, v[4:7], off
.LBB196_7:                              ;   in Loop: Header=BB196_3 Depth=1
	s_or_b32 exec_lo, exec_lo, s2
	v_add_nc_u32_e32 v6, s16, v2
	v_add_nc_u32_e32 v4, s24, v0
	s_delay_alu instid0(VALU_DEP_2) | instskip(NEXT) | instid1(VALU_DEP_2)
	v_cmp_gt_i32_e64 s1, s18, v6
	v_ashrrev_i32_e32 v5, 31, v4
	s_delay_alu instid0(VALU_DEP_2)
	s_and_saveexec_b32 s3, s1
	s_cbranch_execz .LBB196_9
; %bb.8:                                ;   in Loop: Header=BB196_3 Depth=1
	s_delay_alu instid0(VALU_DEP_1) | instskip(NEXT) | instid1(VALU_DEP_1)
	v_lshlrev_b64 v[7:8], 4, v[4:5]
	v_add_co_u32 v7, s2, s19, v7
	s_delay_alu instid0(VALU_DEP_1)
	v_add_co_ci_u32_e64 v8, s2, s20, v8, s2
	global_load_b128 v[7:10], v[7:8], off
	s_waitcnt vmcnt(0)
	scratch_store_b128 v33, v[7:10], off
.LBB196_9:                              ;   in Loop: Header=BB196_3 Depth=1
	s_or_b32 exec_lo, exec_lo, s3
	v_add_nc_u32_e32 v8, s16, v6
	v_add_nc_u32_e32 v6, s25, v0
	s_delay_alu instid0(VALU_DEP_2) | instskip(NEXT) | instid1(VALU_DEP_2)
	v_cmp_gt_i32_e64 s2, s18, v8
	v_ashrrev_i32_e32 v7, 31, v6
	s_delay_alu instid0(VALU_DEP_2)
	s_and_saveexec_b32 s4, s2
	s_cbranch_execz .LBB196_11
; %bb.10:                               ;   in Loop: Header=BB196_3 Depth=1
	s_delay_alu instid0(VALU_DEP_1) | instskip(NEXT) | instid1(VALU_DEP_1)
	v_lshlrev_b64 v[9:10], 4, v[6:7]
	v_add_co_u32 v9, s3, s19, v9
	s_delay_alu instid0(VALU_DEP_1)
	v_add_co_ci_u32_e64 v10, s3, s20, v10, s3
	global_load_b128 v[9:12], v[9:10], off
	s_waitcnt vmcnt(0)
	scratch_store_b128 v34, v[9:12], off
.LBB196_11:                             ;   in Loop: Header=BB196_3 Depth=1
	s_or_b32 exec_lo, exec_lo, s4
	v_add_nc_u32_e32 v10, s16, v8
	v_add_nc_u32_e32 v8, s26, v0
	s_delay_alu instid0(VALU_DEP_2) | instskip(NEXT) | instid1(VALU_DEP_2)
	v_cmp_gt_i32_e64 s3, s18, v10
	v_ashrrev_i32_e32 v9, 31, v8
	s_delay_alu instid0(VALU_DEP_2)
	s_and_saveexec_b32 s5, s3
	s_cbranch_execz .LBB196_13
; %bb.12:                               ;   in Loop: Header=BB196_3 Depth=1
	s_delay_alu instid0(VALU_DEP_1) | instskip(NEXT) | instid1(VALU_DEP_1)
	v_lshlrev_b64 v[11:12], 4, v[8:9]
	v_add_co_u32 v11, s4, s19, v11
	s_delay_alu instid0(VALU_DEP_1)
	v_add_co_ci_u32_e64 v12, s4, s20, v12, s4
	global_load_b128 v[11:14], v[11:12], off
	s_waitcnt vmcnt(0)
	scratch_store_b128 v35, v[11:14], off
.LBB196_13:                             ;   in Loop: Header=BB196_3 Depth=1
	;; [unrolled: 19-line block ×12, first 2 shown]
	s_or_b32 exec_lo, exec_lo, s15
	v_add_nc_u32_e32 v31, s16, v30
	v_add_nc_u32_e32 v30, s38, v0
	s_delay_alu instid0(VALU_DEP_2) | instskip(NEXT) | instid1(VALU_DEP_2)
	v_cmp_gt_i32_e64 s14, s18, v31
	v_ashrrev_i32_e32 v31, 31, v30
	s_delay_alu instid0(VALU_DEP_2)
	s_and_saveexec_b32 s39, s14
	s_cbranch_execnz .LBB196_50
; %bb.34:                               ;   in Loop: Header=BB196_3 Depth=1
	s_or_b32 exec_lo, exec_lo, s39
	s_and_saveexec_b32 s15, vcc_lo
	s_cbranch_execnz .LBB196_51
.LBB196_35:                             ;   in Loop: Header=BB196_3 Depth=1
	s_or_b32 exec_lo, exec_lo, s15
	s_and_saveexec_b32 s15, s0
	s_cbranch_execnz .LBB196_52
.LBB196_36:                             ;   in Loop: Header=BB196_3 Depth=1
	s_or_b32 exec_lo, exec_lo, s15
	s_and_saveexec_b32 s0, s1
	s_cbranch_execnz .LBB196_53
.LBB196_37:                             ;   in Loop: Header=BB196_3 Depth=1
	s_or_b32 exec_lo, exec_lo, s0
	s_and_saveexec_b32 s0, s2
	s_cbranch_execnz .LBB196_54
.LBB196_38:                             ;   in Loop: Header=BB196_3 Depth=1
	s_or_b32 exec_lo, exec_lo, s0
	s_and_saveexec_b32 s0, s3
	s_cbranch_execnz .LBB196_55
.LBB196_39:                             ;   in Loop: Header=BB196_3 Depth=1
	s_or_b32 exec_lo, exec_lo, s0
	s_and_saveexec_b32 s0, s4
	s_cbranch_execnz .LBB196_56
.LBB196_40:                             ;   in Loop: Header=BB196_3 Depth=1
	s_or_b32 exec_lo, exec_lo, s0
	s_and_saveexec_b32 s0, s5
	s_cbranch_execnz .LBB196_57
.LBB196_41:                             ;   in Loop: Header=BB196_3 Depth=1
	s_or_b32 exec_lo, exec_lo, s0
	s_and_saveexec_b32 s0, s6
	s_cbranch_execnz .LBB196_58
.LBB196_42:                             ;   in Loop: Header=BB196_3 Depth=1
	s_or_b32 exec_lo, exec_lo, s0
	s_and_saveexec_b32 s0, s7
	s_cbranch_execnz .LBB196_59
.LBB196_43:                             ;   in Loop: Header=BB196_3 Depth=1
	s_or_b32 exec_lo, exec_lo, s0
	s_and_saveexec_b32 s0, s8
	s_cbranch_execnz .LBB196_60
.LBB196_44:                             ;   in Loop: Header=BB196_3 Depth=1
	s_or_b32 exec_lo, exec_lo, s0
	s_and_saveexec_b32 s0, s9
	s_cbranch_execnz .LBB196_61
.LBB196_45:                             ;   in Loop: Header=BB196_3 Depth=1
	s_or_b32 exec_lo, exec_lo, s0
	s_and_saveexec_b32 s0, s10
	s_cbranch_execnz .LBB196_62
.LBB196_46:                             ;   in Loop: Header=BB196_3 Depth=1
	s_or_b32 exec_lo, exec_lo, s0
	s_and_saveexec_b32 s0, s11
	s_cbranch_execnz .LBB196_63
.LBB196_47:                             ;   in Loop: Header=BB196_3 Depth=1
	s_or_b32 exec_lo, exec_lo, s0
	s_and_saveexec_b32 s0, s12
	s_cbranch_execnz .LBB196_64
.LBB196_48:                             ;   in Loop: Header=BB196_3 Depth=1
	s_or_b32 exec_lo, exec_lo, s0
	s_and_saveexec_b32 s0, s13
	s_cbranch_execnz .LBB196_65
.LBB196_49:                             ;   in Loop: Header=BB196_3 Depth=1
	s_or_b32 exec_lo, exec_lo, s0
	s_and_saveexec_b32 s0, s14
	s_cbranch_execz .LBB196_2
	s_branch .LBB196_66
.LBB196_50:                             ;   in Loop: Header=BB196_3 Depth=1
	s_delay_alu instid0(VALU_DEP_1) | instskip(NEXT) | instid1(VALU_DEP_1)
	v_lshlrev_b64 v[47:48], 4, v[30:31]
	v_add_co_u32 v47, s15, s19, v47
	s_delay_alu instid0(VALU_DEP_1)
	v_add_co_ci_u32_e64 v48, s15, s20, v48, s15
	global_load_b128 v[47:50], v[47:48], off
	s_waitcnt vmcnt(0)
	scratch_store_b128 v46, v[47:50], off
	s_or_b32 exec_lo, exec_lo, s39
	s_and_saveexec_b32 s15, vcc_lo
	s_cbranch_execz .LBB196_35
.LBB196_51:                             ;   in Loop: Header=BB196_3 Depth=1
	scratch_load_b128 v[47:50], off, off
	v_lshlrev_b64 v[51:52], 4, v[0:1]
	s_delay_alu instid0(VALU_DEP_1) | instskip(NEXT) | instid1(VALU_DEP_2)
	v_add_co_u32 v51, vcc_lo, s21, v51
	v_add_co_ci_u32_e32 v52, vcc_lo, s22, v52, vcc_lo
	s_waitcnt vmcnt(0)
	global_store_b128 v[51:52], v[47:50], off
	s_or_b32 exec_lo, exec_lo, s15
	s_and_saveexec_b32 s15, s0
	s_cbranch_execz .LBB196_36
.LBB196_52:                             ;   in Loop: Header=BB196_3 Depth=1
	scratch_load_b128 v[47:50], v32, off
	v_lshlrev_b64 v[1:2], 4, v[2:3]
	s_delay_alu instid0(VALU_DEP_1) | instskip(NEXT) | instid1(VALU_DEP_2)
	v_add_co_u32 v1, vcc_lo, s21, v1
	v_add_co_ci_u32_e32 v2, vcc_lo, s22, v2, vcc_lo
	s_waitcnt vmcnt(0)
	global_store_b128 v[1:2], v[47:50], off
	s_or_b32 exec_lo, exec_lo, s15
	s_and_saveexec_b32 s0, s1
	s_cbranch_execz .LBB196_37
.LBB196_53:                             ;   in Loop: Header=BB196_3 Depth=1
	scratch_load_b128 v[47:50], v33, off
	v_lshlrev_b64 v[1:2], 4, v[4:5]
	s_delay_alu instid0(VALU_DEP_1) | instskip(NEXT) | instid1(VALU_DEP_2)
	v_add_co_u32 v1, vcc_lo, s21, v1
	v_add_co_ci_u32_e32 v2, vcc_lo, s22, v2, vcc_lo
	s_waitcnt vmcnt(0)
	global_store_b128 v[1:2], v[47:50], off
	s_or_b32 exec_lo, exec_lo, s0
	s_and_saveexec_b32 s0, s2
	s_cbranch_execz .LBB196_38
.LBB196_54:                             ;   in Loop: Header=BB196_3 Depth=1
	scratch_load_b128 v[1:4], v34, off
	v_lshlrev_b64 v[5:6], 4, v[6:7]
	s_delay_alu instid0(VALU_DEP_1) | instskip(NEXT) | instid1(VALU_DEP_2)
	v_add_co_u32 v5, vcc_lo, s21, v5
	v_add_co_ci_u32_e32 v6, vcc_lo, s22, v6, vcc_lo
	s_waitcnt vmcnt(0)
	global_store_b128 v[5:6], v[1:4], off
	s_or_b32 exec_lo, exec_lo, s0
	s_and_saveexec_b32 s0, s3
	s_cbranch_execz .LBB196_39
.LBB196_55:                             ;   in Loop: Header=BB196_3 Depth=1
	scratch_load_b128 v[1:4], v35, off
	v_lshlrev_b64 v[5:6], 4, v[8:9]
	s_delay_alu instid0(VALU_DEP_1) | instskip(NEXT) | instid1(VALU_DEP_2)
	v_add_co_u32 v5, vcc_lo, s21, v5
	v_add_co_ci_u32_e32 v6, vcc_lo, s22, v6, vcc_lo
	s_waitcnt vmcnt(0)
	global_store_b128 v[5:6], v[1:4], off
	s_or_b32 exec_lo, exec_lo, s0
	s_and_saveexec_b32 s0, s4
	s_cbranch_execz .LBB196_40
.LBB196_56:                             ;   in Loop: Header=BB196_3 Depth=1
	scratch_load_b128 v[1:4], v36, off
	v_lshlrev_b64 v[5:6], 4, v[10:11]
	s_delay_alu instid0(VALU_DEP_1) | instskip(NEXT) | instid1(VALU_DEP_2)
	v_add_co_u32 v5, vcc_lo, s21, v5
	v_add_co_ci_u32_e32 v6, vcc_lo, s22, v6, vcc_lo
	s_waitcnt vmcnt(0)
	global_store_b128 v[5:6], v[1:4], off
	s_or_b32 exec_lo, exec_lo, s0
	s_and_saveexec_b32 s0, s5
	s_cbranch_execz .LBB196_41
.LBB196_57:                             ;   in Loop: Header=BB196_3 Depth=1
	scratch_load_b128 v[1:4], v37, off
	v_lshlrev_b64 v[5:6], 4, v[12:13]
	s_delay_alu instid0(VALU_DEP_1) | instskip(NEXT) | instid1(VALU_DEP_2)
	v_add_co_u32 v5, vcc_lo, s21, v5
	v_add_co_ci_u32_e32 v6, vcc_lo, s22, v6, vcc_lo
	s_waitcnt vmcnt(0)
	global_store_b128 v[5:6], v[1:4], off
	s_or_b32 exec_lo, exec_lo, s0
	s_and_saveexec_b32 s0, s6
	s_cbranch_execz .LBB196_42
.LBB196_58:                             ;   in Loop: Header=BB196_3 Depth=1
	scratch_load_b128 v[1:4], v38, off
	v_lshlrev_b64 v[5:6], 4, v[14:15]
	s_delay_alu instid0(VALU_DEP_1) | instskip(NEXT) | instid1(VALU_DEP_2)
	v_add_co_u32 v5, vcc_lo, s21, v5
	v_add_co_ci_u32_e32 v6, vcc_lo, s22, v6, vcc_lo
	s_waitcnt vmcnt(0)
	global_store_b128 v[5:6], v[1:4], off
	s_or_b32 exec_lo, exec_lo, s0
	s_and_saveexec_b32 s0, s7
	s_cbranch_execz .LBB196_43
.LBB196_59:                             ;   in Loop: Header=BB196_3 Depth=1
	scratch_load_b128 v[1:4], v39, off
	v_lshlrev_b64 v[5:6], 4, v[16:17]
	s_delay_alu instid0(VALU_DEP_1) | instskip(NEXT) | instid1(VALU_DEP_2)
	v_add_co_u32 v5, vcc_lo, s21, v5
	v_add_co_ci_u32_e32 v6, vcc_lo, s22, v6, vcc_lo
	s_waitcnt vmcnt(0)
	global_store_b128 v[5:6], v[1:4], off
	s_or_b32 exec_lo, exec_lo, s0
	s_and_saveexec_b32 s0, s8
	s_cbranch_execz .LBB196_44
.LBB196_60:                             ;   in Loop: Header=BB196_3 Depth=1
	scratch_load_b128 v[1:4], v40, off
	v_lshlrev_b64 v[5:6], 4, v[18:19]
	s_delay_alu instid0(VALU_DEP_1) | instskip(NEXT) | instid1(VALU_DEP_2)
	v_add_co_u32 v5, vcc_lo, s21, v5
	v_add_co_ci_u32_e32 v6, vcc_lo, s22, v6, vcc_lo
	s_waitcnt vmcnt(0)
	global_store_b128 v[5:6], v[1:4], off
	s_or_b32 exec_lo, exec_lo, s0
	s_and_saveexec_b32 s0, s9
	s_cbranch_execz .LBB196_45
.LBB196_61:                             ;   in Loop: Header=BB196_3 Depth=1
	scratch_load_b128 v[1:4], v41, off
	v_lshlrev_b64 v[5:6], 4, v[20:21]
	s_delay_alu instid0(VALU_DEP_1) | instskip(NEXT) | instid1(VALU_DEP_2)
	v_add_co_u32 v5, vcc_lo, s21, v5
	v_add_co_ci_u32_e32 v6, vcc_lo, s22, v6, vcc_lo
	s_waitcnt vmcnt(0)
	global_store_b128 v[5:6], v[1:4], off
	s_or_b32 exec_lo, exec_lo, s0
	s_and_saveexec_b32 s0, s10
	s_cbranch_execz .LBB196_46
.LBB196_62:                             ;   in Loop: Header=BB196_3 Depth=1
	scratch_load_b128 v[1:4], v42, off
	v_lshlrev_b64 v[5:6], 4, v[22:23]
	s_delay_alu instid0(VALU_DEP_1) | instskip(NEXT) | instid1(VALU_DEP_2)
	v_add_co_u32 v5, vcc_lo, s21, v5
	v_add_co_ci_u32_e32 v6, vcc_lo, s22, v6, vcc_lo
	s_waitcnt vmcnt(0)
	global_store_b128 v[5:6], v[1:4], off
	s_or_b32 exec_lo, exec_lo, s0
	s_and_saveexec_b32 s0, s11
	s_cbranch_execz .LBB196_47
.LBB196_63:                             ;   in Loop: Header=BB196_3 Depth=1
	scratch_load_b128 v[1:4], v43, off
	v_lshlrev_b64 v[5:6], 4, v[24:25]
	s_delay_alu instid0(VALU_DEP_1) | instskip(NEXT) | instid1(VALU_DEP_2)
	v_add_co_u32 v5, vcc_lo, s21, v5
	v_add_co_ci_u32_e32 v6, vcc_lo, s22, v6, vcc_lo
	s_waitcnt vmcnt(0)
	global_store_b128 v[5:6], v[1:4], off
	s_or_b32 exec_lo, exec_lo, s0
	s_and_saveexec_b32 s0, s12
	s_cbranch_execz .LBB196_48
.LBB196_64:                             ;   in Loop: Header=BB196_3 Depth=1
	scratch_load_b128 v[1:4], v44, off
	v_lshlrev_b64 v[5:6], 4, v[26:27]
	s_delay_alu instid0(VALU_DEP_1) | instskip(NEXT) | instid1(VALU_DEP_2)
	v_add_co_u32 v5, vcc_lo, s21, v5
	v_add_co_ci_u32_e32 v6, vcc_lo, s22, v6, vcc_lo
	s_waitcnt vmcnt(0)
	global_store_b128 v[5:6], v[1:4], off
	s_or_b32 exec_lo, exec_lo, s0
	s_and_saveexec_b32 s0, s13
	s_cbranch_execz .LBB196_49
.LBB196_65:                             ;   in Loop: Header=BB196_3 Depth=1
	scratch_load_b128 v[1:4], v45, off
	v_lshlrev_b64 v[5:6], 4, v[28:29]
	s_delay_alu instid0(VALU_DEP_1) | instskip(NEXT) | instid1(VALU_DEP_2)
	v_add_co_u32 v5, vcc_lo, s21, v5
	v_add_co_ci_u32_e32 v6, vcc_lo, s22, v6, vcc_lo
	s_waitcnt vmcnt(0)
	global_store_b128 v[5:6], v[1:4], off
	s_or_b32 exec_lo, exec_lo, s0
	s_and_saveexec_b32 s0, s14
	s_cbranch_execz .LBB196_2
.LBB196_66:                             ;   in Loop: Header=BB196_3 Depth=1
	scratch_load_b128 v[1:4], v46, off
	v_lshlrev_b64 v[5:6], 4, v[30:31]
	s_delay_alu instid0(VALU_DEP_1) | instskip(NEXT) | instid1(VALU_DEP_2)
	v_add_co_u32 v5, vcc_lo, s21, v5
	v_add_co_ci_u32_e32 v6, vcc_lo, s22, v6, vcc_lo
	s_waitcnt vmcnt(0)
	global_store_b128 v[5:6], v[1:4], off
	s_branch .LBB196_2
.LBB196_67:
	s_endpgm
	.section	.rodata,"a",@progbits
	.p2align	6, 0x0
	.amdhsa_kernel _ZN9rocsolver6v33100L11stedc_copyCI19rocblas_complex_numIdEPS3_S4_EEviT0_iilT1_iil
		.amdhsa_group_segment_fixed_size 0
		.amdhsa_private_segment_fixed_size 272
		.amdhsa_kernarg_size 312
		.amdhsa_user_sgpr_count 14
		.amdhsa_user_sgpr_dispatch_ptr 0
		.amdhsa_user_sgpr_queue_ptr 0
		.amdhsa_user_sgpr_kernarg_segment_ptr 1
		.amdhsa_user_sgpr_dispatch_id 0
		.amdhsa_user_sgpr_private_segment_size 0
		.amdhsa_wavefront_size32 1
		.amdhsa_uses_dynamic_stack 0
		.amdhsa_enable_private_segment 1
		.amdhsa_system_sgpr_workgroup_id_x 1
		.amdhsa_system_sgpr_workgroup_id_y 1
		.amdhsa_system_sgpr_workgroup_id_z 0
		.amdhsa_system_sgpr_workgroup_info 0
		.amdhsa_system_vgpr_workitem_id 0
		.amdhsa_next_free_vgpr 53
		.amdhsa_next_free_sgpr 40
		.amdhsa_reserve_vcc 1
		.amdhsa_float_round_mode_32 0
		.amdhsa_float_round_mode_16_64 0
		.amdhsa_float_denorm_mode_32 3
		.amdhsa_float_denorm_mode_16_64 3
		.amdhsa_dx10_clamp 1
		.amdhsa_ieee_mode 1
		.amdhsa_fp16_overflow 0
		.amdhsa_workgroup_processor_mode 1
		.amdhsa_memory_ordered 1
		.amdhsa_forward_progress 0
		.amdhsa_shared_vgpr_count 0
		.amdhsa_exception_fp_ieee_invalid_op 0
		.amdhsa_exception_fp_denorm_src 0
		.amdhsa_exception_fp_ieee_div_zero 0
		.amdhsa_exception_fp_ieee_overflow 0
		.amdhsa_exception_fp_ieee_underflow 0
		.amdhsa_exception_fp_ieee_inexact 0
		.amdhsa_exception_int_div_zero 0
	.end_amdhsa_kernel
	.section	.text._ZN9rocsolver6v33100L11stedc_copyCI19rocblas_complex_numIdEPS3_S4_EEviT0_iilT1_iil,"axG",@progbits,_ZN9rocsolver6v33100L11stedc_copyCI19rocblas_complex_numIdEPS3_S4_EEviT0_iilT1_iil,comdat
.Lfunc_end196:
	.size	_ZN9rocsolver6v33100L11stedc_copyCI19rocblas_complex_numIdEPS3_S4_EEviT0_iilT1_iil, .Lfunc_end196-_ZN9rocsolver6v33100L11stedc_copyCI19rocblas_complex_numIdEPS3_S4_EEviT0_iilT1_iil
                                        ; -- End function
	.section	.AMDGPU.csdata,"",@progbits
; Kernel info:
; codeLenInByte = 3156
; NumSgprs: 42
; NumVgprs: 53
; ScratchSize: 272
; MemoryBound: 0
; FloatMode: 240
; IeeeMode: 1
; LDSByteSize: 0 bytes/workgroup (compile time only)
; SGPRBlocks: 5
; VGPRBlocks: 6
; NumSGPRsForWavesPerEU: 42
; NumVGPRsForWavesPerEU: 53
; Occupancy: 16
; WaveLimiterHint : 0
; COMPUTE_PGM_RSRC2:SCRATCH_EN: 1
; COMPUTE_PGM_RSRC2:USER_SGPR: 14
; COMPUTE_PGM_RSRC2:TRAP_HANDLER: 0
; COMPUTE_PGM_RSRC2:TGID_X_EN: 1
; COMPUTE_PGM_RSRC2:TGID_Y_EN: 1
; COMPUTE_PGM_RSRC2:TGID_Z_EN: 0
; COMPUTE_PGM_RSRC2:TIDIG_COMP_CNT: 0
	.section	.text._ZN9rocsolver6v33100L10stedc_sortI19rocblas_complex_numIdEdPS3_S4_EEviPT0_lS6_lT1_iilT2_iil,"axG",@progbits,_ZN9rocsolver6v33100L10stedc_sortI19rocblas_complex_numIdEdPS3_S4_EEviPT0_lS6_lT1_iilT2_iil,comdat
	.globl	_ZN9rocsolver6v33100L10stedc_sortI19rocblas_complex_numIdEdPS3_S4_EEviPT0_lS6_lT1_iilT2_iil ; -- Begin function _ZN9rocsolver6v33100L10stedc_sortI19rocblas_complex_numIdEdPS3_S4_EEviPT0_lS6_lT1_iilT2_iil
	.p2align	8
	.type	_ZN9rocsolver6v33100L10stedc_sortI19rocblas_complex_numIdEdPS3_S4_EEviPT0_lS6_lT1_iilT2_iil,@function
_ZN9rocsolver6v33100L10stedc_sortI19rocblas_complex_numIdEdPS3_S4_EEviPT0_lS6_lT1_iilT2_iil: ; @_ZN9rocsolver6v33100L10stedc_sortI19rocblas_complex_numIdEdPS3_S4_EEviPT0_lS6_lT1_iilT2_iil
; %bb.0:
	s_clause 0x1
	s_load_b256 s[20:27], s[2:3], 0x8
	s_load_b32 s5, s[2:3], 0x64
	s_ashr_i32 s49, s15, 31
	s_mov_b32 s4, s15
	s_clause 0x1
	s_load_b32 s37, s[2:3], 0x0
	s_load_b64 s[28:29], s[2:3], 0x28
	v_dual_mov_b32 v34, 0 :: v_dual_and_b32 v33, 0x3ff, v0
	s_waitcnt lgkmcnt(0)
	s_mul_i32 s6, s15, s23
	s_mul_hi_u32 s7, s15, s22
	s_mul_i32 s8, s49, s22
	s_add_i32 s7, s7, s6
	s_mul_i32 s6, s15, s22
	s_add_i32 s7, s7, s8
	s_delay_alu instid0(SALU_CYCLE_1) | instskip(NEXT) | instid1(SALU_CYCLE_1)
	s_lshl_b64 s[6:7], s[6:7], 3
	s_add_u32 s51, s20, s6
	s_addc_u32 s52, s21, s7
	s_ashr_i32 s15, s14, 31
	s_delay_alu instid0(SALU_CYCLE_1) | instskip(NEXT) | instid1(SALU_CYCLE_1)
	s_lshl_b64 s[30:31], s[14:15], 3
	s_add_u32 s6, s51, s30
	s_addc_u32 s7, s52, s31
	s_and_b32 s33, s5, 0xffff
	s_add_i32 s9, s37, -1
	s_lshl_b32 s36, s33, 4
	s_load_b64 s[34:35], s[6:7], 0x0
	v_cvt_f32_u32_e32 v1, s36
	s_sub_i32 s10, 0, s36
	s_ashr_i32 s6, s9, 31
	s_abs_i32 s9, s9
	s_mov_b32 s5, -1
	v_rcp_iflag_f32_e32 v1, v1
	s_mul_i32 s38, s33, 3
	s_mul_i32 s39, s33, 5
	;; [unrolled: 1-line block ×9, first 2 shown]
	s_waitcnt_depctr 0xfff
	v_mul_f32_e32 v1, 0x4f7ffffe, v1
	s_mul_i32 s47, s33, 14
	s_mul_i32 s48, s33, 15
	s_delay_alu instid0(VALU_DEP_1) | instskip(NEXT) | instid1(VALU_DEP_1)
	v_cvt_u32_f32_e32 v1, v1
	v_readfirstlane_b32 s8, v1
	s_delay_alu instid0(VALU_DEP_1) | instskip(NEXT) | instid1(SALU_CYCLE_1)
	s_mul_i32 s10, s10, s8
	s_mul_hi_u32 s7, s8, s10
	s_delay_alu instid0(SALU_CYCLE_1) | instskip(NEXT) | instid1(SALU_CYCLE_1)
	s_add_i32 s8, s8, s7
	s_mul_hi_u32 s7, s9, s8
	s_delay_alu instid0(SALU_CYCLE_1) | instskip(NEXT) | instid1(SALU_CYCLE_1)
	s_mul_i32 s8, s7, s36
	s_sub_i32 s8, s9, s8
	s_add_i32 s9, s7, 1
	s_sub_i32 s10, s8, s36
	s_cmp_ge_u32 s8, s36
	s_cselect_b32 s7, s9, s7
	s_cselect_b32 s8, s10, s8
	s_add_i32 s9, s7, 1
	s_cmp_ge_u32 s8, s36
	s_cselect_b32 s7, s9, s7
	s_delay_alu instid0(SALU_CYCLE_1) | instskip(NEXT) | instid1(SALU_CYCLE_1)
	s_xor_b32 s7, s7, s6
	s_sub_i32 s50, s7, s6
	s_delay_alu instid0(SALU_CYCLE_1)
	s_cmp_gt_i32 s50, -1
	s_cselect_b32 s23, -1, 0
	s_cmp_lt_i32 s50, 0
	s_cbranch_scc1 .LBB197_67
; %bb.1:
	v_dual_mov_b32 v65, 0 :: v_dual_mov_b32 v34, v33
	v_dual_mov_b32 v66, 0 :: v_dual_mov_b32 v67, 0
	s_add_i32 s53, s50, 1
	s_lshl_b32 s54, s33, 1
	s_lshl_b32 s55, s33, 2
	;; [unrolled: 1-line block ×3, first 2 shown]
                                        ; implicit-def: $vgpr31_vgpr32
                                        ; implicit-def: $vgpr27_vgpr28
                                        ; implicit-def: $vgpr23_vgpr24
                                        ; implicit-def: $vgpr19_vgpr20
                                        ; implicit-def: $vgpr15_vgpr16
                                        ; implicit-def: $vgpr11_vgpr12
                                        ; implicit-def: $vgpr7_vgpr8
                                        ; implicit-def: $vgpr3_vgpr4
	s_branch .LBB197_3
.LBB197_2:                              ;   in Loop: Header=BB197_3 Depth=1
	s_or_b32 exec_lo, exec_lo, s7
	v_add_nc_u32_e32 v34, s36, v34
	s_add_i32 s53, s53, -1
	s_delay_alu instid0(SALU_CYCLE_1)
	s_cmp_eq_u32 s53, 0
	s_cbranch_scc1 .LBB197_68
.LBB197_3:                              ; =>This Inner Loop Header: Depth=1
	s_delay_alu instid0(VALU_DEP_1) | instskip(NEXT) | instid1(VALU_DEP_1)
	v_cmp_gt_i32_e64 s20, s37, v34
	s_and_saveexec_b32 s5, s20
	s_cbranch_execz .LBB197_5
; %bb.4:                                ;   in Loop: Header=BB197_3 Depth=1
	v_ashrrev_i32_e32 v35, 31, v34
	s_waitcnt vmcnt(0)
	s_delay_alu instid0(VALU_DEP_1) | instskip(NEXT) | instid1(VALU_DEP_1)
	v_lshlrev_b64 v[1:2], 3, v[34:35]
	v_add_co_u32 v1, vcc_lo, s51, v1
	s_delay_alu instid0(VALU_DEP_2)
	v_add_co_ci_u32_e32 v2, vcc_lo, s52, v2, vcc_lo
	global_load_b64 v[1:2], v[1:2], off
.LBB197_5:                              ;   in Loop: Header=BB197_3 Depth=1
	s_or_b32 exec_lo, exec_lo, s5
	v_add_nc_u32_e32 v63, s33, v34
	s_delay_alu instid0(VALU_DEP_1) | instskip(NEXT) | instid1(VALU_DEP_1)
	v_cmp_gt_i32_e64 s19, s37, v63
	s_and_saveexec_b32 s5, s19
	s_cbranch_execz .LBB197_7
; %bb.6:                                ;   in Loop: Header=BB197_3 Depth=1
	v_ashrrev_i32_e32 v64, 31, v63
	s_waitcnt vmcnt(0)
	s_delay_alu instid0(VALU_DEP_1) | instskip(NEXT) | instid1(VALU_DEP_1)
	v_lshlrev_b64 v[3:4], 3, v[63:64]
	v_add_co_u32 v3, vcc_lo, s51, v3
	s_delay_alu instid0(VALU_DEP_2)
	v_add_co_ci_u32_e32 v4, vcc_lo, s52, v4, vcc_lo
	global_load_b64 v[3:4], v[3:4], off
.LBB197_7:                              ;   in Loop: Header=BB197_3 Depth=1
	s_or_b32 exec_lo, exec_lo, s5
	v_add_nc_u32_e32 v61, s54, v34
	;; [unrolled: 16-line block ×3, first 2 shown]
	s_delay_alu instid0(VALU_DEP_1) | instskip(NEXT) | instid1(VALU_DEP_1)
	v_cmp_gt_i32_e64 s17, s37, v59
	s_and_saveexec_b32 s5, s17
	s_cbranch_execz .LBB197_11
; %bb.10:                               ;   in Loop: Header=BB197_3 Depth=1
	v_ashrrev_i32_e32 v60, 31, v59
	s_waitcnt vmcnt(0)
	s_delay_alu instid0(VALU_DEP_1) | instskip(NEXT) | instid1(VALU_DEP_1)
	v_lshlrev_b64 v[7:8], 3, v[59:60]
	v_add_co_u32 v7, vcc_lo, s51, v7
	s_delay_alu instid0(VALU_DEP_2)
	v_add_co_ci_u32_e32 v8, vcc_lo, s52, v8, vcc_lo
	global_load_b64 v[7:8], v[7:8], off
.LBB197_11:                             ;   in Loop: Header=BB197_3 Depth=1
	s_or_b32 exec_lo, exec_lo, s5
	v_add_nc_u32_e32 v57, s55, v34
	s_delay_alu instid0(VALU_DEP_1) | instskip(NEXT) | instid1(VALU_DEP_1)
	v_cmp_gt_i32_e64 s16, s37, v57
	s_and_saveexec_b32 s5, s16
	s_cbranch_execz .LBB197_13
; %bb.12:                               ;   in Loop: Header=BB197_3 Depth=1
	v_ashrrev_i32_e32 v58, 31, v57
	s_waitcnt vmcnt(0)
	s_delay_alu instid0(VALU_DEP_1) | instskip(NEXT) | instid1(VALU_DEP_1)
	v_lshlrev_b64 v[9:10], 3, v[57:58]
	v_add_co_u32 v9, vcc_lo, s51, v9
	s_delay_alu instid0(VALU_DEP_2)
	v_add_co_ci_u32_e32 v10, vcc_lo, s52, v10, vcc_lo
	global_load_b64 v[9:10], v[9:10], off
.LBB197_13:                             ;   in Loop: Header=BB197_3 Depth=1
	s_or_b32 exec_lo, exec_lo, s5
	v_add_nc_u32_e32 v55, s39, v34
	;; [unrolled: 16-line block ×12, first 2 shown]
	s_delay_alu instid0(VALU_DEP_1)
	v_cmp_gt_i32_e32 vcc_lo, s37, v35
	s_and_saveexec_b32 s22, vcc_lo
	s_cbranch_execnz .LBB197_50
; %bb.34:                               ;   in Loop: Header=BB197_3 Depth=1
	s_or_b32 exec_lo, exec_lo, s22
	s_and_saveexec_b32 s57, s20
	s_cbranch_execnz .LBB197_51
.LBB197_35:                             ;   in Loop: Header=BB197_3 Depth=1
	s_or_b32 exec_lo, exec_lo, s57
	s_and_saveexec_b32 s22, s19
	s_cbranch_execnz .LBB197_52
.LBB197_36:                             ;   in Loop: Header=BB197_3 Depth=1
	s_or_b32 exec_lo, exec_lo, s22
	s_and_saveexec_b32 s21, s18
	s_cbranch_execnz .LBB197_53
.LBB197_37:                             ;   in Loop: Header=BB197_3 Depth=1
	s_or_b32 exec_lo, exec_lo, s21
	s_and_saveexec_b32 s20, s17
	s_cbranch_execnz .LBB197_54
.LBB197_38:                             ;   in Loop: Header=BB197_3 Depth=1
	s_or_b32 exec_lo, exec_lo, s20
	s_and_saveexec_b32 s19, s16
	s_cbranch_execnz .LBB197_55
.LBB197_39:                             ;   in Loop: Header=BB197_3 Depth=1
	s_or_b32 exec_lo, exec_lo, s19
	s_and_saveexec_b32 s18, s15
	s_cbranch_execnz .LBB197_56
.LBB197_40:                             ;   in Loop: Header=BB197_3 Depth=1
	s_or_b32 exec_lo, exec_lo, s18
	s_and_saveexec_b32 s17, s13
	s_cbranch_execnz .LBB197_57
.LBB197_41:                             ;   in Loop: Header=BB197_3 Depth=1
	s_or_b32 exec_lo, exec_lo, s17
	s_and_saveexec_b32 s16, s12
	s_cbranch_execnz .LBB197_58
.LBB197_42:                             ;   in Loop: Header=BB197_3 Depth=1
	s_or_b32 exec_lo, exec_lo, s16
	s_and_saveexec_b32 s15, s11
	s_cbranch_execnz .LBB197_59
.LBB197_43:                             ;   in Loop: Header=BB197_3 Depth=1
	s_or_b32 exec_lo, exec_lo, s15
	s_and_saveexec_b32 s13, s10
	s_cbranch_execnz .LBB197_60
.LBB197_44:                             ;   in Loop: Header=BB197_3 Depth=1
	s_or_b32 exec_lo, exec_lo, s13
	s_and_saveexec_b32 s12, s9
	s_cbranch_execnz .LBB197_61
.LBB197_45:                             ;   in Loop: Header=BB197_3 Depth=1
	s_or_b32 exec_lo, exec_lo, s12
	s_and_saveexec_b32 s11, s8
	s_cbranch_execnz .LBB197_62
.LBB197_46:                             ;   in Loop: Header=BB197_3 Depth=1
	s_or_b32 exec_lo, exec_lo, s11
	s_and_saveexec_b32 s10, s7
	s_cbranch_execnz .LBB197_63
.LBB197_47:                             ;   in Loop: Header=BB197_3 Depth=1
	s_or_b32 exec_lo, exec_lo, s10
	s_and_saveexec_b32 s9, s6
	s_cbranch_execnz .LBB197_64
.LBB197_48:                             ;   in Loop: Header=BB197_3 Depth=1
	s_or_b32 exec_lo, exec_lo, s9
	s_and_saveexec_b32 s8, s5
	s_cbranch_execnz .LBB197_65
.LBB197_49:                             ;   in Loop: Header=BB197_3 Depth=1
	s_or_b32 exec_lo, exec_lo, s8
	s_and_saveexec_b32 s7, vcc_lo
	s_cbranch_execz .LBB197_2
	s_branch .LBB197_66
.LBB197_50:                             ;   in Loop: Header=BB197_3 Depth=1
	v_ashrrev_i32_e32 v36, 31, v35
	s_waitcnt vmcnt(0)
	s_delay_alu instid0(VALU_DEP_1) | instskip(NEXT) | instid1(VALU_DEP_1)
	v_lshlrev_b64 v[31:32], 3, v[35:36]
	v_add_co_u32 v31, s21, s51, v31
	s_delay_alu instid0(VALU_DEP_1)
	v_add_co_ci_u32_e64 v32, s21, s52, v32, s21
	global_load_b64 v[31:32], v[31:32], off
	s_or_b32 exec_lo, exec_lo, s22
	s_and_saveexec_b32 s57, s20
	s_cbranch_execz .LBB197_35
.LBB197_51:                             ;   in Loop: Header=BB197_3 Depth=1
	s_waitcnt vmcnt(0)
	v_cmp_u_f64_e64 s22, v[1:2], v[1:2]
	s_waitcnt lgkmcnt(0)
	v_cmp_eq_f64_e64 s20, s[34:35], v[1:2]
	v_cmp_gt_i32_e64 s21, s14, v34
	s_delay_alu instid0(VALU_DEP_3) | instskip(SKIP_1) | instid1(VALU_DEP_3)
	v_add_co_ci_u32_e64 v65, s22, 0, v65, s22
	v_cmp_gt_f64_e64 s22, s[34:35], v[1:2]
	s_and_b32 s20, s21, s20
	s_delay_alu instid0(SALU_CYCLE_1) | instskip(NEXT) | instid1(VALU_DEP_2)
	v_add_co_ci_u32_e64 v67, s20, 0, v67, s20
	v_add_co_ci_u32_e64 v66, s22, 0, v66, s22
	s_or_b32 exec_lo, exec_lo, s57
	s_and_saveexec_b32 s22, s19
	s_cbranch_execz .LBB197_36
.LBB197_52:                             ;   in Loop: Header=BB197_3 Depth=1
	s_waitcnt vmcnt(0)
	v_cmp_u_f64_e64 s21, v[3:4], v[3:4]
	s_waitcnt lgkmcnt(0)
	v_cmp_eq_f64_e64 s19, s[34:35], v[3:4]
	v_cmp_gt_i32_e64 s20, s14, v63
	s_delay_alu instid0(VALU_DEP_3) | instskip(SKIP_1) | instid1(VALU_DEP_3)
	v_add_co_ci_u32_e64 v65, s21, 0, v65, s21
	v_cmp_gt_f64_e64 s21, s[34:35], v[3:4]
	s_and_b32 s19, s20, s19
	s_delay_alu instid0(SALU_CYCLE_1) | instskip(NEXT) | instid1(VALU_DEP_2)
	v_add_co_ci_u32_e64 v67, s19, 0, v67, s19
	v_add_co_ci_u32_e64 v66, s21, 0, v66, s21
	s_or_b32 exec_lo, exec_lo, s22
	s_and_saveexec_b32 s21, s18
	s_cbranch_execz .LBB197_37
.LBB197_53:                             ;   in Loop: Header=BB197_3 Depth=1
	s_waitcnt vmcnt(0)
	v_cmp_u_f64_e64 s20, v[5:6], v[5:6]
	s_waitcnt lgkmcnt(0)
	v_cmp_eq_f64_e64 s18, s[34:35], v[5:6]
	v_cmp_gt_i32_e64 s19, s14, v61
	s_delay_alu instid0(VALU_DEP_3) | instskip(SKIP_1) | instid1(VALU_DEP_3)
	v_add_co_ci_u32_e64 v65, s20, 0, v65, s20
	v_cmp_gt_f64_e64 s20, s[34:35], v[5:6]
	s_and_b32 s18, s19, s18
	s_delay_alu instid0(SALU_CYCLE_1) | instskip(NEXT) | instid1(VALU_DEP_2)
	v_add_co_ci_u32_e64 v67, s18, 0, v67, s18
	v_add_co_ci_u32_e64 v66, s20, 0, v66, s20
	s_or_b32 exec_lo, exec_lo, s21
	s_and_saveexec_b32 s20, s17
	s_cbranch_execz .LBB197_38
.LBB197_54:                             ;   in Loop: Header=BB197_3 Depth=1
	s_waitcnt vmcnt(0)
	v_cmp_u_f64_e64 s19, v[7:8], v[7:8]
	s_waitcnt lgkmcnt(0)
	v_cmp_eq_f64_e64 s17, s[34:35], v[7:8]
	v_cmp_gt_i32_e64 s18, s14, v59
	s_delay_alu instid0(VALU_DEP_3) | instskip(SKIP_1) | instid1(VALU_DEP_3)
	v_add_co_ci_u32_e64 v65, s19, 0, v65, s19
	v_cmp_gt_f64_e64 s19, s[34:35], v[7:8]
	s_and_b32 s17, s18, s17
	s_delay_alu instid0(SALU_CYCLE_1) | instskip(NEXT) | instid1(VALU_DEP_2)
	v_add_co_ci_u32_e64 v67, s17, 0, v67, s17
	v_add_co_ci_u32_e64 v66, s19, 0, v66, s19
	s_or_b32 exec_lo, exec_lo, s20
	s_and_saveexec_b32 s19, s16
	s_cbranch_execz .LBB197_39
.LBB197_55:                             ;   in Loop: Header=BB197_3 Depth=1
	s_waitcnt vmcnt(0)
	v_cmp_u_f64_e64 s18, v[9:10], v[9:10]
	s_waitcnt lgkmcnt(0)
	v_cmp_eq_f64_e64 s16, s[34:35], v[9:10]
	v_cmp_gt_i32_e64 s17, s14, v57
	s_delay_alu instid0(VALU_DEP_3) | instskip(SKIP_1) | instid1(VALU_DEP_3)
	v_add_co_ci_u32_e64 v65, s18, 0, v65, s18
	v_cmp_gt_f64_e64 s18, s[34:35], v[9:10]
	s_and_b32 s16, s17, s16
	s_delay_alu instid0(SALU_CYCLE_1) | instskip(NEXT) | instid1(VALU_DEP_2)
	v_add_co_ci_u32_e64 v67, s16, 0, v67, s16
	v_add_co_ci_u32_e64 v66, s18, 0, v66, s18
	s_or_b32 exec_lo, exec_lo, s19
	s_and_saveexec_b32 s18, s15
	s_cbranch_execz .LBB197_40
.LBB197_56:                             ;   in Loop: Header=BB197_3 Depth=1
	s_waitcnt vmcnt(0)
	v_cmp_u_f64_e64 s17, v[11:12], v[11:12]
	s_waitcnt lgkmcnt(0)
	v_cmp_eq_f64_e64 s15, s[34:35], v[11:12]
	v_cmp_gt_i32_e64 s16, s14, v55
	s_delay_alu instid0(VALU_DEP_3) | instskip(SKIP_1) | instid1(VALU_DEP_3)
	v_add_co_ci_u32_e64 v65, s17, 0, v65, s17
	v_cmp_gt_f64_e64 s17, s[34:35], v[11:12]
	s_and_b32 s15, s16, s15
	s_delay_alu instid0(SALU_CYCLE_1) | instskip(NEXT) | instid1(VALU_DEP_2)
	v_add_co_ci_u32_e64 v67, s15, 0, v67, s15
	v_add_co_ci_u32_e64 v66, s17, 0, v66, s17
	s_or_b32 exec_lo, exec_lo, s18
	s_and_saveexec_b32 s17, s13
	s_cbranch_execz .LBB197_41
.LBB197_57:                             ;   in Loop: Header=BB197_3 Depth=1
	s_waitcnt vmcnt(0)
	v_cmp_u_f64_e64 s16, v[13:14], v[13:14]
	s_waitcnt lgkmcnt(0)
	v_cmp_eq_f64_e64 s13, s[34:35], v[13:14]
	v_cmp_gt_i32_e64 s15, s14, v53
	s_delay_alu instid0(VALU_DEP_3) | instskip(SKIP_1) | instid1(VALU_DEP_3)
	v_add_co_ci_u32_e64 v65, s16, 0, v65, s16
	v_cmp_gt_f64_e64 s16, s[34:35], v[13:14]
	s_and_b32 s13, s15, s13
	s_delay_alu instid0(SALU_CYCLE_1) | instskip(NEXT) | instid1(VALU_DEP_2)
	v_add_co_ci_u32_e64 v67, s13, 0, v67, s13
	v_add_co_ci_u32_e64 v66, s16, 0, v66, s16
	s_or_b32 exec_lo, exec_lo, s17
	s_and_saveexec_b32 s16, s12
	s_cbranch_execz .LBB197_42
.LBB197_58:                             ;   in Loop: Header=BB197_3 Depth=1
	s_waitcnt vmcnt(0)
	v_cmp_u_f64_e64 s15, v[15:16], v[15:16]
	s_waitcnt lgkmcnt(0)
	v_cmp_eq_f64_e64 s12, s[34:35], v[15:16]
	v_cmp_gt_i32_e64 s13, s14, v51
	s_delay_alu instid0(VALU_DEP_3) | instskip(SKIP_1) | instid1(VALU_DEP_3)
	v_add_co_ci_u32_e64 v65, s15, 0, v65, s15
	v_cmp_gt_f64_e64 s15, s[34:35], v[15:16]
	s_and_b32 s12, s13, s12
	s_delay_alu instid0(SALU_CYCLE_1) | instskip(NEXT) | instid1(VALU_DEP_2)
	v_add_co_ci_u32_e64 v67, s12, 0, v67, s12
	v_add_co_ci_u32_e64 v66, s15, 0, v66, s15
	s_or_b32 exec_lo, exec_lo, s16
	s_and_saveexec_b32 s15, s11
	s_cbranch_execz .LBB197_43
.LBB197_59:                             ;   in Loop: Header=BB197_3 Depth=1
	s_waitcnt vmcnt(0)
	v_cmp_u_f64_e64 s13, v[17:18], v[17:18]
	s_waitcnt lgkmcnt(0)
	v_cmp_eq_f64_e64 s11, s[34:35], v[17:18]
	v_cmp_gt_i32_e64 s12, s14, v49
	s_delay_alu instid0(VALU_DEP_3) | instskip(SKIP_1) | instid1(VALU_DEP_3)
	v_add_co_ci_u32_e64 v65, s13, 0, v65, s13
	v_cmp_gt_f64_e64 s13, s[34:35], v[17:18]
	s_and_b32 s11, s12, s11
	s_delay_alu instid0(SALU_CYCLE_1) | instskip(NEXT) | instid1(VALU_DEP_2)
	v_add_co_ci_u32_e64 v67, s11, 0, v67, s11
	v_add_co_ci_u32_e64 v66, s13, 0, v66, s13
	s_or_b32 exec_lo, exec_lo, s15
	s_and_saveexec_b32 s13, s10
	s_cbranch_execz .LBB197_44
.LBB197_60:                             ;   in Loop: Header=BB197_3 Depth=1
	s_waitcnt vmcnt(0)
	v_cmp_u_f64_e64 s12, v[19:20], v[19:20]
	s_waitcnt lgkmcnt(0)
	v_cmp_eq_f64_e64 s10, s[34:35], v[19:20]
	v_cmp_gt_i32_e64 s11, s14, v47
	s_delay_alu instid0(VALU_DEP_3) | instskip(SKIP_1) | instid1(VALU_DEP_3)
	v_add_co_ci_u32_e64 v65, s12, 0, v65, s12
	v_cmp_gt_f64_e64 s12, s[34:35], v[19:20]
	s_and_b32 s10, s11, s10
	s_delay_alu instid0(SALU_CYCLE_1) | instskip(NEXT) | instid1(VALU_DEP_2)
	v_add_co_ci_u32_e64 v67, s10, 0, v67, s10
	v_add_co_ci_u32_e64 v66, s12, 0, v66, s12
	s_or_b32 exec_lo, exec_lo, s13
	s_and_saveexec_b32 s12, s9
	s_cbranch_execz .LBB197_45
.LBB197_61:                             ;   in Loop: Header=BB197_3 Depth=1
	s_waitcnt vmcnt(0)
	v_cmp_u_f64_e64 s11, v[21:22], v[21:22]
	s_waitcnt lgkmcnt(0)
	v_cmp_eq_f64_e64 s9, s[34:35], v[21:22]
	v_cmp_gt_i32_e64 s10, s14, v45
	s_delay_alu instid0(VALU_DEP_3) | instskip(SKIP_1) | instid1(VALU_DEP_3)
	v_add_co_ci_u32_e64 v65, s11, 0, v65, s11
	v_cmp_gt_f64_e64 s11, s[34:35], v[21:22]
	s_and_b32 s9, s10, s9
	s_delay_alu instid0(SALU_CYCLE_1) | instskip(NEXT) | instid1(VALU_DEP_2)
	v_add_co_ci_u32_e64 v67, s9, 0, v67, s9
	v_add_co_ci_u32_e64 v66, s11, 0, v66, s11
	s_or_b32 exec_lo, exec_lo, s12
	s_and_saveexec_b32 s11, s8
	s_cbranch_execz .LBB197_46
.LBB197_62:                             ;   in Loop: Header=BB197_3 Depth=1
	s_waitcnt vmcnt(0)
	v_cmp_u_f64_e64 s10, v[23:24], v[23:24]
	s_waitcnt lgkmcnt(0)
	v_cmp_eq_f64_e64 s8, s[34:35], v[23:24]
	v_cmp_gt_i32_e64 s9, s14, v43
	s_delay_alu instid0(VALU_DEP_3) | instskip(SKIP_1) | instid1(VALU_DEP_3)
	v_add_co_ci_u32_e64 v65, s10, 0, v65, s10
	v_cmp_gt_f64_e64 s10, s[34:35], v[23:24]
	s_and_b32 s8, s9, s8
	s_delay_alu instid0(SALU_CYCLE_1) | instskip(NEXT) | instid1(VALU_DEP_2)
	v_add_co_ci_u32_e64 v67, s8, 0, v67, s8
	v_add_co_ci_u32_e64 v66, s10, 0, v66, s10
	s_or_b32 exec_lo, exec_lo, s11
	s_and_saveexec_b32 s10, s7
	s_cbranch_execz .LBB197_47
.LBB197_63:                             ;   in Loop: Header=BB197_3 Depth=1
	s_waitcnt vmcnt(0)
	v_cmp_u_f64_e64 s9, v[25:26], v[25:26]
	s_waitcnt lgkmcnt(0)
	v_cmp_eq_f64_e64 s7, s[34:35], v[25:26]
	v_cmp_gt_i32_e64 s8, s14, v41
	s_delay_alu instid0(VALU_DEP_3) | instskip(SKIP_1) | instid1(VALU_DEP_3)
	v_add_co_ci_u32_e64 v65, s9, 0, v65, s9
	v_cmp_gt_f64_e64 s9, s[34:35], v[25:26]
	s_and_b32 s7, s8, s7
	s_delay_alu instid0(SALU_CYCLE_1) | instskip(NEXT) | instid1(VALU_DEP_2)
	v_add_co_ci_u32_e64 v67, s7, 0, v67, s7
	v_add_co_ci_u32_e64 v66, s9, 0, v66, s9
	s_or_b32 exec_lo, exec_lo, s10
	s_and_saveexec_b32 s9, s6
	s_cbranch_execz .LBB197_48
.LBB197_64:                             ;   in Loop: Header=BB197_3 Depth=1
	s_waitcnt vmcnt(0)
	v_cmp_u_f64_e64 s8, v[27:28], v[27:28]
	s_waitcnt lgkmcnt(0)
	v_cmp_eq_f64_e64 s6, s[34:35], v[27:28]
	v_cmp_gt_i32_e64 s7, s14, v39
	s_delay_alu instid0(VALU_DEP_3) | instskip(SKIP_1) | instid1(VALU_DEP_3)
	v_add_co_ci_u32_e64 v65, s8, 0, v65, s8
	v_cmp_gt_f64_e64 s8, s[34:35], v[27:28]
	s_and_b32 s6, s7, s6
	s_delay_alu instid0(SALU_CYCLE_1) | instskip(NEXT) | instid1(VALU_DEP_2)
	v_add_co_ci_u32_e64 v67, s6, 0, v67, s6
	v_add_co_ci_u32_e64 v66, s8, 0, v66, s8
	s_or_b32 exec_lo, exec_lo, s9
	s_and_saveexec_b32 s8, s5
	s_cbranch_execz .LBB197_49
.LBB197_65:                             ;   in Loop: Header=BB197_3 Depth=1
	s_waitcnt vmcnt(0)
	v_cmp_u_f64_e64 s7, v[29:30], v[29:30]
	s_waitcnt lgkmcnt(0)
	v_cmp_eq_f64_e64 s5, s[34:35], v[29:30]
	v_cmp_gt_i32_e64 s6, s14, v37
	s_delay_alu instid0(VALU_DEP_3) | instskip(SKIP_1) | instid1(VALU_DEP_3)
	v_add_co_ci_u32_e64 v65, s7, 0, v65, s7
	v_cmp_gt_f64_e64 s7, s[34:35], v[29:30]
	s_and_b32 s5, s6, s5
	s_delay_alu instid0(SALU_CYCLE_1) | instskip(NEXT) | instid1(VALU_DEP_2)
	v_add_co_ci_u32_e64 v67, s5, 0, v67, s5
	v_add_co_ci_u32_e64 v66, s7, 0, v66, s7
	s_or_b32 exec_lo, exec_lo, s8
	s_and_saveexec_b32 s7, vcc_lo
	s_cbranch_execz .LBB197_2
.LBB197_66:                             ;   in Loop: Header=BB197_3 Depth=1
	s_waitcnt vmcnt(0)
	v_cmp_u_f64_e64 s6, v[31:32], v[31:32]
	s_waitcnt lgkmcnt(0)
	v_cmp_eq_f64_e32 vcc_lo, s[34:35], v[31:32]
	v_cmp_gt_i32_e64 s5, s14, v35
	s_delay_alu instid0(VALU_DEP_3) | instskip(SKIP_1) | instid1(VALU_DEP_3)
	v_add_co_ci_u32_e64 v65, s6, 0, v65, s6
	v_cmp_gt_f64_e64 s6, s[34:35], v[31:32]
	s_and_b32 vcc_lo, s5, vcc_lo
	v_add_co_ci_u32_e32 v67, vcc_lo, 0, v67, vcc_lo
	s_delay_alu instid0(VALU_DEP_2)
	v_add_co_ci_u32_e64 v66, s6, 0, v66, s6
	s_branch .LBB197_2
.LBB197_67:
                                        ; implicit-def: $vgpr1_vgpr2
                                        ; implicit-def: $vgpr5_vgpr6
                                        ; implicit-def: $vgpr9_vgpr10
                                        ; implicit-def: $vgpr13_vgpr14
                                        ; implicit-def: $vgpr17_vgpr18
                                        ; implicit-def: $vgpr21_vgpr22
                                        ; implicit-def: $vgpr25_vgpr26
                                        ; implicit-def: $vgpr29_vgpr30
	v_lshlrev_b32_e32 v35, 2, v33
	s_cmp_lt_u32 s33, 2
	ds_store_b32 v35, v34
	s_cbranch_scc0 .LBB197_69
	s_branch .LBB197_73
.LBB197_68:
	v_add_nc_u32_e32 v34, v66, v67
	v_cmp_eq_u32_e64 s5, 0, v65
	v_lshlrev_b32_e32 v35, 2, v33
	s_cmp_lt_u32 s33, 2
	ds_store_b32 v35, v34
	s_cbranch_scc1 .LBB197_73
.LBB197_69:
	s_mov_b32 s6, s33
	s_branch .LBB197_71
	.p2align	6
.LBB197_70:                             ;   in Loop: Header=BB197_71 Depth=1
	s_or_b32 exec_lo, exec_lo, s8
	s_cmp_lt_u32 s6, 4
	s_mov_b32 s6, s7
	s_cbranch_scc1 .LBB197_73
.LBB197_71:                             ; =>This Inner Loop Header: Depth=1
	s_lshr_b32 s7, s6, 1
	s_mov_b32 s8, exec_lo
	s_waitcnt vmcnt(0) lgkmcnt(0)
	s_barrier
	buffer_gl0_inv
	v_cmpx_gt_u32_e64 s7, v33
	s_cbranch_execz .LBB197_70
; %bb.72:                               ;   in Loop: Header=BB197_71 Depth=1
	v_lshl_add_u32 v36, s7, 2, v35
	ds_load_b32 v36, v36
	s_waitcnt lgkmcnt(0)
	v_add_nc_u32_e32 v34, v36, v34
	ds_store_b32 v35, v34
	s_branch .LBB197_70
.LBB197_73:
	v_mov_b32_e32 v34, 0
	s_waitcnt vmcnt(0) lgkmcnt(0)
	s_barrier
	buffer_gl0_inv
	s_mul_i32 s6, s4, s27
	ds_load_b32 v35, v34
	s_mul_hi_u32 s7, s4, s26
	s_mul_i32 s8, s49, s26
	s_add_i32 s7, s7, s6
	s_mul_i32 s6, s4, s26
	s_add_i32 s7, s7, s8
	s_xor_b32 s9, s5, -1
	s_lshl_b64 s[10:11], s[6:7], 3
	s_delay_alu instid0(SALU_CYCLE_1)
	s_add_u32 s5, s24, s10
	s_addc_u32 s8, s25, s11
	s_mov_b32 s10, exec_lo
	s_waitcnt lgkmcnt(0)
	v_readfirstlane_b32 s6, v35
	v_cmpx_eq_u32_e32 0, v33
	s_cbranch_execnz .LBB197_76
; %bb.74:
	s_or_b32 exec_lo, exec_lo, s10
	s_and_saveexec_b32 s7, s9
	s_cbranch_execnz .LBB197_77
.LBB197_75:
	s_or_b32 exec_lo, exec_lo, s7
	s_delay_alu instid0(SALU_CYCLE_1)
	s_and_not1_b32 vcc_lo, exec_lo, s23
	s_cbranch_vccz .LBB197_78
	s_branch .LBB197_144
.LBB197_76:
	s_delay_alu instid0(VALU_DEP_2) | instskip(SKIP_2) | instid1(SALU_CYCLE_1)
	s_ashr_i32 s7, s6, 31
	v_dual_mov_b32 v36, s35 :: v_dual_mov_b32 v35, s34
	s_lshl_b64 s[12:13], s[6:7], 3
	s_add_u32 s12, s5, s12
	s_addc_u32 s13, s8, s13
	global_store_b64 v34, v[35:36], s[12:13]
	s_or_b32 exec_lo, exec_lo, s10
	s_and_saveexec_b32 s7, s9
	s_cbranch_execz .LBB197_75
.LBB197_77:
	v_dual_mov_b32 v34, 0 :: v_dual_mov_b32 v35, 0x7ff80000
	s_add_u32 s10, s5, s30
	s_addc_u32 s11, s8, s31
	global_store_b64 v34, v[34:35], s[10:11]
	s_or_b32 exec_lo, exec_lo, s7
	s_delay_alu instid0(SALU_CYCLE_1)
	s_and_not1_b32 vcc_lo, exec_lo, s23
	s_cbranch_vccnz .LBB197_144
.LBB197_78:
	s_clause 0x1
	s_load_b64 s[8:9], s[2:3], 0x30
	s_load_b256 s[16:23], s[2:3], 0x38
	s_load_b64 s[0:1], s[0:1], 0x4
	v_bfe_u32 v35, v0, 10, 10
	v_bfe_u32 v0, v0, 20, 10
	s_waitcnt lgkmcnt(0)
	s_ashr_i32 s3, s8, 31
	s_mul_i32 s5, s4, s17
	s_mul_hi_u32 s7, s4, s16
	s_mov_b32 s2, s8
	s_mul_i32 s8, s49, s16
	s_add_i32 s5, s7, s5
	s_mul_i32 s10, s4, s16
	s_add_i32 s11, s5, s8
	s_mul_i32 s5, s4, s23
	s_lshl_b64 s[10:11], s[10:11], 4
	s_mul_hi_u32 s7, s4, s22
	s_add_u32 s8, s28, s10
	s_addc_u32 s10, s29, s11
	s_lshl_b64 s[2:3], s[2:3], 4
	s_mul_i32 s11, s49, s22
	s_add_u32 s8, s8, s2
	s_addc_u32 s10, s10, s3
	s_add_i32 s3, s7, s5
	s_mul_i32 s2, s4, s22
	s_add_i32 s3, s3, s11
	s_mov_b32 s4, s20
	s_lshl_b64 s[2:3], s[2:3], 4
	s_ashr_i32 s5, s20, 31
	s_add_u32 s7, s18, s2
	s_addc_u32 s11, s19, s3
	s_lshl_b64 s[2:3], s[4:5], 4
	s_mul_i32 s4, s14, s9
	s_add_u32 s7, s7, s2
	s_addc_u32 s9, s11, s3
	s_ashr_i32 s5, s4, 31
	s_delay_alu instid0(SALU_CYCLE_1) | instskip(SKIP_4) | instid1(SALU_CYCLE_1)
	s_lshl_b64 s[2:3], s[4:5], 4
	s_mul_i32 s4, s6, s21
	s_add_u32 s16, s8, s2
	s_addc_u32 s17, s10, s3
	s_ashr_i32 s5, s4, 31
	s_lshl_b64 s[2:3], s[4:5], 4
	s_delay_alu instid0(SALU_CYCLE_1)
	s_add_u32 s18, s7, s2
	s_addc_u32 s19, s9, s3
	s_lshr_b32 s0, s0, 16
	s_add_i32 s20, s50, 1
	s_mul_i32 s0, s0, s1
	s_lshl_b32 s21, s33, 1
	v_mul_lo_u32 v34, s0, v33
	s_lshl_b32 s22, s33, 2
	s_lshl_b32 s23, s33, 3
	s_delay_alu instid0(VALU_DEP_1) | instskip(NEXT) | instid1(VALU_DEP_1)
	v_mad_u32_u24 v34, v35, s1, v34
	v_add_lshl_u32 v34, v34, v0, 4
	s_delay_alu instid0(VALU_DEP_1)
	v_add_nc_u32_e32 v0, 0x4800, v34
	v_add_nc_u32_e32 v65, 0x2800, v34
	;; [unrolled: 1-line block ×3, first 2 shown]
	s_branch .LBB197_80
.LBB197_79:                             ;   in Loop: Header=BB197_80 Depth=1
	s_or_b32 exec_lo, exec_lo, s0
	v_add_nc_u32_e32 v33, s36, v33
	s_add_i32 s20, s20, -1
	s_delay_alu instid0(SALU_CYCLE_1)
	s_cmp_eq_u32 s20, 0
	s_cbranch_scc1 .LBB197_144
.LBB197_80:                             ; =>This Inner Loop Header: Depth=1
	s_delay_alu instid0(VALU_DEP_1)
	v_cmp_gt_i32_e32 vcc_lo, s37, v33
	v_ashrrev_i32_e32 v34, 31, v33
	s_and_saveexec_b32 s1, vcc_lo
	s_cbranch_execz .LBB197_82
; %bb.81:                               ;   in Loop: Header=BB197_80 Depth=1
	s_waitcnt vmcnt(0)
	s_delay_alu instid0(VALU_DEP_1) | instskip(NEXT) | instid1(VALU_DEP_1)
	v_lshlrev_b64 v[1:2], 4, v[33:34]
	v_add_co_u32 v1, s0, s16, v1
	s_delay_alu instid0(VALU_DEP_1)
	v_add_co_ci_u32_e64 v2, s0, s17, v2, s0
	global_load_b128 v[1:4], v[1:2], off
.LBB197_82:                             ;   in Loop: Header=BB197_80 Depth=1
	s_or_b32 exec_lo, exec_lo, s1
	v_add_nc_u32_e32 v35, s33, v33
	s_delay_alu instid0(VALU_DEP_1) | instskip(SKIP_1) | instid1(VALU_DEP_2)
	v_cmp_gt_i32_e64 s0, s37, v35
	v_ashrrev_i32_e32 v36, 31, v35
	s_and_saveexec_b32 s2, s0
	s_cbranch_execz .LBB197_84
; %bb.83:                               ;   in Loop: Header=BB197_80 Depth=1
	s_waitcnt vmcnt(0)
	s_delay_alu instid0(VALU_DEP_1) | instskip(NEXT) | instid1(VALU_DEP_1)
	v_lshlrev_b64 v[5:6], 4, v[35:36]
	v_add_co_u32 v5, s1, s16, v5
	s_delay_alu instid0(VALU_DEP_1)
	v_add_co_ci_u32_e64 v6, s1, s17, v6, s1
	global_load_b128 v[5:8], v[5:6], off
.LBB197_84:                             ;   in Loop: Header=BB197_80 Depth=1
	s_or_b32 exec_lo, exec_lo, s2
	v_add_nc_u32_e32 v39, s33, v35
	v_add_nc_u32_e32 v37, s21, v33
	s_delay_alu instid0(VALU_DEP_2) | instskip(NEXT) | instid1(VALU_DEP_2)
	v_cmp_gt_i32_e64 s1, s37, v39
	v_ashrrev_i32_e32 v38, 31, v37
	s_delay_alu instid0(VALU_DEP_2)
	s_and_saveexec_b32 s3, s1
	s_cbranch_execz .LBB197_86
; %bb.85:                               ;   in Loop: Header=BB197_80 Depth=1
	s_waitcnt vmcnt(0)
	s_delay_alu instid0(VALU_DEP_1) | instskip(NEXT) | instid1(VALU_DEP_1)
	v_lshlrev_b64 v[9:10], 4, v[37:38]
	v_add_co_u32 v9, s2, s16, v9
	s_delay_alu instid0(VALU_DEP_1)
	v_add_co_ci_u32_e64 v10, s2, s17, v10, s2
	global_load_b128 v[9:12], v[9:10], off
.LBB197_86:                             ;   in Loop: Header=BB197_80 Depth=1
	s_or_b32 exec_lo, exec_lo, s3
	v_add_nc_u32_e32 v41, s33, v39
	v_add_nc_u32_e32 v39, s38, v33
	s_delay_alu instid0(VALU_DEP_2) | instskip(NEXT) | instid1(VALU_DEP_2)
	v_cmp_gt_i32_e64 s2, s37, v41
	v_ashrrev_i32_e32 v40, 31, v39
	s_delay_alu instid0(VALU_DEP_2)
	;; [unrolled: 18-line block ×7, first 2 shown]
	s_and_saveexec_b32 s9, s7
	s_cbranch_execz .LBB197_98
; %bb.97:                               ;   in Loop: Header=BB197_80 Depth=1
	s_delay_alu instid0(VALU_DEP_1) | instskip(NEXT) | instid1(VALU_DEP_1)
	v_lshlrev_b64 v[52:53], 4, v[49:50]
	v_add_co_u32 v52, s8, s16, v52
	s_delay_alu instid0(VALU_DEP_1)
	v_add_co_ci_u32_e64 v53, s8, s17, v53, s8
	global_load_b128 v[52:55], v[52:53], off
	s_waitcnt vmcnt(0)
	ds_store_2addr_b64 v0, v[52:53], v[54:55] offset1:1
.LBB197_98:                             ;   in Loop: Header=BB197_80 Depth=1
	s_or_b32 exec_lo, exec_lo, s9
	v_add_nc_u32_e32 v53, s33, v51
	v_add_nc_u32_e32 v51, s42, v33
	s_delay_alu instid0(VALU_DEP_2) | instskip(NEXT) | instid1(VALU_DEP_2)
	v_cmp_gt_i32_e64 s8, s37, v53
	v_ashrrev_i32_e32 v52, 31, v51
	s_delay_alu instid0(VALU_DEP_2)
	s_and_saveexec_b32 s10, s8
	s_cbranch_execz .LBB197_100
; %bb.99:                               ;   in Loop: Header=BB197_80 Depth=1
	s_delay_alu instid0(VALU_DEP_1) | instskip(NEXT) | instid1(VALU_DEP_1)
	v_lshlrev_b64 v[54:55], 4, v[51:52]
	v_add_co_u32 v54, s9, s16, v54
	s_delay_alu instid0(VALU_DEP_1)
	v_add_co_ci_u32_e64 v55, s9, s17, v55, s9
	global_load_b128 v[54:57], v[54:55], off
	s_waitcnt vmcnt(0)
	ds_store_2addr_b64 v65, v[54:55], v[56:57] offset1:1
.LBB197_100:                            ;   in Loop: Header=BB197_80 Depth=1
	s_or_b32 exec_lo, exec_lo, s10
	v_add_nc_u32_e32 v55, s33, v53
	v_add_nc_u32_e32 v53, s43, v33
	s_delay_alu instid0(VALU_DEP_2) | instskip(NEXT) | instid1(VALU_DEP_2)
	v_cmp_gt_i32_e64 s9, s37, v55
	v_ashrrev_i32_e32 v54, 31, v53
	s_delay_alu instid0(VALU_DEP_2)
	s_and_saveexec_b32 s11, s9
	s_cbranch_execz .LBB197_102
; %bb.101:                              ;   in Loop: Header=BB197_80 Depth=1
	s_delay_alu instid0(VALU_DEP_1) | instskip(NEXT) | instid1(VALU_DEP_1)
	v_lshlrev_b64 v[56:57], 4, v[53:54]
	v_add_co_u32 v56, s10, s16, v56
	s_delay_alu instid0(VALU_DEP_1)
	v_add_co_ci_u32_e64 v57, s10, s17, v57, s10
	global_load_b128 v[56:59], v[56:57], off
	s_waitcnt vmcnt(0)
	ds_store_2addr_b64 v66, v[56:57], v[58:59] offset1:1
.LBB197_102:                            ;   in Loop: Header=BB197_80 Depth=1
	s_or_b32 exec_lo, exec_lo, s11
	v_add_nc_u32_e32 v57, s33, v55
	v_add_nc_u32_e32 v55, s44, v33
	s_delay_alu instid0(VALU_DEP_2) | instskip(NEXT) | instid1(VALU_DEP_2)
	v_cmp_gt_i32_e64 s10, s37, v57
	v_ashrrev_i32_e32 v56, 31, v55
	s_delay_alu instid0(VALU_DEP_2)
	s_and_saveexec_b32 s12, s10
	s_cbranch_execz .LBB197_104
; %bb.103:                              ;   in Loop: Header=BB197_80 Depth=1
	s_delay_alu instid0(VALU_DEP_1) | instskip(NEXT) | instid1(VALU_DEP_1)
	v_lshlrev_b64 v[58:59], 4, v[55:56]
	v_add_co_u32 v58, s11, s16, v58
	s_delay_alu instid0(VALU_DEP_1)
	v_add_co_ci_u32_e64 v59, s11, s17, v59, s11
	global_load_b128 v[58:61], v[58:59], off
	s_waitcnt vmcnt(0)
	scratch_store_b128 off, v[58:61], off
.LBB197_104:                            ;   in Loop: Header=BB197_80 Depth=1
	s_or_b32 exec_lo, exec_lo, s12
	v_add_nc_u32_e32 v59, s33, v57
	v_add_nc_u32_e32 v57, s45, v33
	s_delay_alu instid0(VALU_DEP_2) | instskip(NEXT) | instid1(VALU_DEP_2)
	v_cmp_gt_i32_e64 s11, s37, v59
	v_ashrrev_i32_e32 v58, 31, v57
	s_delay_alu instid0(VALU_DEP_2)
	s_and_saveexec_b32 s13, s11
	s_cbranch_execz .LBB197_106
; %bb.105:                              ;   in Loop: Header=BB197_80 Depth=1
	s_delay_alu instid0(VALU_DEP_1) | instskip(NEXT) | instid1(VALU_DEP_1)
	v_lshlrev_b64 v[60:61], 4, v[57:58]
	v_add_co_u32 v60, s12, s16, v60
	s_delay_alu instid0(VALU_DEP_1)
	v_add_co_ci_u32_e64 v61, s12, s17, v61, s12
	global_load_b128 v[60:63], v[60:61], off
	s_waitcnt vmcnt(0)
	scratch_store_b128 off, v[60:63], off offset:16
.LBB197_106:                            ;   in Loop: Header=BB197_80 Depth=1
	s_or_b32 exec_lo, exec_lo, s13
	v_add_nc_u32_e32 v61, s33, v59
	v_add_nc_u32_e32 v59, s46, v33
	s_delay_alu instid0(VALU_DEP_2) | instskip(NEXT) | instid1(VALU_DEP_2)
	v_cmp_gt_i32_e64 s12, s37, v61
	v_ashrrev_i32_e32 v60, 31, v59
	s_delay_alu instid0(VALU_DEP_2)
	s_and_saveexec_b32 s14, s12
	s_cbranch_execz .LBB197_108
; %bb.107:                              ;   in Loop: Header=BB197_80 Depth=1
	s_delay_alu instid0(VALU_DEP_1) | instskip(NEXT) | instid1(VALU_DEP_1)
	v_lshlrev_b64 v[62:63], 4, v[59:60]
	v_add_co_u32 v62, s13, s16, v62
	s_delay_alu instid0(VALU_DEP_1)
	v_add_co_ci_u32_e64 v63, s13, s17, v63, s13
	global_load_b128 v[67:70], v[62:63], off
	s_waitcnt vmcnt(0)
	scratch_store_b128 off, v[67:70], off offset:32
.LBB197_108:                            ;   in Loop: Header=BB197_80 Depth=1
	;; [unrolled: 19-line block ×3, first 2 shown]
	s_or_b32 exec_lo, exec_lo, s15
	v_add_nc_u32_e32 v64, s33, v63
	v_add_nc_u32_e32 v63, s48, v33
	s_delay_alu instid0(VALU_DEP_2) | instskip(NEXT) | instid1(VALU_DEP_2)
	v_cmp_gt_i32_e64 s14, s37, v64
	v_ashrrev_i32_e32 v64, 31, v63
	s_delay_alu instid0(VALU_DEP_2)
	s_and_saveexec_b32 s24, s14
	s_cbranch_execnz .LBB197_127
; %bb.111:                              ;   in Loop: Header=BB197_80 Depth=1
	s_or_b32 exec_lo, exec_lo, s24
	s_and_saveexec_b32 s15, vcc_lo
	s_cbranch_execnz .LBB197_128
.LBB197_112:                            ;   in Loop: Header=BB197_80 Depth=1
	s_or_b32 exec_lo, exec_lo, s15
	s_and_saveexec_b32 s15, s0
	s_cbranch_execnz .LBB197_129
.LBB197_113:                            ;   in Loop: Header=BB197_80 Depth=1
	s_or_b32 exec_lo, exec_lo, s15
	s_and_saveexec_b32 s0, s1
	s_cbranch_execnz .LBB197_130
.LBB197_114:                            ;   in Loop: Header=BB197_80 Depth=1
	s_or_b32 exec_lo, exec_lo, s0
	s_and_saveexec_b32 s0, s2
	s_cbranch_execnz .LBB197_131
.LBB197_115:                            ;   in Loop: Header=BB197_80 Depth=1
	s_or_b32 exec_lo, exec_lo, s0
	s_and_saveexec_b32 s0, s3
	s_cbranch_execnz .LBB197_132
.LBB197_116:                            ;   in Loop: Header=BB197_80 Depth=1
	s_or_b32 exec_lo, exec_lo, s0
	s_and_saveexec_b32 s0, s4
	s_cbranch_execnz .LBB197_133
.LBB197_117:                            ;   in Loop: Header=BB197_80 Depth=1
	s_or_b32 exec_lo, exec_lo, s0
	s_and_saveexec_b32 s0, s5
	s_cbranch_execnz .LBB197_134
.LBB197_118:                            ;   in Loop: Header=BB197_80 Depth=1
	s_or_b32 exec_lo, exec_lo, s0
	s_and_saveexec_b32 s0, s6
	s_cbranch_execnz .LBB197_135
.LBB197_119:                            ;   in Loop: Header=BB197_80 Depth=1
	s_or_b32 exec_lo, exec_lo, s0
	s_and_saveexec_b32 s0, s7
	s_cbranch_execnz .LBB197_136
.LBB197_120:                            ;   in Loop: Header=BB197_80 Depth=1
	s_or_b32 exec_lo, exec_lo, s0
	s_and_saveexec_b32 s0, s8
	s_cbranch_execnz .LBB197_137
.LBB197_121:                            ;   in Loop: Header=BB197_80 Depth=1
	s_or_b32 exec_lo, exec_lo, s0
	s_and_saveexec_b32 s0, s9
	s_cbranch_execnz .LBB197_138
.LBB197_122:                            ;   in Loop: Header=BB197_80 Depth=1
	s_or_b32 exec_lo, exec_lo, s0
	s_and_saveexec_b32 s0, s10
	s_cbranch_execnz .LBB197_139
.LBB197_123:                            ;   in Loop: Header=BB197_80 Depth=1
	s_or_b32 exec_lo, exec_lo, s0
	s_and_saveexec_b32 s0, s11
	s_cbranch_execnz .LBB197_140
.LBB197_124:                            ;   in Loop: Header=BB197_80 Depth=1
	s_or_b32 exec_lo, exec_lo, s0
	s_and_saveexec_b32 s0, s12
	s_cbranch_execnz .LBB197_141
.LBB197_125:                            ;   in Loop: Header=BB197_80 Depth=1
	s_or_b32 exec_lo, exec_lo, s0
	s_and_saveexec_b32 s0, s13
	s_cbranch_execnz .LBB197_142
.LBB197_126:                            ;   in Loop: Header=BB197_80 Depth=1
	s_or_b32 exec_lo, exec_lo, s0
	s_and_saveexec_b32 s0, s14
	s_cbranch_execz .LBB197_79
	s_branch .LBB197_143
.LBB197_127:                            ;   in Loop: Header=BB197_80 Depth=1
	s_delay_alu instid0(VALU_DEP_1) | instskip(NEXT) | instid1(VALU_DEP_1)
	v_lshlrev_b64 v[67:68], 4, v[63:64]
	v_add_co_u32 v67, s15, s16, v67
	s_delay_alu instid0(VALU_DEP_1)
	v_add_co_ci_u32_e64 v68, s15, s17, v68, s15
	global_load_b128 v[67:70], v[67:68], off
	s_waitcnt vmcnt(0)
	scratch_store_b128 off, v[67:70], off offset:64
	s_or_b32 exec_lo, exec_lo, s24
	s_and_saveexec_b32 s15, vcc_lo
	s_cbranch_execz .LBB197_112
.LBB197_128:                            ;   in Loop: Header=BB197_80 Depth=1
	v_lshlrev_b64 v[67:68], 4, v[33:34]
	s_delay_alu instid0(VALU_DEP_1) | instskip(NEXT) | instid1(VALU_DEP_2)
	v_add_co_u32 v67, vcc_lo, s18, v67
	v_add_co_ci_u32_e32 v68, vcc_lo, s19, v68, vcc_lo
	s_waitcnt vmcnt(0)
	global_store_b128 v[67:68], v[1:4], off
	s_or_b32 exec_lo, exec_lo, s15
	s_and_saveexec_b32 s15, s0
	s_cbranch_execz .LBB197_113
.LBB197_129:                            ;   in Loop: Header=BB197_80 Depth=1
	v_lshlrev_b64 v[34:35], 4, v[35:36]
	s_delay_alu instid0(VALU_DEP_1) | instskip(NEXT) | instid1(VALU_DEP_2)
	v_add_co_u32 v34, vcc_lo, s18, v34
	v_add_co_ci_u32_e32 v35, vcc_lo, s19, v35, vcc_lo
	s_waitcnt vmcnt(0)
	global_store_b128 v[34:35], v[5:8], off
	s_or_b32 exec_lo, exec_lo, s15
	s_and_saveexec_b32 s0, s1
	s_cbranch_execz .LBB197_114
.LBB197_130:                            ;   in Loop: Header=BB197_80 Depth=1
	v_lshlrev_b64 v[34:35], 4, v[37:38]
	s_delay_alu instid0(VALU_DEP_1) | instskip(NEXT) | instid1(VALU_DEP_2)
	v_add_co_u32 v34, vcc_lo, s18, v34
	v_add_co_ci_u32_e32 v35, vcc_lo, s19, v35, vcc_lo
	s_waitcnt vmcnt(0)
	global_store_b128 v[34:35], v[9:12], off
	s_or_b32 exec_lo, exec_lo, s0
	s_and_saveexec_b32 s0, s2
	s_cbranch_execz .LBB197_115
.LBB197_131:                            ;   in Loop: Header=BB197_80 Depth=1
	v_lshlrev_b64 v[34:35], 4, v[39:40]
	s_delay_alu instid0(VALU_DEP_1) | instskip(NEXT) | instid1(VALU_DEP_2)
	v_add_co_u32 v34, vcc_lo, s18, v34
	v_add_co_ci_u32_e32 v35, vcc_lo, s19, v35, vcc_lo
	s_waitcnt vmcnt(0)
	global_store_b128 v[34:35], v[13:16], off
	s_or_b32 exec_lo, exec_lo, s0
	s_and_saveexec_b32 s0, s3
	s_cbranch_execz .LBB197_116
.LBB197_132:                            ;   in Loop: Header=BB197_80 Depth=1
	v_lshlrev_b64 v[34:35], 4, v[41:42]
	s_delay_alu instid0(VALU_DEP_1) | instskip(NEXT) | instid1(VALU_DEP_2)
	v_add_co_u32 v34, vcc_lo, s18, v34
	v_add_co_ci_u32_e32 v35, vcc_lo, s19, v35, vcc_lo
	s_waitcnt vmcnt(0)
	global_store_b128 v[34:35], v[17:20], off
	s_or_b32 exec_lo, exec_lo, s0
	s_and_saveexec_b32 s0, s4
	s_cbranch_execz .LBB197_117
.LBB197_133:                            ;   in Loop: Header=BB197_80 Depth=1
	v_lshlrev_b64 v[34:35], 4, v[43:44]
	s_delay_alu instid0(VALU_DEP_1) | instskip(NEXT) | instid1(VALU_DEP_2)
	v_add_co_u32 v34, vcc_lo, s18, v34
	v_add_co_ci_u32_e32 v35, vcc_lo, s19, v35, vcc_lo
	s_waitcnt vmcnt(0)
	global_store_b128 v[34:35], v[21:24], off
	s_or_b32 exec_lo, exec_lo, s0
	s_and_saveexec_b32 s0, s5
	s_cbranch_execz .LBB197_118
.LBB197_134:                            ;   in Loop: Header=BB197_80 Depth=1
	v_lshlrev_b64 v[34:35], 4, v[45:46]
	s_delay_alu instid0(VALU_DEP_1) | instskip(NEXT) | instid1(VALU_DEP_2)
	v_add_co_u32 v34, vcc_lo, s18, v34
	v_add_co_ci_u32_e32 v35, vcc_lo, s19, v35, vcc_lo
	s_waitcnt vmcnt(0)
	global_store_b128 v[34:35], v[25:28], off
	s_or_b32 exec_lo, exec_lo, s0
	s_and_saveexec_b32 s0, s6
	s_cbranch_execz .LBB197_119
.LBB197_135:                            ;   in Loop: Header=BB197_80 Depth=1
	v_lshlrev_b64 v[34:35], 4, v[47:48]
	s_delay_alu instid0(VALU_DEP_1) | instskip(NEXT) | instid1(VALU_DEP_2)
	v_add_co_u32 v34, vcc_lo, s18, v34
	v_add_co_ci_u32_e32 v35, vcc_lo, s19, v35, vcc_lo
	s_waitcnt vmcnt(0)
	global_store_b128 v[34:35], v[29:32], off
	s_or_b32 exec_lo, exec_lo, s0
	s_and_saveexec_b32 s0, s7
	s_cbranch_execz .LBB197_120
.LBB197_136:                            ;   in Loop: Header=BB197_80 Depth=1
	ds_load_2addr_b64 v[34:37], v0 offset1:1
	v_lshlrev_b64 v[38:39], 4, v[49:50]
	s_delay_alu instid0(VALU_DEP_1) | instskip(NEXT) | instid1(VALU_DEP_2)
	v_add_co_u32 v38, vcc_lo, s18, v38
	v_add_co_ci_u32_e32 v39, vcc_lo, s19, v39, vcc_lo
	s_waitcnt lgkmcnt(0)
	global_store_b128 v[38:39], v[34:37], off
	s_or_b32 exec_lo, exec_lo, s0
	s_and_saveexec_b32 s0, s8
	s_cbranch_execz .LBB197_121
.LBB197_137:                            ;   in Loop: Header=BB197_80 Depth=1
	ds_load_2addr_b64 v[34:37], v65 offset1:1
	v_lshlrev_b64 v[38:39], 4, v[51:52]
	s_delay_alu instid0(VALU_DEP_1) | instskip(NEXT) | instid1(VALU_DEP_2)
	v_add_co_u32 v38, vcc_lo, s18, v38
	v_add_co_ci_u32_e32 v39, vcc_lo, s19, v39, vcc_lo
	s_waitcnt lgkmcnt(0)
	global_store_b128 v[38:39], v[34:37], off
	s_or_b32 exec_lo, exec_lo, s0
	s_and_saveexec_b32 s0, s9
	s_cbranch_execz .LBB197_122
.LBB197_138:                            ;   in Loop: Header=BB197_80 Depth=1
	ds_load_2addr_b64 v[34:37], v66 offset1:1
	v_lshlrev_b64 v[38:39], 4, v[53:54]
	s_delay_alu instid0(VALU_DEP_1) | instskip(NEXT) | instid1(VALU_DEP_2)
	v_add_co_u32 v38, vcc_lo, s18, v38
	v_add_co_ci_u32_e32 v39, vcc_lo, s19, v39, vcc_lo
	s_waitcnt lgkmcnt(0)
	global_store_b128 v[38:39], v[34:37], off
	s_or_b32 exec_lo, exec_lo, s0
	s_and_saveexec_b32 s0, s10
	s_cbranch_execz .LBB197_123
.LBB197_139:                            ;   in Loop: Header=BB197_80 Depth=1
	scratch_load_b128 v[34:37], off, off
	v_lshlrev_b64 v[38:39], 4, v[55:56]
	s_delay_alu instid0(VALU_DEP_1) | instskip(NEXT) | instid1(VALU_DEP_2)
	v_add_co_u32 v38, vcc_lo, s18, v38
	v_add_co_ci_u32_e32 v39, vcc_lo, s19, v39, vcc_lo
	s_waitcnt vmcnt(0)
	global_store_b128 v[38:39], v[34:37], off
	s_or_b32 exec_lo, exec_lo, s0
	s_and_saveexec_b32 s0, s11
	s_cbranch_execz .LBB197_124
.LBB197_140:                            ;   in Loop: Header=BB197_80 Depth=1
	scratch_load_b128 v[34:37], off, off offset:16
	v_lshlrev_b64 v[38:39], 4, v[57:58]
	s_delay_alu instid0(VALU_DEP_1) | instskip(NEXT) | instid1(VALU_DEP_2)
	v_add_co_u32 v38, vcc_lo, s18, v38
	v_add_co_ci_u32_e32 v39, vcc_lo, s19, v39, vcc_lo
	s_waitcnt vmcnt(0)
	global_store_b128 v[38:39], v[34:37], off
	s_or_b32 exec_lo, exec_lo, s0
	s_and_saveexec_b32 s0, s12
	s_cbranch_execz .LBB197_125
.LBB197_141:                            ;   in Loop: Header=BB197_80 Depth=1
	scratch_load_b128 v[34:37], off, off offset:32
	v_lshlrev_b64 v[38:39], 4, v[59:60]
	s_delay_alu instid0(VALU_DEP_1) | instskip(NEXT) | instid1(VALU_DEP_2)
	v_add_co_u32 v38, vcc_lo, s18, v38
	v_add_co_ci_u32_e32 v39, vcc_lo, s19, v39, vcc_lo
	s_waitcnt vmcnt(0)
	global_store_b128 v[38:39], v[34:37], off
	s_or_b32 exec_lo, exec_lo, s0
	s_and_saveexec_b32 s0, s13
	s_cbranch_execz .LBB197_126
.LBB197_142:                            ;   in Loop: Header=BB197_80 Depth=1
	scratch_load_b128 v[34:37], off, off offset:48
	v_lshlrev_b64 v[38:39], 4, v[61:62]
	s_delay_alu instid0(VALU_DEP_1) | instskip(NEXT) | instid1(VALU_DEP_2)
	v_add_co_u32 v38, vcc_lo, s18, v38
	v_add_co_ci_u32_e32 v39, vcc_lo, s19, v39, vcc_lo
	s_waitcnt vmcnt(0)
	global_store_b128 v[38:39], v[34:37], off
	s_or_b32 exec_lo, exec_lo, s0
	s_and_saveexec_b32 s0, s14
	s_cbranch_execz .LBB197_79
.LBB197_143:                            ;   in Loop: Header=BB197_80 Depth=1
	scratch_load_b128 v[34:37], off, off offset:64
	v_lshlrev_b64 v[38:39], 4, v[63:64]
	s_delay_alu instid0(VALU_DEP_1) | instskip(NEXT) | instid1(VALU_DEP_2)
	v_add_co_u32 v38, vcc_lo, s18, v38
	v_add_co_ci_u32_e32 v39, vcc_lo, s19, v39, vcc_lo
	s_waitcnt vmcnt(0)
	global_store_b128 v[38:39], v[34:37], off
	s_branch .LBB197_79
.LBB197_144:
	s_endpgm
	.section	.rodata,"a",@progbits
	.p2align	6, 0x0
	.amdhsa_kernel _ZN9rocsolver6v33100L10stedc_sortI19rocblas_complex_numIdEdPS3_S4_EEviPT0_lS6_lT1_iilT2_iil
		.amdhsa_group_segment_fixed_size 26624
		.amdhsa_private_segment_fixed_size 96
		.amdhsa_kernarg_size 344
		.amdhsa_user_sgpr_count 14
		.amdhsa_user_sgpr_dispatch_ptr 1
		.amdhsa_user_sgpr_queue_ptr 0
		.amdhsa_user_sgpr_kernarg_segment_ptr 1
		.amdhsa_user_sgpr_dispatch_id 0
		.amdhsa_user_sgpr_private_segment_size 0
		.amdhsa_wavefront_size32 1
		.amdhsa_uses_dynamic_stack 0
		.amdhsa_enable_private_segment 1
		.amdhsa_system_sgpr_workgroup_id_x 1
		.amdhsa_system_sgpr_workgroup_id_y 1
		.amdhsa_system_sgpr_workgroup_id_z 0
		.amdhsa_system_sgpr_workgroup_info 0
		.amdhsa_system_vgpr_workitem_id 2
		.amdhsa_next_free_vgpr 71
		.amdhsa_next_free_sgpr 58
		.amdhsa_reserve_vcc 1
		.amdhsa_float_round_mode_32 0
		.amdhsa_float_round_mode_16_64 0
		.amdhsa_float_denorm_mode_32 3
		.amdhsa_float_denorm_mode_16_64 3
		.amdhsa_dx10_clamp 1
		.amdhsa_ieee_mode 1
		.amdhsa_fp16_overflow 0
		.amdhsa_workgroup_processor_mode 1
		.amdhsa_memory_ordered 1
		.amdhsa_forward_progress 0
		.amdhsa_shared_vgpr_count 0
		.amdhsa_exception_fp_ieee_invalid_op 0
		.amdhsa_exception_fp_denorm_src 0
		.amdhsa_exception_fp_ieee_div_zero 0
		.amdhsa_exception_fp_ieee_overflow 0
		.amdhsa_exception_fp_ieee_underflow 0
		.amdhsa_exception_fp_ieee_inexact 0
		.amdhsa_exception_int_div_zero 0
	.end_amdhsa_kernel
	.section	.text._ZN9rocsolver6v33100L10stedc_sortI19rocblas_complex_numIdEdPS3_S4_EEviPT0_lS6_lT1_iilT2_iil,"axG",@progbits,_ZN9rocsolver6v33100L10stedc_sortI19rocblas_complex_numIdEdPS3_S4_EEviPT0_lS6_lT1_iilT2_iil,comdat
.Lfunc_end197:
	.size	_ZN9rocsolver6v33100L10stedc_sortI19rocblas_complex_numIdEdPS3_S4_EEviPT0_lS6_lT1_iilT2_iil, .Lfunc_end197-_ZN9rocsolver6v33100L10stedc_sortI19rocblas_complex_numIdEdPS3_S4_EEviPT0_lS6_lT1_iilT2_iil
                                        ; -- End function
	.section	.AMDGPU.csdata,"",@progbits
; Kernel info:
; codeLenInByte = 6244
; NumSgprs: 60
; NumVgprs: 71
; ScratchSize: 96
; MemoryBound: 1
; FloatMode: 240
; IeeeMode: 1
; LDSByteSize: 26624 bytes/workgroup (compile time only)
; SGPRBlocks: 7
; VGPRBlocks: 8
; NumSGPRsForWavesPerEU: 60
; NumVGPRsForWavesPerEU: 71
; Occupancy: 16
; WaveLimiterHint : 0
; COMPUTE_PGM_RSRC2:SCRATCH_EN: 1
; COMPUTE_PGM_RSRC2:USER_SGPR: 14
; COMPUTE_PGM_RSRC2:TRAP_HANDLER: 0
; COMPUTE_PGM_RSRC2:TGID_X_EN: 1
; COMPUTE_PGM_RSRC2:TGID_Y_EN: 1
; COMPUTE_PGM_RSRC2:TGID_Z_EN: 0
; COMPUTE_PGM_RSRC2:TIDIG_COMP_CNT: 2
	.section	.text._ZN9rocsolver6v33100L13conj_in_placeI19rocblas_complex_numIdEiPS3_TnNSt9enable_ifIX18rocblas_is_complexIT_EEiE4typeELi0EEEvT0_S9_T1_lS9_l,"axG",@progbits,_ZN9rocsolver6v33100L13conj_in_placeI19rocblas_complex_numIdEiPS3_TnNSt9enable_ifIX18rocblas_is_complexIT_EEiE4typeELi0EEEvT0_S9_T1_lS9_l,comdat
	.globl	_ZN9rocsolver6v33100L13conj_in_placeI19rocblas_complex_numIdEiPS3_TnNSt9enable_ifIX18rocblas_is_complexIT_EEiE4typeELi0EEEvT0_S9_T1_lS9_l ; -- Begin function _ZN9rocsolver6v33100L13conj_in_placeI19rocblas_complex_numIdEiPS3_TnNSt9enable_ifIX18rocblas_is_complexIT_EEiE4typeELi0EEEvT0_S9_T1_lS9_l
	.p2align	8
	.type	_ZN9rocsolver6v33100L13conj_in_placeI19rocblas_complex_numIdEiPS3_TnNSt9enable_ifIX18rocblas_is_complexIT_EEiE4typeELi0EEEvT0_S9_T1_lS9_l,@function
_ZN9rocsolver6v33100L13conj_in_placeI19rocblas_complex_numIdEiPS3_TnNSt9enable_ifIX18rocblas_is_complexIT_EEiE4typeELi0EEEvT0_S9_T1_lS9_l: ; @_ZN9rocsolver6v33100L13conj_in_placeI19rocblas_complex_numIdEiPS3_TnNSt9enable_ifIX18rocblas_is_complexIT_EEiE4typeELi0EEEvT0_S9_T1_lS9_l
; %bb.0:
	s_clause 0x1
	s_load_b32 s4, s[0:1], 0x34
	s_load_b64 s[2:3], s[0:1], 0x0
	v_and_b32_e32 v2, 0x3ff, v0
	v_bfe_u32 v3, v0, 10, 10
	s_waitcnt lgkmcnt(0)
	s_lshr_b32 s5, s4, 16
	s_and_b32 s4, s4, 0xffff
	s_delay_alu instid0(VALU_DEP_1) | instid1(SALU_CYCLE_1)
	v_mad_u64_u32 v[0:1], null, s13, s4, v[2:3]
	v_mad_u64_u32 v[1:2], null, s14, s5, v[3:4]
	s_delay_alu instid0(VALU_DEP_2) | instskip(NEXT) | instid1(VALU_DEP_2)
	v_cmp_gt_i32_e32 vcc_lo, s2, v0
	v_cmp_gt_i32_e64 s2, s3, v1
	s_delay_alu instid0(VALU_DEP_1) | instskip(NEXT) | instid1(SALU_CYCLE_1)
	s_and_b32 s2, vcc_lo, s2
	s_and_saveexec_b32 s3, s2
	s_cbranch_execz .LBB198_2
; %bb.1:
	s_clause 0x2
	s_load_b64 s[4:5], s[0:1], 0x20
	s_load_b32 s6, s[0:1], 0x18
	s_load_b128 s[0:3], s[0:1], 0x8
	s_ashr_i32 s7, s15, 31
	s_waitcnt lgkmcnt(0)
	s_mul_i32 s5, s15, s5
	v_mad_i64_i32 v[5:6], null, v1, s6, 0
	s_mul_hi_u32 s8, s15, s4
	s_mul_i32 s7, s7, s4
	s_add_i32 s5, s8, s5
	s_mul_i32 s4, s15, s4
	s_add_i32 s5, s5, s7
	v_ashrrev_i32_e32 v1, 31, v0
	s_lshl_b64 s[4:5], s[4:5], 4
	v_lshlrev_b64 v[2:3], 4, v[5:6]
	s_add_u32 s4, s0, s4
	s_addc_u32 s5, s1, s5
	s_lshl_b64 s[0:1], s[2:3], 4
	v_lshlrev_b64 v[6:7], 4, v[0:1]
	s_add_u32 s0, s4, s0
	s_addc_u32 s1, s5, s1
	v_add_co_u32 v1, vcc_lo, s0, v2
	v_add_co_ci_u32_e32 v2, vcc_lo, s1, v3, vcc_lo
	v_add_nc_u32_e32 v5, v5, v0
	s_delay_alu instid0(VALU_DEP_3) | instskip(NEXT) | instid1(VALU_DEP_3)
	v_add_co_u32 v1, vcc_lo, v1, v6
	v_add_co_ci_u32_e32 v2, vcc_lo, v2, v7, vcc_lo
	s_delay_alu instid0(VALU_DEP_3) | instskip(SKIP_2) | instid1(VALU_DEP_1)
	v_ashrrev_i32_e32 v6, 31, v5
	global_load_b128 v[1:4], v[1:2], off
	v_lshlrev_b64 v[5:6], 4, v[5:6]
	v_add_co_u32 v5, vcc_lo, s0, v5
	s_delay_alu instid0(VALU_DEP_2)
	v_add_co_ci_u32_e32 v6, vcc_lo, s1, v6, vcc_lo
	s_waitcnt vmcnt(0)
	v_xor_b32_e32 v4, 0x80000000, v4
	global_store_b128 v[5:6], v[1:4], off
.LBB198_2:
	s_nop 0
	s_sendmsg sendmsg(MSG_DEALLOC_VGPRS)
	s_endpgm
	.section	.rodata,"a",@progbits
	.p2align	6, 0x0
	.amdhsa_kernel _ZN9rocsolver6v33100L13conj_in_placeI19rocblas_complex_numIdEiPS3_TnNSt9enable_ifIX18rocblas_is_complexIT_EEiE4typeELi0EEEvT0_S9_T1_lS9_l
		.amdhsa_group_segment_fixed_size 0
		.amdhsa_private_segment_fixed_size 0
		.amdhsa_kernarg_size 296
		.amdhsa_user_sgpr_count 13
		.amdhsa_user_sgpr_dispatch_ptr 0
		.amdhsa_user_sgpr_queue_ptr 0
		.amdhsa_user_sgpr_kernarg_segment_ptr 1
		.amdhsa_user_sgpr_dispatch_id 0
		.amdhsa_user_sgpr_private_segment_size 0
		.amdhsa_wavefront_size32 1
		.amdhsa_uses_dynamic_stack 0
		.amdhsa_enable_private_segment 0
		.amdhsa_system_sgpr_workgroup_id_x 1
		.amdhsa_system_sgpr_workgroup_id_y 1
		.amdhsa_system_sgpr_workgroup_id_z 1
		.amdhsa_system_sgpr_workgroup_info 0
		.amdhsa_system_vgpr_workitem_id 1
		.amdhsa_next_free_vgpr 8
		.amdhsa_next_free_sgpr 16
		.amdhsa_reserve_vcc 1
		.amdhsa_float_round_mode_32 0
		.amdhsa_float_round_mode_16_64 0
		.amdhsa_float_denorm_mode_32 3
		.amdhsa_float_denorm_mode_16_64 3
		.amdhsa_dx10_clamp 1
		.amdhsa_ieee_mode 1
		.amdhsa_fp16_overflow 0
		.amdhsa_workgroup_processor_mode 1
		.amdhsa_memory_ordered 1
		.amdhsa_forward_progress 0
		.amdhsa_shared_vgpr_count 0
		.amdhsa_exception_fp_ieee_invalid_op 0
		.amdhsa_exception_fp_denorm_src 0
		.amdhsa_exception_fp_ieee_div_zero 0
		.amdhsa_exception_fp_ieee_overflow 0
		.amdhsa_exception_fp_ieee_underflow 0
		.amdhsa_exception_fp_ieee_inexact 0
		.amdhsa_exception_int_div_zero 0
	.end_amdhsa_kernel
	.section	.text._ZN9rocsolver6v33100L13conj_in_placeI19rocblas_complex_numIdEiPS3_TnNSt9enable_ifIX18rocblas_is_complexIT_EEiE4typeELi0EEEvT0_S9_T1_lS9_l,"axG",@progbits,_ZN9rocsolver6v33100L13conj_in_placeI19rocblas_complex_numIdEiPS3_TnNSt9enable_ifIX18rocblas_is_complexIT_EEiE4typeELi0EEEvT0_S9_T1_lS9_l,comdat
.Lfunc_end198:
	.size	_ZN9rocsolver6v33100L13conj_in_placeI19rocblas_complex_numIdEiPS3_TnNSt9enable_ifIX18rocblas_is_complexIT_EEiE4typeELi0EEEvT0_S9_T1_lS9_l, .Lfunc_end198-_ZN9rocsolver6v33100L13conj_in_placeI19rocblas_complex_numIdEiPS3_TnNSt9enable_ifIX18rocblas_is_complexIT_EEiE4typeELi0EEEvT0_S9_T1_lS9_l
                                        ; -- End function
	.section	.AMDGPU.csdata,"",@progbits
; Kernel info:
; codeLenInByte = 320
; NumSgprs: 18
; NumVgprs: 8
; ScratchSize: 0
; MemoryBound: 0
; FloatMode: 240
; IeeeMode: 1
; LDSByteSize: 0 bytes/workgroup (compile time only)
; SGPRBlocks: 2
; VGPRBlocks: 0
; NumSGPRsForWavesPerEU: 18
; NumVGPRsForWavesPerEU: 8
; Occupancy: 16
; WaveLimiterHint : 0
; COMPUTE_PGM_RSRC2:SCRATCH_EN: 0
; COMPUTE_PGM_RSRC2:USER_SGPR: 13
; COMPUTE_PGM_RSRC2:TRAP_HANDLER: 0
; COMPUTE_PGM_RSRC2:TGID_X_EN: 1
; COMPUTE_PGM_RSRC2:TGID_Y_EN: 1
; COMPUTE_PGM_RSRC2:TGID_Z_EN: 1
; COMPUTE_PGM_RSRC2:TIDIG_COMP_CNT: 1
	.section	.text._ZN9rocsolver6v33100L8set_diagI19rocblas_complex_numIdEiS3_PS3_TnNSt9enable_ifIXoont18rocblas_is_complexIT_E18rocblas_is_complexIT1_EEiE4typeELi0EEEvPS7_llT2_lT0_lSC_b,"axG",@progbits,_ZN9rocsolver6v33100L8set_diagI19rocblas_complex_numIdEiS3_PS3_TnNSt9enable_ifIXoont18rocblas_is_complexIT_E18rocblas_is_complexIT1_EEiE4typeELi0EEEvPS7_llT2_lT0_lSC_b,comdat
	.globl	_ZN9rocsolver6v33100L8set_diagI19rocblas_complex_numIdEiS3_PS3_TnNSt9enable_ifIXoont18rocblas_is_complexIT_E18rocblas_is_complexIT1_EEiE4typeELi0EEEvPS7_llT2_lT0_lSC_b ; -- Begin function _ZN9rocsolver6v33100L8set_diagI19rocblas_complex_numIdEiS3_PS3_TnNSt9enable_ifIXoont18rocblas_is_complexIT_E18rocblas_is_complexIT1_EEiE4typeELi0EEEvPS7_llT2_lT0_lSC_b
	.p2align	8
	.type	_ZN9rocsolver6v33100L8set_diagI19rocblas_complex_numIdEiS3_PS3_TnNSt9enable_ifIXoont18rocblas_is_complexIT_E18rocblas_is_complexIT1_EEiE4typeELi0EEEvPS7_llT2_lT0_lSC_b,@function
_ZN9rocsolver6v33100L8set_diagI19rocblas_complex_numIdEiS3_PS3_TnNSt9enable_ifIXoont18rocblas_is_complexIT_E18rocblas_is_complexIT1_EEiE4typeELi0EEEvPS7_llT2_lT0_lSC_b: ; @_ZN9rocsolver6v33100L8set_diagI19rocblas_complex_numIdEiS3_PS3_TnNSt9enable_ifIXoont18rocblas_is_complexIT_E18rocblas_is_complexIT1_EEiE4typeELi0EEEvPS7_llT2_lT0_lSC_b
; %bb.0:
	s_clause 0x1
	s_load_b32 s4, s[0:1], 0x4c
	s_load_b64 s[2:3], s[0:1], 0x38
	v_bfe_u32 v2, v0, 10, 10
	s_waitcnt lgkmcnt(0)
	s_lshr_b32 s4, s4, 16
	s_delay_alu instid0(VALU_DEP_1) | instid1(SALU_CYCLE_1)
	v_mad_u64_u32 v[0:1], null, s15, s4, v[2:3]
	s_delay_alu instid0(VALU_DEP_1)
	v_cmp_gt_i32_e32 vcc_lo, s2, v0
	s_and_saveexec_b32 s2, vcc_lo
	s_cbranch_execz .LBB199_5
; %bb.1:
	s_clause 0x3
	s_load_b32 s2, s[0:1], 0x28
	s_load_b64 s[12:13], s[0:1], 0x30
	s_load_b256 s[4:11], s[0:1], 0x0
	s_load_b64 s[0:1], s[0:1], 0x20
	s_bitcmp1_b32 s3, 0
	s_cselect_b32 s15, -1, 0
	s_ashr_i32 s16, s14, 31
	s_waitcnt lgkmcnt(0)
	v_mad_u64_u32 v[1:2], null, v0, s2, v[0:1]
	s_mul_i32 s2, s14, s13
	s_mul_hi_u32 s3, s14, s12
	s_mul_i32 s13, s16, s12
	s_add_i32 s3, s3, s2
	s_mul_i32 s2, s14, s12
	s_add_i32 s3, s3, s13
	s_delay_alu instid0(VALU_DEP_1)
	v_ashrrev_i32_e32 v2, 31, v1
	s_lshl_b64 s[2:3], s[2:3], 4
	s_mul_i32 s16, s16, s8
	s_add_u32 s2, s10, s2
	s_addc_u32 s3, s11, s3
	v_lshlrev_b64 v[1:2], 4, v[1:2]
	s_lshl_b64 s[0:1], s[0:1], 4
	s_delay_alu instid0(SALU_CYCLE_1) | instskip(SKIP_1) | instid1(VALU_DEP_1)
	s_add_u32 s0, s2, s0
	s_addc_u32 s1, s3, s1
	v_add_co_u32 v4, vcc_lo, s0, v1
	s_delay_alu instid0(VALU_DEP_2)
	v_add_co_ci_u32_e32 v5, vcc_lo, s1, v2, vcc_lo
	s_mul_i32 s0, s14, s9
	s_mul_hi_u32 s1, s14, s8
	v_ashrrev_i32_e32 v1, 31, v0
	global_load_b128 v[6:9], v[4:5], off
	s_add_i32 s1, s1, s0
	s_mul_i32 s0, s14, s8
	s_add_i32 s1, s1, s16
	v_lshlrev_b64 v[0:1], 4, v[0:1]
	s_lshl_b64 s[0:1], s[0:1], 4
	s_delay_alu instid0(SALU_CYCLE_1) | instskip(SKIP_2) | instid1(SALU_CYCLE_1)
	s_add_u32 s2, s4, s0
	s_addc_u32 s3, s5, s1
	s_lshl_b64 s[0:1], s[6:7], 4
	s_add_u32 s0, s2, s0
	s_addc_u32 s1, s3, s1
	v_add_co_u32 v0, vcc_lo, s0, v0
	v_add_co_ci_u32_e32 v1, vcc_lo, s1, v1, vcc_lo
	s_and_b32 vcc_lo, exec_lo, s15
	s_waitcnt vmcnt(0)
	global_store_b128 v[0:1], v[6:9], off
	s_cbranch_vccnz .LBB199_3
; %bb.2:
	global_load_b128 v[0:3], v[4:5], off
	s_branch .LBB199_4
.LBB199_3:
	v_mov_b32_e32 v2, 0
	v_dual_mov_b32 v3, 0 :: v_dual_mov_b32 v0, 0
	v_mov_b32_e32 v1, 0x3ff00000
.LBB199_4:
	s_waitcnt vmcnt(0)
	global_store_b128 v[4:5], v[0:3], off
.LBB199_5:
	s_nop 0
	s_sendmsg sendmsg(MSG_DEALLOC_VGPRS)
	s_endpgm
	.section	.rodata,"a",@progbits
	.p2align	6, 0x0
	.amdhsa_kernel _ZN9rocsolver6v33100L8set_diagI19rocblas_complex_numIdEiS3_PS3_TnNSt9enable_ifIXoont18rocblas_is_complexIT_E18rocblas_is_complexIT1_EEiE4typeELi0EEEvPS7_llT2_lT0_lSC_b
		.amdhsa_group_segment_fixed_size 0
		.amdhsa_private_segment_fixed_size 0
		.amdhsa_kernarg_size 320
		.amdhsa_user_sgpr_count 14
		.amdhsa_user_sgpr_dispatch_ptr 0
		.amdhsa_user_sgpr_queue_ptr 0
		.amdhsa_user_sgpr_kernarg_segment_ptr 1
		.amdhsa_user_sgpr_dispatch_id 0
		.amdhsa_user_sgpr_private_segment_size 0
		.amdhsa_wavefront_size32 1
		.amdhsa_uses_dynamic_stack 0
		.amdhsa_enable_private_segment 0
		.amdhsa_system_sgpr_workgroup_id_x 1
		.amdhsa_system_sgpr_workgroup_id_y 1
		.amdhsa_system_sgpr_workgroup_id_z 0
		.amdhsa_system_sgpr_workgroup_info 0
		.amdhsa_system_vgpr_workitem_id 1
		.amdhsa_next_free_vgpr 10
		.amdhsa_next_free_sgpr 17
		.amdhsa_reserve_vcc 1
		.amdhsa_float_round_mode_32 0
		.amdhsa_float_round_mode_16_64 0
		.amdhsa_float_denorm_mode_32 3
		.amdhsa_float_denorm_mode_16_64 3
		.amdhsa_dx10_clamp 1
		.amdhsa_ieee_mode 1
		.amdhsa_fp16_overflow 0
		.amdhsa_workgroup_processor_mode 1
		.amdhsa_memory_ordered 1
		.amdhsa_forward_progress 0
		.amdhsa_shared_vgpr_count 0
		.amdhsa_exception_fp_ieee_invalid_op 0
		.amdhsa_exception_fp_denorm_src 0
		.amdhsa_exception_fp_ieee_div_zero 0
		.amdhsa_exception_fp_ieee_overflow 0
		.amdhsa_exception_fp_ieee_underflow 0
		.amdhsa_exception_fp_ieee_inexact 0
		.amdhsa_exception_int_div_zero 0
	.end_amdhsa_kernel
	.section	.text._ZN9rocsolver6v33100L8set_diagI19rocblas_complex_numIdEiS3_PS3_TnNSt9enable_ifIXoont18rocblas_is_complexIT_E18rocblas_is_complexIT1_EEiE4typeELi0EEEvPS7_llT2_lT0_lSC_b,"axG",@progbits,_ZN9rocsolver6v33100L8set_diagI19rocblas_complex_numIdEiS3_PS3_TnNSt9enable_ifIXoont18rocblas_is_complexIT_E18rocblas_is_complexIT1_EEiE4typeELi0EEEvPS7_llT2_lT0_lSC_b,comdat
.Lfunc_end199:
	.size	_ZN9rocsolver6v33100L8set_diagI19rocblas_complex_numIdEiS3_PS3_TnNSt9enable_ifIXoont18rocblas_is_complexIT_E18rocblas_is_complexIT1_EEiE4typeELi0EEEvPS7_llT2_lT0_lSC_b, .Lfunc_end199-_ZN9rocsolver6v33100L8set_diagI19rocblas_complex_numIdEiS3_PS3_TnNSt9enable_ifIXoont18rocblas_is_complexIT_E18rocblas_is_complexIT1_EEiE4typeELi0EEEvPS7_llT2_lT0_lSC_b
                                        ; -- End function
	.section	.AMDGPU.csdata,"",@progbits
; Kernel info:
; codeLenInByte = 368
; NumSgprs: 19
; NumVgprs: 10
; ScratchSize: 0
; MemoryBound: 1
; FloatMode: 240
; IeeeMode: 1
; LDSByteSize: 0 bytes/workgroup (compile time only)
; SGPRBlocks: 2
; VGPRBlocks: 1
; NumSGPRsForWavesPerEU: 19
; NumVGPRsForWavesPerEU: 10
; Occupancy: 16
; WaveLimiterHint : 0
; COMPUTE_PGM_RSRC2:SCRATCH_EN: 0
; COMPUTE_PGM_RSRC2:USER_SGPR: 14
; COMPUTE_PGM_RSRC2:TRAP_HANDLER: 0
; COMPUTE_PGM_RSRC2:TGID_X_EN: 1
; COMPUTE_PGM_RSRC2:TGID_Y_EN: 1
; COMPUTE_PGM_RSRC2:TGID_Z_EN: 0
; COMPUTE_PGM_RSRC2:TIDIG_COMP_CNT: 1
	.section	.text._ZN9rocsolver6v33100L16larf_left_kernelILi1024E19rocblas_complex_numIdEiPS3_EEvT1_S5_T2_lS5_lPKT0_lS6_lS5_l,"axG",@progbits,_ZN9rocsolver6v33100L16larf_left_kernelILi1024E19rocblas_complex_numIdEiPS3_EEvT1_S5_T2_lS5_lPKT0_lS6_lS5_l,comdat
	.globl	_ZN9rocsolver6v33100L16larf_left_kernelILi1024E19rocblas_complex_numIdEiPS3_EEvT1_S5_T2_lS5_lPKT0_lS6_lS5_l ; -- Begin function _ZN9rocsolver6v33100L16larf_left_kernelILi1024E19rocblas_complex_numIdEiPS3_EEvT1_S5_T2_lS5_lPKT0_lS6_lS5_l
	.p2align	8
	.type	_ZN9rocsolver6v33100L16larf_left_kernelILi1024E19rocblas_complex_numIdEiPS3_EEvT1_S5_T2_lS5_lPKT0_lS6_lS5_l,@function
_ZN9rocsolver6v33100L16larf_left_kernelILi1024E19rocblas_complex_numIdEiPS3_EEvT1_S5_T2_lS5_lPKT0_lS6_lS5_l: ; @_ZN9rocsolver6v33100L16larf_left_kernelILi1024E19rocblas_complex_numIdEiPS3_EEvT1_S5_T2_lS5_lPKT0_lS6_lS5_l
; %bb.0:
	s_clause 0x4
	s_load_b32 s20, s[0:1], 0x0
	s_load_b64 s[2:3], s[0:1], 0x50
	s_load_b32 s16, s[0:1], 0x48
	s_load_b64 s[12:13], s[0:1], 0x40
	s_load_b256 s[4:11], s[0:1], 0x20
	v_mov_b32_e32 v1, 0
	v_dual_mov_b32 v2, 0 :: v_dual_lshlrev_b32 v7, 4, v0
	s_ashr_i32 s24, s15, 31
	s_delay_alu instid0(VALU_DEP_1)
	v_dual_mov_b32 v4, v2 :: v_dual_mov_b32 v3, v1
	s_waitcnt lgkmcnt(0)
	v_cmp_gt_i32_e32 vcc_lo, s20, v0
	s_mul_i32 s21, s2, s24
	s_mul_hi_u32 s22, s2, s15
	s_mul_i32 s23, s3, s15
	s_mul_i32 s18, s2, s15
	s_mul_hi_i32 s17, s14, s16
	s_mul_i32 s16, s14, s16
	s_and_saveexec_b32 s14, vcc_lo
	s_cbranch_execz .LBB200_6
; %bb.1:
	s_clause 0x1
	s_load_b32 s26, s[0:1], 0x18
	s_load_b128 s[0:3], s[0:1], 0x8
	s_sub_i32 s19, 1, s20
	s_mul_i32 s25, s4, s24
	s_mul_hi_u32 s29, s4, s15
	s_mul_i32 s5, s5, s15
	s_mul_i32 s4, s4, s15
	v_add3_u32 v8, v7, 0, 0x200
	v_mov_b32_e32 v4, v0
	s_delay_alu instid0(VALU_DEP_2)
	v_mov_b32_e32 v3, v8
	s_waitcnt lgkmcnt(0)
	s_ashr_i32 s27, s26, 31
	v_mad_i64_i32 v[1:2], null, s26, v0, 0
	v_cmp_lt_i64_e64 s28, s[26:27], 1
	s_mul_i32 s19, s19, s26
	s_delay_alu instid0(VALU_DEP_1)
	s_and_b32 s28, s28, exec_lo
	s_cselect_b32 s28, s19, 0
	s_add_i32 s19, s29, s25
	s_ashr_i32 s29, s28, 31
	s_add_i32 s5, s19, s5
	s_lshl_b64 s[28:29], s[28:29], 4
	s_lshl_b64 s[2:3], s[2:3], 4
	;; [unrolled: 1-line block ×3, first 2 shown]
	v_lshlrev_b64 v[1:2], 4, v[1:2]
	s_add_u32 s0, s0, s28
	s_addc_u32 s1, s1, s29
	s_add_u32 s0, s0, s2
	s_addc_u32 s1, s1, s3
	;; [unrolled: 2-line block ×3, first 2 shown]
	v_add_co_u32 v1, s0, s0, v1
	s_delay_alu instid0(VALU_DEP_1)
	v_add_co_ci_u32_e64 v2, s0, s1, v2, s0
	s_mov_b32 s4, 0
	s_lshl_b64 s[2:3], s[26:27], 14
	.p2align	6
.LBB200_2:                              ; =>This Inner Loop Header: Depth=1
	global_load_b128 v[9:12], v[1:2], off
	v_add_nc_u32_e32 v4, 0x400, v4
	v_add_co_u32 v1, s0, v1, s2
	s_delay_alu instid0(VALU_DEP_1) | instskip(NEXT) | instid1(VALU_DEP_3)
	v_add_co_ci_u32_e64 v2, s0, s3, v2, s0
	v_cmp_le_i32_e64 s1, s20, v4
	s_delay_alu instid0(VALU_DEP_1)
	s_or_b32 s4, s1, s4
	s_waitcnt vmcnt(0)
	ds_store_2addr_b64 v3, v[9:10], v[11:12] offset1:1
	v_add_nc_u32_e32 v3, 0x4000, v3
	s_and_not1_b32 exec_lo, exec_lo, s4
	s_cbranch_execnz .LBB200_2
; %bb.3:
	s_or_b32 exec_lo, exec_lo, s4
	s_add_i32 s0, s22, s21
	v_lshlrev_b32_e32 v1, 4, v0
	s_add_i32 s19, s0, s23
	s_lshl_b64 s[0:1], s[16:17], 4
	s_lshl_b64 s[2:3], s[18:19], 4
	v_mov_b32_e32 v9, v0
	s_add_u32 s2, s2, s0
	s_addc_u32 s3, s3, s1
	s_lshl_b64 s[0:1], s[12:13], 4
	s_delay_alu instid0(SALU_CYCLE_1)
	s_add_u32 s0, s2, s0
	s_addc_u32 s1, s3, s1
	s_add_u32 s0, s10, s0
	s_addc_u32 s1, s11, s1
	v_add_co_u32 v3, s0, s0, v1
	v_mov_b32_e32 v1, 0
	v_add_co_ci_u32_e64 v4, null, s1, 0, s0
	v_mov_b32_e32 v2, 0
	s_delay_alu instid0(VALU_DEP_4) | instskip(NEXT) | instid1(VALU_DEP_1)
	v_add_co_u32 v5, s0, v3, 8
	v_add_co_ci_u32_e64 v6, s0, 0, v4, s0
	s_delay_alu instid0(VALU_DEP_3)
	v_dual_mov_b32 v4, v2 :: v_dual_mov_b32 v3, v1
	s_mov_b32 s2, 0
	.p2align	6
.LBB200_4:                              ; =>This Inner Loop Header: Depth=1
	global_load_b128 v[10:13], v[5:6], off offset:-8
	ds_load_2addr_b64 v[14:17], v8 offset1:1
	v_add_nc_u32_e32 v9, 0x400, v9
	v_add_co_u32 v5, s1, 0x4000, v5
	v_add_nc_u32_e32 v8, 0x4000, v8
	v_add_co_ci_u32_e64 v6, s1, 0, v6, s1
	s_delay_alu instid0(VALU_DEP_4) | instskip(NEXT) | instid1(VALU_DEP_1)
	v_cmp_le_i32_e64 s0, s20, v9
	s_or_b32 s2, s0, s2
	s_waitcnt vmcnt(0) lgkmcnt(0)
	v_mul_f64 v[18:19], v[12:13], v[16:17]
	v_mul_f64 v[12:13], v[12:13], v[14:15]
	s_delay_alu instid0(VALU_DEP_2) | instskip(NEXT) | instid1(VALU_DEP_2)
	v_fma_f64 v[14:15], v[10:11], v[14:15], v[18:19]
	v_fma_f64 v[10:11], v[10:11], v[16:17], -v[12:13]
	s_delay_alu instid0(VALU_DEP_2) | instskip(NEXT) | instid1(VALU_DEP_2)
	v_add_f64 v[3:4], v[3:4], v[14:15]
	v_add_f64 v[1:2], v[1:2], v[10:11]
	s_and_not1_b32 exec_lo, exec_lo, s2
	s_cbranch_execnz .LBB200_4
; %bb.5:
	s_or_b32 exec_lo, exec_lo, s2
.LBB200_6:
	s_delay_alu instid0(SALU_CYCLE_1) | instskip(SKIP_2) | instid1(VALU_DEP_1)
	s_or_b32 exec_lo, exec_lo, s14
	v_mbcnt_lo_u32_b32 v10, -1, 0
	s_mov_b32 s1, exec_lo
	v_cmp_ne_u32_e64 s0, 31, v10
	s_delay_alu instid0(VALU_DEP_1) | instskip(SKIP_1) | instid1(VALU_DEP_2)
	v_add_co_ci_u32_e64 v5, s0, 0, v10, s0
	v_cmp_gt_u32_e64 s0, 30, v10
	v_lshlrev_b32_e32 v9, 2, v5
	ds_bpermute_b32 v5, v9, v3
	ds_bpermute_b32 v6, v9, v4
	ds_bpermute_b32 v8, v9, v1
	ds_bpermute_b32 v9, v9, v2
	s_waitcnt lgkmcnt(2)
	v_add_f64 v[3:4], v[3:4], v[5:6]
	v_cndmask_b32_e64 v5, 0, 1, s0
	s_waitcnt lgkmcnt(0)
	v_add_f64 v[1:2], v[1:2], v[8:9]
	v_cmp_gt_u32_e64 s0, 28, v10
	s_delay_alu instid0(VALU_DEP_3) | instskip(NEXT) | instid1(VALU_DEP_1)
	v_lshlrev_b32_e32 v5, 1, v5
	v_add_lshl_u32 v9, v5, v10, 2
	ds_bpermute_b32 v5, v9, v3
	ds_bpermute_b32 v6, v9, v4
	ds_bpermute_b32 v8, v9, v1
	ds_bpermute_b32 v9, v9, v2
	s_waitcnt lgkmcnt(2)
	v_add_f64 v[3:4], v[3:4], v[5:6]
	v_cndmask_b32_e64 v5, 0, 1, s0
	s_waitcnt lgkmcnt(0)
	v_add_f64 v[1:2], v[1:2], v[8:9]
	v_cmp_gt_u32_e64 s0, 24, v10
	s_delay_alu instid0(VALU_DEP_3) | instskip(NEXT) | instid1(VALU_DEP_1)
	v_lshlrev_b32_e32 v5, 2, v5
	v_add_lshl_u32 v9, v5, v10, 2
	ds_bpermute_b32 v5, v9, v3
	ds_bpermute_b32 v6, v9, v4
	ds_bpermute_b32 v8, v9, v1
	ds_bpermute_b32 v9, v9, v2
	s_waitcnt lgkmcnt(2)
	v_add_f64 v[3:4], v[3:4], v[5:6]
	v_cndmask_b32_e64 v5, 0, 1, s0
	s_waitcnt lgkmcnt(0)
	v_add_f64 v[1:2], v[1:2], v[8:9]
	v_cmp_gt_u32_e64 s0, 16, v10
	s_delay_alu instid0(VALU_DEP_3) | instskip(NEXT) | instid1(VALU_DEP_1)
	v_lshlrev_b32_e32 v5, 3, v5
	v_add_lshl_u32 v9, v5, v10, 2
	ds_bpermute_b32 v5, v9, v3
	ds_bpermute_b32 v6, v9, v4
	;; [unrolled: 1-line block ×4, first 2 shown]
	s_waitcnt lgkmcnt(2)
	v_add_f64 v[3:4], v[3:4], v[5:6]
	s_waitcnt lgkmcnt(0)
	v_add_f64 v[5:6], v[1:2], v[8:9]
	v_cndmask_b32_e64 v1, 0, 1, s0
	s_delay_alu instid0(VALU_DEP_1) | instskip(NEXT) | instid1(VALU_DEP_1)
	v_lshlrev_b32_e32 v1, 4, v1
	v_add_lshl_u32 v9, v1, v10, 2
	ds_bpermute_b32 v1, v9, v3
	ds_bpermute_b32 v2, v9, v4
	;; [unrolled: 1-line block ×4, first 2 shown]
	s_waitcnt lgkmcnt(2)
	v_add_f64 v[1:2], v[3:4], v[1:2]
	s_waitcnt lgkmcnt(0)
	v_add_f64 v[3:4], v[5:6], v[8:9]
	v_and_b32_e32 v5, 31, v0
	s_delay_alu instid0(VALU_DEP_1)
	v_cmpx_eq_u32_e32 0, v5
	s_cbranch_execz .LBB200_8
; %bb.7:
	v_lshrrev_b32_e32 v5, 1, v0
	s_delay_alu instid0(VALU_DEP_1)
	v_add_nc_u32_e32 v5, 0, v5
	ds_store_2addr_b64 v5, v[1:2], v[3:4] offset1:1
.LBB200_8:
	s_or_b32 exec_lo, exec_lo, s1
	s_delay_alu instid0(SALU_CYCLE_1)
	s_mov_b32 s1, exec_lo
	s_waitcnt lgkmcnt(0)
	s_barrier
	buffer_gl0_inv
	v_cmpx_eq_u32_e32 0, v0
	s_cbranch_execz .LBB200_10
; %bb.9:
	v_mov_b32_e32 v16, 0
	ds_load_2addr_b64 v[8:11], v16 offset0:2 offset1:3
	ds_load_2addr_b64 v[12:15], v16 offset0:4 offset1:5
	s_waitcnt lgkmcnt(1)
	v_add_f64 v[1:2], v[1:2], v[8:9]
	v_add_f64 v[3:4], v[3:4], v[10:11]
	s_waitcnt lgkmcnt(0)
	s_delay_alu instid0(VALU_DEP_2) | instskip(NEXT) | instid1(VALU_DEP_2)
	v_add_f64 v[5:6], v[1:2], v[12:13]
	v_add_f64 v[12:13], v[3:4], v[14:15]
	ds_load_2addr_b64 v[1:4], v16 offset0:6 offset1:7
	ds_load_2addr_b64 v[8:11], v16 offset0:8 offset1:9
	s_waitcnt lgkmcnt(1)
	v_add_f64 v[1:2], v[5:6], v[1:2]
	v_add_f64 v[3:4], v[12:13], v[3:4]
	s_waitcnt lgkmcnt(0)
	s_delay_alu instid0(VALU_DEP_2) | instskip(NEXT) | instid1(VALU_DEP_2)
	v_add_f64 v[5:6], v[1:2], v[8:9]
	v_add_f64 v[12:13], v[3:4], v[10:11]
	;; [unrolled: 9-line block ×15, first 2 shown]
	ds_load_2addr_b64 v[1:4], v16 offset0:62 offset1:63
	s_waitcnt lgkmcnt(0)
	v_add_f64 v[1:2], v[5:6], v[1:2]
	v_add_f64 v[3:4], v[8:9], v[3:4]
	ds_store_2addr_b64 v16, v[1:2], v[3:4] offset1:1
.LBB200_10:
	s_or_b32 exec_lo, exec_lo, s1
	s_waitcnt lgkmcnt(0)
	s_barrier
	buffer_gl0_inv
	s_and_saveexec_b32 s0, vcc_lo
	s_cbranch_execz .LBB200_13
; %bb.11:
	s_mul_i32 s0, s15, s9
	s_mul_hi_u32 s1, s15, s8
	s_mul_i32 s2, s24, s8
	s_add_i32 s0, s1, s0
	v_mov_b32_e32 v1, 0
	s_add_i32 s1, s0, s2
	s_mul_i32 s0, s15, s8
	s_delay_alu instid0(SALU_CYCLE_1)
	s_lshl_b64 s[0:1], s[0:1], 4
	ds_load_2addr_b64 v[1:4], v1 offset1:1
	s_add_u32 s0, s6, s0
	s_addc_u32 s1, s7, s1
	s_load_b128 s[0:3], s[0:1], 0x0
	s_waitcnt lgkmcnt(0)
	v_mul_f64 v[5:6], s[2:3], v[3:4]
	v_mul_f64 v[8:9], s[2:3], v[1:2]
	s_lshl_b64 s[2:3], s[16:17], 4
	s_delay_alu instid0(VALU_DEP_2) | instskip(NEXT) | instid1(VALU_DEP_2)
	v_fma_f64 v[1:2], v[1:2], -s[0:1], -v[5:6]
	v_fma_f64 v[3:4], s[0:1], v[3:4], -v[8:9]
	s_add_i32 s0, s22, s21
	s_delay_alu instid0(SALU_CYCLE_1) | instskip(NEXT) | instid1(SALU_CYCLE_1)
	s_add_i32 s19, s0, s23
	s_lshl_b64 s[0:1], s[18:19], 4
	s_delay_alu instid0(SALU_CYCLE_1) | instskip(SKIP_2) | instid1(SALU_CYCLE_1)
	s_add_u32 s2, s0, s2
	s_addc_u32 s3, s1, s3
	s_lshl_b64 s[0:1], s[12:13], 4
	s_add_u32 s0, s2, s0
	s_addc_u32 s1, s3, s1
	s_add_u32 s0, s10, s0
	s_addc_u32 s1, s11, s1
	v_add_co_u32 v5, s0, s0, v7
	s_delay_alu instid0(VALU_DEP_1) | instskip(SKIP_1) | instid1(VALU_DEP_3)
	v_add_co_ci_u32_e64 v6, null, s1, 0, s0
	v_add3_u32 v7, v7, 0, 0x200
	v_add_co_u32 v5, vcc_lo, v5, 8
	s_delay_alu instid0(VALU_DEP_3)
	v_add_co_ci_u32_e32 v6, vcc_lo, 0, v6, vcc_lo
	s_mov_b32 s1, 0
	.p2align	6
.LBB200_12:                             ; =>This Inner Loop Header: Depth=1
	global_load_b128 v[8:11], v[5:6], off offset:-8
	ds_load_2addr_b64 v[12:15], v7 offset1:1
	v_add_nc_u32_e32 v0, 0x400, v0
	v_add_nc_u32_e32 v7, 0x4000, v7
	s_delay_alu instid0(VALU_DEP_2) | instskip(SKIP_4) | instid1(VALU_DEP_2)
	v_cmp_le_i32_e32 vcc_lo, s20, v0
	s_or_b32 s1, vcc_lo, s1
	s_waitcnt lgkmcnt(0)
	v_mul_f64 v[16:17], v[3:4], v[14:15]
	v_mul_f64 v[14:15], v[1:2], v[14:15]
	v_fma_f64 v[16:17], v[1:2], v[12:13], -v[16:17]
	s_delay_alu instid0(VALU_DEP_2) | instskip(SKIP_1) | instid1(VALU_DEP_2)
	v_fma_f64 v[12:13], v[3:4], v[12:13], v[14:15]
	s_waitcnt vmcnt(0)
	v_add_f64 v[8:9], v[8:9], v[16:17]
	s_delay_alu instid0(VALU_DEP_2) | instskip(SKIP_2) | instid1(VALU_DEP_1)
	v_add_f64 v[10:11], v[10:11], v[12:13]
	global_store_b128 v[5:6], v[8:11], off offset:-8
	v_add_co_u32 v5, s0, 0x4000, v5
	v_add_co_ci_u32_e64 v6, s0, 0, v6, s0
	s_and_not1_b32 exec_lo, exec_lo, s1
	s_cbranch_execnz .LBB200_12
.LBB200_13:
	s_nop 0
	s_sendmsg sendmsg(MSG_DEALLOC_VGPRS)
	s_endpgm
	.section	.rodata,"a",@progbits
	.p2align	6, 0x0
	.amdhsa_kernel _ZN9rocsolver6v33100L16larf_left_kernelILi1024E19rocblas_complex_numIdEiPS3_EEvT1_S5_T2_lS5_lPKT0_lS6_lS5_l
		.amdhsa_group_segment_fixed_size 0
		.amdhsa_private_segment_fixed_size 0
		.amdhsa_kernarg_size 88
		.amdhsa_user_sgpr_count 13
		.amdhsa_user_sgpr_dispatch_ptr 0
		.amdhsa_user_sgpr_queue_ptr 0
		.amdhsa_user_sgpr_kernarg_segment_ptr 1
		.amdhsa_user_sgpr_dispatch_id 0
		.amdhsa_user_sgpr_private_segment_size 0
		.amdhsa_wavefront_size32 1
		.amdhsa_uses_dynamic_stack 0
		.amdhsa_enable_private_segment 0
		.amdhsa_system_sgpr_workgroup_id_x 1
		.amdhsa_system_sgpr_workgroup_id_y 1
		.amdhsa_system_sgpr_workgroup_id_z 1
		.amdhsa_system_sgpr_workgroup_info 0
		.amdhsa_system_vgpr_workitem_id 0
		.amdhsa_next_free_vgpr 20
		.amdhsa_next_free_sgpr 30
		.amdhsa_reserve_vcc 1
		.amdhsa_float_round_mode_32 0
		.amdhsa_float_round_mode_16_64 0
		.amdhsa_float_denorm_mode_32 3
		.amdhsa_float_denorm_mode_16_64 3
		.amdhsa_dx10_clamp 1
		.amdhsa_ieee_mode 1
		.amdhsa_fp16_overflow 0
		.amdhsa_workgroup_processor_mode 1
		.amdhsa_memory_ordered 1
		.amdhsa_forward_progress 0
		.amdhsa_shared_vgpr_count 0
		.amdhsa_exception_fp_ieee_invalid_op 0
		.amdhsa_exception_fp_denorm_src 0
		.amdhsa_exception_fp_ieee_div_zero 0
		.amdhsa_exception_fp_ieee_overflow 0
		.amdhsa_exception_fp_ieee_underflow 0
		.amdhsa_exception_fp_ieee_inexact 0
		.amdhsa_exception_int_div_zero 0
	.end_amdhsa_kernel
	.section	.text._ZN9rocsolver6v33100L16larf_left_kernelILi1024E19rocblas_complex_numIdEiPS3_EEvT1_S5_T2_lS5_lPKT0_lS6_lS5_l,"axG",@progbits,_ZN9rocsolver6v33100L16larf_left_kernelILi1024E19rocblas_complex_numIdEiPS3_EEvT1_S5_T2_lS5_lPKT0_lS6_lS5_l,comdat
.Lfunc_end200:
	.size	_ZN9rocsolver6v33100L16larf_left_kernelILi1024E19rocblas_complex_numIdEiPS3_EEvT1_S5_T2_lS5_lPKT0_lS6_lS5_l, .Lfunc_end200-_ZN9rocsolver6v33100L16larf_left_kernelILi1024E19rocblas_complex_numIdEiPS3_EEvT1_S5_T2_lS5_lPKT0_lS6_lS5_l
                                        ; -- End function
	.section	.AMDGPU.csdata,"",@progbits
; Kernel info:
; codeLenInByte = 2492
; NumSgprs: 32
; NumVgprs: 20
; ScratchSize: 0
; MemoryBound: 0
; FloatMode: 240
; IeeeMode: 1
; LDSByteSize: 0 bytes/workgroup (compile time only)
; SGPRBlocks: 3
; VGPRBlocks: 2
; NumSGPRsForWavesPerEU: 32
; NumVGPRsForWavesPerEU: 20
; Occupancy: 16
; WaveLimiterHint : 0
; COMPUTE_PGM_RSRC2:SCRATCH_EN: 0
; COMPUTE_PGM_RSRC2:USER_SGPR: 13
; COMPUTE_PGM_RSRC2:TRAP_HANDLER: 0
; COMPUTE_PGM_RSRC2:TGID_X_EN: 1
; COMPUTE_PGM_RSRC2:TGID_Y_EN: 1
; COMPUTE_PGM_RSRC2:TGID_Z_EN: 1
; COMPUTE_PGM_RSRC2:TIDIG_COMP_CNT: 0
	.section	.text._ZN9rocsolver6v33100L17larf_right_kernelILi1024E19rocblas_complex_numIdEiPS3_EEvT1_S5_T2_lS5_lPKT0_lS6_lS5_l,"axG",@progbits,_ZN9rocsolver6v33100L17larf_right_kernelILi1024E19rocblas_complex_numIdEiPS3_EEvT1_S5_T2_lS5_lPKT0_lS6_lS5_l,comdat
	.globl	_ZN9rocsolver6v33100L17larf_right_kernelILi1024E19rocblas_complex_numIdEiPS3_EEvT1_S5_T2_lS5_lPKT0_lS6_lS5_l ; -- Begin function _ZN9rocsolver6v33100L17larf_right_kernelILi1024E19rocblas_complex_numIdEiPS3_EEvT1_S5_T2_lS5_lPKT0_lS6_lS5_l
	.p2align	8
	.type	_ZN9rocsolver6v33100L17larf_right_kernelILi1024E19rocblas_complex_numIdEiPS3_EEvT1_S5_T2_lS5_lPKT0_lS6_lS5_l,@function
_ZN9rocsolver6v33100L17larf_right_kernelILi1024E19rocblas_complex_numIdEiPS3_EEvT1_S5_T2_lS5_lPKT0_lS6_lS5_l: ; @_ZN9rocsolver6v33100L17larf_right_kernelILi1024E19rocblas_complex_numIdEiPS3_EEvT1_S5_T2_lS5_lPKT0_lS6_lS5_l
; %bb.0:
	s_clause 0x4
	s_load_b32 s24, s[0:1], 0x4
	s_load_b64 s[16:17], s[0:1], 0x50
	s_load_b64 s[20:21], s[0:1], 0x40
	s_load_b32 s12, s[0:1], 0x48
	s_load_b256 s[4:11], s[0:1], 0x20
	v_mov_b32_e32 v1, 0
	v_dual_mov_b32 v2, 0 :: v_dual_lshlrev_b32 v7, 4, v0
	s_mov_b32 s2, s15
	s_ashr_i32 s27, s15, 31
	s_ashr_i32 s15, s14, 31
	s_delay_alu instid0(VALU_DEP_1)
	v_dual_mov_b32 v4, v2 :: v_dual_mov_b32 v3, v1
	s_waitcnt lgkmcnt(0)
	v_cmp_gt_i32_e32 vcc_lo, s24, v0
	s_mul_i32 s3, s16, s27
	s_mul_hi_u32 s25, s16, s2
	s_mul_i32 s26, s17, s2
	s_mul_i32 s22, s16, s2
	s_and_saveexec_b32 s28, vcc_lo
	s_cbranch_execz .LBB201_6
; %bb.1:
	s_clause 0x1
	s_load_b32 s30, s[0:1], 0x18
	s_load_b128 s[16:19], s[0:1], 0x8
	s_sub_i32 s1, 1, s24
	s_mul_i32 s13, s4, s27
	s_mul_hi_u32 s29, s4, s2
	s_mul_i32 s0, s4, s2
	s_mul_i32 s33, s5, s2
	v_add3_u32 v8, v7, 0, 0x200
	v_mov_b32_e32 v4, v0
	s_delay_alu instid0(VALU_DEP_2)
	v_mov_b32_e32 v3, v8
	s_waitcnt lgkmcnt(0)
	s_ashr_i32 s31, s30, 31
	v_mad_i64_i32 v[1:2], null, s30, v0, 0
	v_cmp_lt_i64_e64 s23, s[30:31], 1
	s_mul_i32 s1, s1, s30
	s_delay_alu instid0(VALU_DEP_1)
	s_and_b32 s4, s23, exec_lo
	s_cselect_b32 s4, s1, 0
	s_add_i32 s1, s29, s13
	s_ashr_i32 s5, s4, 31
	s_add_i32 s1, s1, s33
	s_lshl_b64 s[4:5], s[4:5], 4
	s_lshl_b64 s[18:19], s[18:19], 4
	;; [unrolled: 1-line block ×3, first 2 shown]
	v_lshlrev_b64 v[1:2], 4, v[1:2]
	s_add_u32 s4, s16, s4
	s_addc_u32 s5, s17, s5
	s_add_u32 s4, s4, s18
	s_addc_u32 s5, s5, s19
	;; [unrolled: 2-line block ×3, first 2 shown]
	v_add_co_u32 v1, s0, s0, v1
	s_delay_alu instid0(VALU_DEP_1)
	v_add_co_ci_u32_e64 v2, s0, s1, v2, s0
	s_mov_b32 s13, 0
	s_lshl_b64 s[4:5], s[30:31], 14
	.p2align	6
.LBB201_2:                              ; =>This Inner Loop Header: Depth=1
	global_load_b128 v[9:12], v[1:2], off
	v_add_nc_u32_e32 v4, 0x400, v4
	v_add_co_u32 v1, s0, v1, s4
	s_delay_alu instid0(VALU_DEP_1) | instskip(NEXT) | instid1(VALU_DEP_3)
	v_add_co_ci_u32_e64 v2, s0, s5, v2, s0
	v_cmp_le_i32_e64 s1, s24, v4
	s_delay_alu instid0(VALU_DEP_1)
	s_or_b32 s13, s1, s13
	s_waitcnt vmcnt(0)
	ds_store_2addr_b64 v3, v[9:10], v[11:12] offset1:1
	v_add_nc_u32_e32 v3, 0x4000, v3
	s_and_not1_b32 exec_lo, exec_lo, s13
	s_cbranch_execnz .LBB201_2
; %bb.3:
	s_or_b32 exec_lo, exec_lo, s13
	v_mad_i64_i32 v[1:2], null, s12, v0, 0
	s_add_i32 s4, s25, s3
	s_ashr_i32 s13, s12, 31
	s_add_i32 s23, s4, s26
	s_lshl_b64 s[4:5], s[14:15], 4
	s_lshl_b64 s[0:1], s[20:21], 4
	s_lshl_b64 s[16:17], s[22:23], 4
	s_delay_alu instid0(VALU_DEP_1)
	v_lshlrev_b64 v[1:2], 4, v[1:2]
	s_add_u32 s4, s10, s4
	s_addc_u32 s5, s11, s5
	s_add_u32 s0, s4, s0
	s_addc_u32 s1, s5, s1
	;; [unrolled: 2-line block ×3, first 2 shown]
	v_add_co_u32 v3, s0, s0, v1
	s_delay_alu instid0(VALU_DEP_1) | instskip(SKIP_2) | instid1(VALU_DEP_4)
	v_add_co_ci_u32_e64 v4, s0, s1, v2, s0
	v_mov_b32_e32 v1, 0
	v_dual_mov_b32 v2, 0 :: v_dual_mov_b32 v9, v0
	v_add_co_u32 v5, s0, v3, 8
	s_delay_alu instid0(VALU_DEP_1) | instskip(NEXT) | instid1(VALU_DEP_3)
	v_add_co_ci_u32_e64 v6, s0, 0, v4, s0
	v_dual_mov_b32 v4, v2 :: v_dual_mov_b32 v3, v1
	s_lshl_b64 s[4:5], s[12:13], 14
	s_mov_b32 s13, 0
	.p2align	6
.LBB201_4:                              ; =>This Inner Loop Header: Depth=1
	global_load_b128 v[10:13], v[5:6], off offset:-8
	ds_load_2addr_b64 v[14:17], v8 offset1:1
	v_add_nc_u32_e32 v9, 0x400, v9
	v_add_co_u32 v5, s1, v5, s4
	v_add_nc_u32_e32 v8, 0x4000, v8
	v_add_co_ci_u32_e64 v6, s1, s5, v6, s1
	s_delay_alu instid0(VALU_DEP_4) | instskip(NEXT) | instid1(VALU_DEP_1)
	v_cmp_le_i32_e64 s0, s24, v9
	s_or_b32 s13, s0, s13
	s_waitcnt vmcnt(0) lgkmcnt(0)
	v_mul_f64 v[18:19], v[16:17], v[12:13]
	v_mul_f64 v[12:13], v[14:15], v[12:13]
	s_delay_alu instid0(VALU_DEP_2) | instskip(NEXT) | instid1(VALU_DEP_2)
	v_fma_f64 v[14:15], v[14:15], v[10:11], -v[18:19]
	v_fma_f64 v[10:11], v[16:17], v[10:11], v[12:13]
	s_delay_alu instid0(VALU_DEP_2) | instskip(NEXT) | instid1(VALU_DEP_2)
	v_add_f64 v[3:4], v[3:4], v[14:15]
	v_add_f64 v[1:2], v[1:2], v[10:11]
	s_and_not1_b32 exec_lo, exec_lo, s13
	s_cbranch_execnz .LBB201_4
; %bb.5:
	s_or_b32 exec_lo, exec_lo, s13
.LBB201_6:
	s_delay_alu instid0(SALU_CYCLE_1) | instskip(SKIP_2) | instid1(VALU_DEP_1)
	s_or_b32 exec_lo, exec_lo, s28
	v_mbcnt_lo_u32_b32 v10, -1, 0
	s_mov_b32 s1, exec_lo
	v_cmp_ne_u32_e64 s0, 31, v10
	s_delay_alu instid0(VALU_DEP_1) | instskip(SKIP_1) | instid1(VALU_DEP_2)
	v_add_co_ci_u32_e64 v5, s0, 0, v10, s0
	v_cmp_gt_u32_e64 s0, 30, v10
	v_lshlrev_b32_e32 v9, 2, v5
	ds_bpermute_b32 v5, v9, v3
	ds_bpermute_b32 v6, v9, v4
	ds_bpermute_b32 v8, v9, v1
	ds_bpermute_b32 v9, v9, v2
	s_waitcnt lgkmcnt(2)
	v_add_f64 v[3:4], v[3:4], v[5:6]
	v_cndmask_b32_e64 v5, 0, 1, s0
	s_waitcnt lgkmcnt(0)
	v_add_f64 v[1:2], v[1:2], v[8:9]
	v_cmp_gt_u32_e64 s0, 28, v10
	s_delay_alu instid0(VALU_DEP_3) | instskip(NEXT) | instid1(VALU_DEP_1)
	v_lshlrev_b32_e32 v5, 1, v5
	v_add_lshl_u32 v9, v5, v10, 2
	ds_bpermute_b32 v5, v9, v3
	ds_bpermute_b32 v6, v9, v4
	ds_bpermute_b32 v8, v9, v1
	ds_bpermute_b32 v9, v9, v2
	s_waitcnt lgkmcnt(2)
	v_add_f64 v[3:4], v[3:4], v[5:6]
	v_cndmask_b32_e64 v5, 0, 1, s0
	s_waitcnt lgkmcnt(0)
	v_add_f64 v[1:2], v[1:2], v[8:9]
	v_cmp_gt_u32_e64 s0, 24, v10
	s_delay_alu instid0(VALU_DEP_3) | instskip(NEXT) | instid1(VALU_DEP_1)
	v_lshlrev_b32_e32 v5, 2, v5
	v_add_lshl_u32 v9, v5, v10, 2
	;; [unrolled: 13-line block ×3, first 2 shown]
	ds_bpermute_b32 v5, v9, v3
	ds_bpermute_b32 v6, v9, v4
	;; [unrolled: 1-line block ×4, first 2 shown]
	s_waitcnt lgkmcnt(2)
	v_add_f64 v[3:4], v[3:4], v[5:6]
	s_waitcnt lgkmcnt(0)
	v_add_f64 v[5:6], v[1:2], v[8:9]
	v_cndmask_b32_e64 v1, 0, 1, s0
	s_delay_alu instid0(VALU_DEP_1) | instskip(NEXT) | instid1(VALU_DEP_1)
	v_lshlrev_b32_e32 v1, 4, v1
	v_add_lshl_u32 v9, v1, v10, 2
	ds_bpermute_b32 v1, v9, v3
	ds_bpermute_b32 v2, v9, v4
	;; [unrolled: 1-line block ×4, first 2 shown]
	s_waitcnt lgkmcnt(2)
	v_add_f64 v[1:2], v[3:4], v[1:2]
	s_waitcnt lgkmcnt(0)
	v_add_f64 v[3:4], v[5:6], v[8:9]
	v_and_b32_e32 v5, 31, v0
	s_delay_alu instid0(VALU_DEP_1)
	v_cmpx_eq_u32_e32 0, v5
	s_cbranch_execz .LBB201_8
; %bb.7:
	v_lshrrev_b32_e32 v5, 1, v0
	s_delay_alu instid0(VALU_DEP_1)
	v_add_nc_u32_e32 v5, 0, v5
	ds_store_2addr_b64 v5, v[1:2], v[3:4] offset1:1
.LBB201_8:
	s_or_b32 exec_lo, exec_lo, s1
	s_delay_alu instid0(SALU_CYCLE_1)
	s_mov_b32 s1, exec_lo
	s_waitcnt lgkmcnt(0)
	s_barrier
	buffer_gl0_inv
	v_cmpx_eq_u32_e32 0, v0
	s_cbranch_execz .LBB201_10
; %bb.9:
	v_mov_b32_e32 v16, 0
	ds_load_2addr_b64 v[8:11], v16 offset0:2 offset1:3
	ds_load_2addr_b64 v[12:15], v16 offset0:4 offset1:5
	s_waitcnt lgkmcnt(1)
	v_add_f64 v[1:2], v[1:2], v[8:9]
	v_add_f64 v[3:4], v[3:4], v[10:11]
	s_waitcnt lgkmcnt(0)
	s_delay_alu instid0(VALU_DEP_2) | instskip(NEXT) | instid1(VALU_DEP_2)
	v_add_f64 v[5:6], v[1:2], v[12:13]
	v_add_f64 v[12:13], v[3:4], v[14:15]
	ds_load_2addr_b64 v[1:4], v16 offset0:6 offset1:7
	ds_load_2addr_b64 v[8:11], v16 offset0:8 offset1:9
	s_waitcnt lgkmcnt(1)
	v_add_f64 v[1:2], v[5:6], v[1:2]
	v_add_f64 v[3:4], v[12:13], v[3:4]
	s_waitcnt lgkmcnt(0)
	s_delay_alu instid0(VALU_DEP_2) | instskip(NEXT) | instid1(VALU_DEP_2)
	v_add_f64 v[5:6], v[1:2], v[8:9]
	v_add_f64 v[12:13], v[3:4], v[10:11]
	;; [unrolled: 9-line block ×15, first 2 shown]
	ds_load_2addr_b64 v[1:4], v16 offset0:62 offset1:63
	s_waitcnt lgkmcnt(0)
	v_add_f64 v[1:2], v[5:6], v[1:2]
	v_add_f64 v[3:4], v[8:9], v[3:4]
	ds_store_2addr_b64 v16, v[1:2], v[3:4] offset1:1
.LBB201_10:
	s_or_b32 exec_lo, exec_lo, s1
	s_waitcnt lgkmcnt(0)
	s_barrier
	buffer_gl0_inv
	s_and_saveexec_b32 s0, vcc_lo
	s_cbranch_execz .LBB201_13
; %bb.11:
	s_mul_i32 s0, s2, s9
	s_mul_hi_u32 s1, s2, s8
	s_mul_i32 s4, s27, s8
	s_add_i32 s0, s1, s0
	v_mov_b32_e32 v1, 0
	s_add_i32 s1, s0, s4
	s_mul_i32 s0, s2, s8
	v_add3_u32 v7, v7, 0, 0x200
	s_lshl_b64 s[0:1], s[0:1], 4
	ds_load_2addr_b64 v[3:6], v1 offset1:1
	s_add_u32 s0, s6, s0
	s_addc_u32 s1, s7, s1
	s_ashr_i32 s13, s12, 31
	s_load_b128 s[4:7], s[0:1], 0x0
	s_add_i32 s0, s25, s3
	s_lshl_b64 s[2:3], s[14:15], 4
	s_add_i32 s23, s0, s26
	s_delay_alu instid0(SALU_CYCLE_1)
	s_lshl_b64 s[0:1], s[22:23], 4
	s_waitcnt lgkmcnt(0)
	v_mul_f64 v[1:2], s[4:5], v[3:4]
	v_mul_f64 v[8:9], s[4:5], v[5:6]
	s_lshl_b64 s[4:5], s[20:21], 4
	s_add_u32 s2, s10, s2
	s_addc_u32 s3, s11, s3
	s_add_u32 s2, s2, s4
	s_addc_u32 s3, s3, s5
	;; [unrolled: 2-line block ×3, first 2 shown]
	s_lshl_b64 s[2:3], s[12:13], 14
	s_delay_alu instid0(VALU_DEP_2) | instskip(NEXT) | instid1(VALU_DEP_2)
	v_fma_f64 v[1:2], s[6:7], v[5:6], -v[1:2]
	v_fma_f64 v[3:4], v[3:4], -s[6:7], -v[8:9]
	v_mad_i64_i32 v[5:6], null, s12, v0, 0
	s_delay_alu instid0(VALU_DEP_1) | instskip(NEXT) | instid1(VALU_DEP_1)
	v_lshlrev_b64 v[5:6], 4, v[5:6]
	v_add_co_u32 v5, vcc_lo, s0, v5
	s_delay_alu instid0(VALU_DEP_2) | instskip(SKIP_1) | instid1(VALU_DEP_2)
	v_add_co_ci_u32_e32 v6, vcc_lo, s1, v6, vcc_lo
	s_mov_b32 s1, 0
	v_add_co_u32 v5, vcc_lo, v5, 8
	s_delay_alu instid0(VALU_DEP_2)
	v_add_co_ci_u32_e32 v6, vcc_lo, 0, v6, vcc_lo
	.p2align	6
.LBB201_12:                             ; =>This Inner Loop Header: Depth=1
	global_load_b128 v[8:11], v[5:6], off offset:-8
	ds_load_2addr_b64 v[12:15], v7 offset1:1
	v_add_nc_u32_e32 v0, 0x400, v0
	v_add_nc_u32_e32 v7, 0x4000, v7
	s_delay_alu instid0(VALU_DEP_2) | instskip(SKIP_4) | instid1(VALU_DEP_2)
	v_cmp_le_i32_e32 vcc_lo, s24, v0
	s_or_b32 s1, vcc_lo, s1
	s_waitcnt lgkmcnt(0)
	v_mul_f64 v[16:17], v[3:4], v[14:15]
	v_mul_f64 v[14:15], v[1:2], v[14:15]
	v_fma_f64 v[16:17], v[1:2], v[12:13], v[16:17]
	s_delay_alu instid0(VALU_DEP_2) | instskip(SKIP_1) | instid1(VALU_DEP_2)
	v_fma_f64 v[12:13], v[3:4], v[12:13], -v[14:15]
	s_waitcnt vmcnt(0)
	v_add_f64 v[8:9], v[8:9], v[16:17]
	s_delay_alu instid0(VALU_DEP_2) | instskip(SKIP_2) | instid1(VALU_DEP_1)
	v_add_f64 v[10:11], v[10:11], v[12:13]
	global_store_b128 v[5:6], v[8:11], off offset:-8
	v_add_co_u32 v5, s0, v5, s2
	v_add_co_ci_u32_e64 v6, s0, s3, v6, s0
	s_and_not1_b32 exec_lo, exec_lo, s1
	s_cbranch_execnz .LBB201_12
.LBB201_13:
	s_nop 0
	s_sendmsg sendmsg(MSG_DEALLOC_VGPRS)
	s_endpgm
	.section	.rodata,"a",@progbits
	.p2align	6, 0x0
	.amdhsa_kernel _ZN9rocsolver6v33100L17larf_right_kernelILi1024E19rocblas_complex_numIdEiPS3_EEvT1_S5_T2_lS5_lPKT0_lS6_lS5_l
		.amdhsa_group_segment_fixed_size 0
		.amdhsa_private_segment_fixed_size 0
		.amdhsa_kernarg_size 88
		.amdhsa_user_sgpr_count 13
		.amdhsa_user_sgpr_dispatch_ptr 0
		.amdhsa_user_sgpr_queue_ptr 0
		.amdhsa_user_sgpr_kernarg_segment_ptr 1
		.amdhsa_user_sgpr_dispatch_id 0
		.amdhsa_user_sgpr_private_segment_size 0
		.amdhsa_wavefront_size32 1
		.amdhsa_uses_dynamic_stack 0
		.amdhsa_enable_private_segment 0
		.amdhsa_system_sgpr_workgroup_id_x 1
		.amdhsa_system_sgpr_workgroup_id_y 1
		.amdhsa_system_sgpr_workgroup_id_z 1
		.amdhsa_system_sgpr_workgroup_info 0
		.amdhsa_system_vgpr_workitem_id 0
		.amdhsa_next_free_vgpr 20
		.amdhsa_next_free_sgpr 34
		.amdhsa_reserve_vcc 1
		.amdhsa_float_round_mode_32 0
		.amdhsa_float_round_mode_16_64 0
		.amdhsa_float_denorm_mode_32 3
		.amdhsa_float_denorm_mode_16_64 3
		.amdhsa_dx10_clamp 1
		.amdhsa_ieee_mode 1
		.amdhsa_fp16_overflow 0
		.amdhsa_workgroup_processor_mode 1
		.amdhsa_memory_ordered 1
		.amdhsa_forward_progress 0
		.amdhsa_shared_vgpr_count 0
		.amdhsa_exception_fp_ieee_invalid_op 0
		.amdhsa_exception_fp_denorm_src 0
		.amdhsa_exception_fp_ieee_div_zero 0
		.amdhsa_exception_fp_ieee_overflow 0
		.amdhsa_exception_fp_ieee_underflow 0
		.amdhsa_exception_fp_ieee_inexact 0
		.amdhsa_exception_int_div_zero 0
	.end_amdhsa_kernel
	.section	.text._ZN9rocsolver6v33100L17larf_right_kernelILi1024E19rocblas_complex_numIdEiPS3_EEvT1_S5_T2_lS5_lPKT0_lS6_lS5_l,"axG",@progbits,_ZN9rocsolver6v33100L17larf_right_kernelILi1024E19rocblas_complex_numIdEiPS3_EEvT1_S5_T2_lS5_lPKT0_lS6_lS5_l,comdat
.Lfunc_end201:
	.size	_ZN9rocsolver6v33100L17larf_right_kernelILi1024E19rocblas_complex_numIdEiPS3_EEvT1_S5_T2_lS5_lPKT0_lS6_lS5_l, .Lfunc_end201-_ZN9rocsolver6v33100L17larf_right_kernelILi1024E19rocblas_complex_numIdEiPS3_EEvT1_S5_T2_lS5_lPKT0_lS6_lS5_l
                                        ; -- End function
	.section	.AMDGPU.csdata,"",@progbits
; Kernel info:
; codeLenInByte = 2520
; NumSgprs: 36
; NumVgprs: 20
; ScratchSize: 0
; MemoryBound: 0
; FloatMode: 240
; IeeeMode: 1
; LDSByteSize: 0 bytes/workgroup (compile time only)
; SGPRBlocks: 4
; VGPRBlocks: 2
; NumSGPRsForWavesPerEU: 36
; NumVGPRsForWavesPerEU: 20
; Occupancy: 16
; WaveLimiterHint : 0
; COMPUTE_PGM_RSRC2:SCRATCH_EN: 0
; COMPUTE_PGM_RSRC2:USER_SGPR: 13
; COMPUTE_PGM_RSRC2:TRAP_HANDLER: 0
; COMPUTE_PGM_RSRC2:TGID_X_EN: 1
; COMPUTE_PGM_RSRC2:TGID_Y_EN: 1
; COMPUTE_PGM_RSRC2:TGID_Z_EN: 1
; COMPUTE_PGM_RSRC2:TIDIG_COMP_CNT: 0
	.section	.text._ZN9rocsolver6v33100L12restore_diagI19rocblas_complex_numIdEiS3_PS3_EEvPT1_llT2_lT0_lS8_,"axG",@progbits,_ZN9rocsolver6v33100L12restore_diagI19rocblas_complex_numIdEiS3_PS3_EEvPT1_llT2_lT0_lS8_,comdat
	.globl	_ZN9rocsolver6v33100L12restore_diagI19rocblas_complex_numIdEiS3_PS3_EEvPT1_llT2_lT0_lS8_ ; -- Begin function _ZN9rocsolver6v33100L12restore_diagI19rocblas_complex_numIdEiS3_PS3_EEvPT1_llT2_lT0_lS8_
	.p2align	8
	.type	_ZN9rocsolver6v33100L12restore_diagI19rocblas_complex_numIdEiS3_PS3_EEvPT1_llT2_lT0_lS8_,@function
_ZN9rocsolver6v33100L12restore_diagI19rocblas_complex_numIdEiS3_PS3_EEvPT1_llT2_lT0_lS8_: ; @_ZN9rocsolver6v33100L12restore_diagI19rocblas_complex_numIdEiS3_PS3_EEvPT1_llT2_lT0_lS8_
; %bb.0:
	s_clause 0x1
	s_load_b32 s2, s[0:1], 0x4c
	s_load_b32 s3, s[0:1], 0x38
	v_bfe_u32 v2, v0, 10, 10
	s_waitcnt lgkmcnt(0)
	s_lshr_b32 s2, s2, 16
	s_delay_alu instid0(VALU_DEP_1) | instid1(SALU_CYCLE_1)
	v_mad_u64_u32 v[0:1], null, s15, s2, v[2:3]
	s_mov_b32 s2, exec_lo
	s_delay_alu instid0(VALU_DEP_1)
	v_cmpx_gt_i32_e64 s3, v0
	s_cbranch_execz .LBB202_2
; %bb.1:
	s_clause 0x3
	s_load_b64 s[2:3], s[0:1], 0x30
	s_load_b256 s[4:11], s[0:1], 0x0
	s_load_b32 s12, s[0:1], 0x28
	s_load_b64 s[0:1], s[0:1], 0x20
	s_ashr_i32 s13, s14, 31
	s_waitcnt lgkmcnt(0)
	s_mul_i32 s3, s14, s3
	s_mul_hi_u32 s15, s14, s2
	s_mul_i32 s16, s13, s2
	s_add_i32 s3, s15, s3
	s_mul_i32 s2, s14, s2
	s_add_i32 s3, s3, s16
	s_mul_i32 s9, s14, s9
	s_lshl_b64 s[2:3], s[2:3], 4
	s_mul_hi_u32 s15, s14, s8
	s_add_u32 s2, s10, s2
	s_addc_u32 s3, s11, s3
	s_lshl_b64 s[0:1], s[0:1], 4
	s_mul_i32 s13, s13, s8
	s_add_u32 s2, s2, s0
	v_mad_u64_u32 v[4:5], null, v0, s12, v[0:1]
	v_ashrrev_i32_e32 v1, 31, v0
	s_addc_u32 s3, s3, s1
	s_add_i32 s1, s15, s9
	s_mul_i32 s0, s14, s8
	s_add_i32 s1, s1, s13
	v_lshlrev_b64 v[0:1], 4, v[0:1]
	s_lshl_b64 s[0:1], s[0:1], 4
	v_ashrrev_i32_e32 v5, 31, v4
	s_add_u32 s4, s4, s0
	s_addc_u32 s5, s5, s1
	s_lshl_b64 s[0:1], s[6:7], 4
	s_delay_alu instid0(SALU_CYCLE_1)
	s_add_u32 s0, s4, s0
	s_addc_u32 s1, s5, s1
	v_add_co_u32 v0, vcc_lo, s0, v0
	v_add_co_ci_u32_e32 v1, vcc_lo, s1, v1, vcc_lo
	v_lshlrev_b64 v[4:5], 4, v[4:5]
	global_load_b128 v[0:3], v[0:1], off
	v_add_co_u32 v4, vcc_lo, s2, v4
	v_add_co_ci_u32_e32 v5, vcc_lo, s3, v5, vcc_lo
	s_waitcnt vmcnt(0)
	global_store_b128 v[4:5], v[0:3], off
.LBB202_2:
	s_nop 0
	s_sendmsg sendmsg(MSG_DEALLOC_VGPRS)
	s_endpgm
	.section	.rodata,"a",@progbits
	.p2align	6, 0x0
	.amdhsa_kernel _ZN9rocsolver6v33100L12restore_diagI19rocblas_complex_numIdEiS3_PS3_EEvPT1_llT2_lT0_lS8_
		.amdhsa_group_segment_fixed_size 0
		.amdhsa_private_segment_fixed_size 0
		.amdhsa_kernarg_size 320
		.amdhsa_user_sgpr_count 14
		.amdhsa_user_sgpr_dispatch_ptr 0
		.amdhsa_user_sgpr_queue_ptr 0
		.amdhsa_user_sgpr_kernarg_segment_ptr 1
		.amdhsa_user_sgpr_dispatch_id 0
		.amdhsa_user_sgpr_private_segment_size 0
		.amdhsa_wavefront_size32 1
		.amdhsa_uses_dynamic_stack 0
		.amdhsa_enable_private_segment 0
		.amdhsa_system_sgpr_workgroup_id_x 1
		.amdhsa_system_sgpr_workgroup_id_y 1
		.amdhsa_system_sgpr_workgroup_id_z 0
		.amdhsa_system_sgpr_workgroup_info 0
		.amdhsa_system_vgpr_workitem_id 1
		.amdhsa_next_free_vgpr 6
		.amdhsa_next_free_sgpr 17
		.amdhsa_reserve_vcc 1
		.amdhsa_float_round_mode_32 0
		.amdhsa_float_round_mode_16_64 0
		.amdhsa_float_denorm_mode_32 3
		.amdhsa_float_denorm_mode_16_64 3
		.amdhsa_dx10_clamp 1
		.amdhsa_ieee_mode 1
		.amdhsa_fp16_overflow 0
		.amdhsa_workgroup_processor_mode 1
		.amdhsa_memory_ordered 1
		.amdhsa_forward_progress 0
		.amdhsa_shared_vgpr_count 0
		.amdhsa_exception_fp_ieee_invalid_op 0
		.amdhsa_exception_fp_denorm_src 0
		.amdhsa_exception_fp_ieee_div_zero 0
		.amdhsa_exception_fp_ieee_overflow 0
		.amdhsa_exception_fp_ieee_underflow 0
		.amdhsa_exception_fp_ieee_inexact 0
		.amdhsa_exception_int_div_zero 0
	.end_amdhsa_kernel
	.section	.text._ZN9rocsolver6v33100L12restore_diagI19rocblas_complex_numIdEiS3_PS3_EEvPT1_llT2_lT0_lS8_,"axG",@progbits,_ZN9rocsolver6v33100L12restore_diagI19rocblas_complex_numIdEiS3_PS3_EEvPT1_llT2_lT0_lS8_,comdat
.Lfunc_end202:
	.size	_ZN9rocsolver6v33100L12restore_diagI19rocblas_complex_numIdEiS3_PS3_EEvPT1_llT2_lT0_lS8_, .Lfunc_end202-_ZN9rocsolver6v33100L12restore_diagI19rocblas_complex_numIdEiS3_PS3_EEvPT1_llT2_lT0_lS8_
                                        ; -- End function
	.section	.AMDGPU.csdata,"",@progbits
; Kernel info:
; codeLenInByte = 300
; NumSgprs: 19
; NumVgprs: 6
; ScratchSize: 0
; MemoryBound: 0
; FloatMode: 240
; IeeeMode: 1
; LDSByteSize: 0 bytes/workgroup (compile time only)
; SGPRBlocks: 2
; VGPRBlocks: 0
; NumSGPRsForWavesPerEU: 19
; NumVGPRsForWavesPerEU: 6
; Occupancy: 16
; WaveLimiterHint : 0
; COMPUTE_PGM_RSRC2:SCRATCH_EN: 0
; COMPUTE_PGM_RSRC2:USER_SGPR: 14
; COMPUTE_PGM_RSRC2:TRAP_HANDLER: 0
; COMPUTE_PGM_RSRC2:TGID_X_EN: 1
; COMPUTE_PGM_RSRC2:TGID_Y_EN: 1
; COMPUTE_PGM_RSRC2:TGID_Z_EN: 0
; COMPUTE_PGM_RSRC2:TIDIG_COMP_CNT: 1
	.section	.text._ZN9rocsolver6v33100L14set_triangularI19rocblas_complex_numIdEPS3_TnNSt9enable_ifIX18rocblas_is_complexIT_EEiE4typeELi0EEEviiT0_iilPS6_lSA_il15rocblas_direct_15rocblas_storev_b,"axG",@progbits,_ZN9rocsolver6v33100L14set_triangularI19rocblas_complex_numIdEPS3_TnNSt9enable_ifIX18rocblas_is_complexIT_EEiE4typeELi0EEEviiT0_iilPS6_lSA_il15rocblas_direct_15rocblas_storev_b,comdat
	.globl	_ZN9rocsolver6v33100L14set_triangularI19rocblas_complex_numIdEPS3_TnNSt9enable_ifIX18rocblas_is_complexIT_EEiE4typeELi0EEEviiT0_iilPS6_lSA_il15rocblas_direct_15rocblas_storev_b ; -- Begin function _ZN9rocsolver6v33100L14set_triangularI19rocblas_complex_numIdEPS3_TnNSt9enable_ifIX18rocblas_is_complexIT_EEiE4typeELi0EEEviiT0_iilPS6_lSA_il15rocblas_direct_15rocblas_storev_b
	.p2align	8
	.type	_ZN9rocsolver6v33100L14set_triangularI19rocblas_complex_numIdEPS3_TnNSt9enable_ifIX18rocblas_is_complexIT_EEiE4typeELi0EEEviiT0_iilPS6_lSA_il15rocblas_direct_15rocblas_storev_b,@function
_ZN9rocsolver6v33100L14set_triangularI19rocblas_complex_numIdEPS3_TnNSt9enable_ifIX18rocblas_is_complexIT_EEiE4typeELi0EEEviiT0_iilPS6_lSA_il15rocblas_direct_15rocblas_storev_b: ; @_ZN9rocsolver6v33100L14set_triangularI19rocblas_complex_numIdEPS3_TnNSt9enable_ifIX18rocblas_is_complexIT_EEiE4typeELi0EEEviiT0_iilPS6_lSA_il15rocblas_direct_15rocblas_storev_b
; %bb.0:
	s_clause 0x1
	s_load_b32 s2, s[0:1], 0x64
	s_load_b64 s[16:17], s[0:1], 0x0
	v_and_b32_e32 v1, 0x3ff, v0
	v_bfe_u32 v2, v0, 10, 10
	s_waitcnt lgkmcnt(0)
	s_lshr_b32 s3, s2, 16
	s_and_b32 s2, s2, 0xffff
	s_delay_alu instid0(VALU_DEP_1) | instid1(SALU_CYCLE_1)
	v_mad_u64_u32 v[6:7], null, s13, s2, v[1:2]
	v_mad_u64_u32 v[0:1], null, s14, s3, v[2:3]
	s_mov_b32 s2, exec_lo
	s_delay_alu instid0(VALU_DEP_1) | instskip(NEXT) | instid1(VALU_DEP_1)
	v_max_u32_e32 v1, v6, v0
	v_cmpx_gt_u32_e64 s17, v1
	s_cbranch_execz .LBB203_36
; %bb.1:
	s_clause 0x2
	s_load_b256 s[4:11], s[0:1], 0x18
	s_load_b64 s[2:3], s[0:1], 0x40
	s_load_b32 s12, s[0:1], 0x38
	s_waitcnt lgkmcnt(0)
	s_mul_i32 s9, s15, s9
	s_mul_hi_u32 s13, s15, s8
	s_mul_i32 s8, s15, s8
	s_add_i32 s9, s13, s9
	s_mul_i32 s3, s15, s3
	s_lshl_b64 s[8:9], s[8:9], 4
	s_mul_hi_u32 s18, s15, s2
	s_add_u32 s13, s6, s8
	s_mul_i32 s2, s15, s2
	s_addc_u32 s14, s7, s9
	s_add_i32 s3, s18, s3
	s_delay_alu instid0(SALU_CYCLE_1) | instskip(NEXT) | instid1(SALU_CYCLE_1)
	s_lshl_b64 s[2:3], s[2:3], 4
	s_add_u32 s6, s10, s2
	s_addc_u32 s7, s11, s3
	s_mov_b32 s2, exec_lo
	v_cmpx_ne_u32_e64 v0, v6
	s_xor_b32 s18, exec_lo, s2
	s_cbranch_execz .LBB203_34
; %bb.2:
	s_clause 0x1
	s_load_b128 s[8:11], s[0:1], 0x8
	s_load_b128 s[0:3], s[0:1], 0x48
	s_waitcnt lgkmcnt(0)
	s_mul_i32 s3, s15, s5
	s_mul_hi_u32 s5, s15, s4
	s_mul_i32 s4, s15, s4
	s_add_i32 s5, s5, s3
	v_mov_b32_e32 v7, 0
	s_lshl_b64 s[4:5], s[4:5], 4
	s_ashr_i32 s21, s10, 31
	s_mov_b32 s20, s10
	s_add_u32 s3, s8, s4
	s_addc_u32 s8, s9, s5
	s_lshl_b64 s[4:5], s[20:21], 4
	s_delay_alu instid0(SALU_CYCLE_1) | instskip(SKIP_3) | instid1(SALU_CYCLE_1)
	s_add_u32 s3, s3, s4
	s_addc_u32 s4, s8, s5
	s_bitcmp1_b32 s2, 0
	s_cselect_b32 s2, -1, 0
	s_xor_b32 s2, s2, -1
	s_cmpk_lg_i32 s0, 0xab
	s_mov_b32 s0, -1
	s_cbranch_scc0 .LBB203_18
; %bb.3:
	s_mov_b32 s0, exec_lo
	v_cmpx_le_u32_e64 v0, v6
	s_xor_b32 s0, exec_lo, s0
	s_cbranch_execz .LBB203_5
; %bb.4:
	v_mad_u64_u32 v[2:3], null, v6, s12, 0
	s_ashr_i32 s5, s12, 31
	s_delay_alu instid0(VALU_DEP_1) | instskip(NEXT) | instid1(VALU_DEP_1)
	v_mov_b32_e32 v1, v3
	v_mad_u64_u32 v[3:4], null, v6, s5, v[1:2]
	v_mov_b32_e32 v1, 0
	s_delay_alu instid0(VALU_DEP_1) | instskip(NEXT) | instid1(VALU_DEP_3)
	v_lshlrev_b64 v[8:9], 4, v[0:1]
	v_lshlrev_b64 v[4:5], 4, v[2:3]
	v_mov_b32_e32 v2, v1
	v_mov_b32_e32 v3, v1
	s_delay_alu instid0(VALU_DEP_3) | instskip(NEXT) | instid1(VALU_DEP_4)
	v_add_co_u32 v10, vcc_lo, s6, v4
	v_add_co_ci_u32_e32 v5, vcc_lo, s7, v5, vcc_lo
	v_mov_b32_e32 v4, v1
	s_delay_alu instid0(VALU_DEP_3) | instskip(NEXT) | instid1(VALU_DEP_3)
	v_add_co_u32 v8, vcc_lo, v10, v8
	v_add_co_ci_u32_e32 v9, vcc_lo, v5, v9, vcc_lo
	v_mov_b32_e32 v5, v1
	global_store_b128 v[8:9], v[2:5], off
.LBB203_5:
	s_and_not1_saveexec_b32 s0, s0
	s_cbranch_execz .LBB203_17
; %bb.6:
	v_lshlrev_b64 v[1:2], 4, v[6:7]
	s_cmpk_lg_i32 s1, 0xb5
	s_mov_b32 s5, -1
	s_delay_alu instid0(VALU_DEP_1) | instskip(NEXT) | instid1(VALU_DEP_2)
	v_add_co_u32 v1, vcc_lo, s13, v1
	v_add_co_ci_u32_e32 v2, vcc_lo, s14, v2, vcc_lo
	global_load_b128 v[2:5], v[1:2], off
	s_cbranch_scc0 .LBB203_12
; %bb.7:
	v_mov_b32_e32 v1, 0
	s_and_not1_b32 vcc_lo, exec_lo, s2
	s_delay_alu instid0(VALU_DEP_1)
	v_lshlrev_b64 v[8:9], 4, v[0:1]
	s_cbranch_vccnz .LBB203_9
; %bb.8:
	s_sub_i32 s5, s16, s17
	v_mad_u64_u32 v[18:19], null, v6, s12, 0
	v_add_nc_u32_e32 v13, s5, v6
	s_ashr_i32 s5, s11, 31
	s_delay_alu instid0(VALU_DEP_1) | instskip(NEXT) | instid1(VALU_DEP_1)
	v_mad_u64_u32 v[10:11], null, v13, s11, 0
	v_mov_b32_e32 v1, v11
	s_waitcnt vmcnt(0)
	s_delay_alu instid0(VALU_DEP_1) | instskip(SKIP_1) | instid1(VALU_DEP_1)
	v_mad_u64_u32 v[11:12], null, v13, s5, v[1:2]
	s_ashr_i32 s5, s12, 31
	v_lshlrev_b64 v[10:11], 4, v[10:11]
	s_delay_alu instid0(VALU_DEP_1) | instskip(NEXT) | instid1(VALU_DEP_2)
	v_add_co_u32 v1, vcc_lo, s3, v10
	v_add_co_ci_u32_e32 v11, vcc_lo, s4, v11, vcc_lo
	s_delay_alu instid0(VALU_DEP_2) | instskip(NEXT) | instid1(VALU_DEP_2)
	v_add_co_u32 v10, vcc_lo, v1, v8
	v_add_co_ci_u32_e32 v11, vcc_lo, v11, v9, vcc_lo
	v_mov_b32_e32 v1, v19
	global_load_b128 v[10:13], v[10:11], off
	s_waitcnt vmcnt(0)
	v_mul_f64 v[14:15], v[2:3], v[10:11]
	v_mul_f64 v[16:17], v[2:3], v[12:13]
	s_delay_alu instid0(VALU_DEP_2) | instskip(NEXT) | instid1(VALU_DEP_2)
	v_fma_f64 v[12:13], v[4:5], v[12:13], -v[14:15]
	v_fma_f64 v[14:15], v[10:11], -v[4:5], -v[16:17]
	v_mad_u64_u32 v[10:11], null, v6, s5, v[1:2]
	s_mov_b32 s5, 0
	s_delay_alu instid0(VALU_DEP_1) | instskip(NEXT) | instid1(VALU_DEP_1)
	v_mov_b32_e32 v19, v10
	v_lshlrev_b64 v[10:11], 4, v[18:19]
	s_delay_alu instid0(VALU_DEP_1) | instskip(NEXT) | instid1(VALU_DEP_2)
	v_add_co_u32 v1, vcc_lo, s6, v10
	v_add_co_ci_u32_e32 v11, vcc_lo, s7, v11, vcc_lo
	s_delay_alu instid0(VALU_DEP_2) | instskip(NEXT) | instid1(VALU_DEP_2)
	v_add_co_u32 v10, vcc_lo, v1, v8
	v_add_co_ci_u32_e32 v11, vcc_lo, v11, v9, vcc_lo
	global_store_b128 v[10:11], v[12:15], off
.LBB203_9:
	s_and_not1_b32 vcc_lo, exec_lo, s5
	s_cbranch_vccnz .LBB203_11
; %bb.10:
	v_mad_u64_u32 v[10:11], null, v6, s12, 0
	s_sub_i32 s5, s16, s17
	s_delay_alu instid0(SALU_CYCLE_1) | instskip(SKIP_1) | instid1(VALU_DEP_2)
	v_add_nc_u32_e32 v16, s5, v6
	s_ashr_i32 s5, s12, 31
	v_mov_b32_e32 v1, v11
	s_delay_alu instid0(VALU_DEP_2) | instskip(NEXT) | instid1(VALU_DEP_1)
	v_mad_u64_u32 v[12:13], null, v16, s11, 0
	v_mov_b32_e32 v11, v13
	s_waitcnt vmcnt(0)
	s_delay_alu instid0(VALU_DEP_3)
	v_mad_u64_u32 v[13:14], null, v6, s5, v[1:2]
	s_ashr_i32 s5, s11, 31
	s_delay_alu instid0(VALU_DEP_2) | instid1(SALU_CYCLE_1)
	v_mad_u64_u32 v[14:15], null, v16, s5, v[11:12]
	s_delay_alu instid0(VALU_DEP_2) | instskip(NEXT) | instid1(VALU_DEP_2)
	v_mov_b32_e32 v11, v13
	v_mov_b32_e32 v13, v14
	s_delay_alu instid0(VALU_DEP_2) | instskip(NEXT) | instid1(VALU_DEP_2)
	v_lshlrev_b64 v[10:11], 4, v[10:11]
	v_lshlrev_b64 v[12:13], 4, v[12:13]
	s_delay_alu instid0(VALU_DEP_2) | instskip(NEXT) | instid1(VALU_DEP_3)
	v_add_co_u32 v1, vcc_lo, s6, v10
	v_add_co_ci_u32_e32 v10, vcc_lo, s7, v11, vcc_lo
	s_delay_alu instid0(VALU_DEP_3) | instskip(NEXT) | instid1(VALU_DEP_4)
	v_add_co_u32 v11, vcc_lo, s3, v12
	v_add_co_ci_u32_e32 v13, vcc_lo, s4, v13, vcc_lo
	s_delay_alu instid0(VALU_DEP_4) | instskip(NEXT) | instid1(VALU_DEP_4)
	v_add_co_u32 v16, vcc_lo, v1, v8
	v_add_co_ci_u32_e32 v17, vcc_lo, v10, v9, vcc_lo
	s_delay_alu instid0(VALU_DEP_4) | instskip(NEXT) | instid1(VALU_DEP_4)
	v_add_co_u32 v12, vcc_lo, v11, v8
	v_add_co_ci_u32_e32 v13, vcc_lo, v13, v9, vcc_lo
	global_load_b128 v[8:11], v[16:17], off
	global_load_b128 v[12:15], v[12:13], off
	s_waitcnt vmcnt(0)
	v_add_f64 v[12:13], v[12:13], v[8:9]
	v_add_f64 v[8:9], v[14:15], v[10:11]
	s_delay_alu instid0(VALU_DEP_2) | instskip(NEXT) | instid1(VALU_DEP_2)
	v_mul_f64 v[10:11], v[2:3], v[12:13]
	v_mul_f64 v[14:15], v[2:3], v[8:9]
	s_delay_alu instid0(VALU_DEP_2) | instskip(NEXT) | instid1(VALU_DEP_2)
	v_fma_f64 v[8:9], v[4:5], v[8:9], -v[10:11]
	v_fma_f64 v[10:11], v[12:13], -v[4:5], -v[14:15]
	global_store_b128 v[16:17], v[8:11], off
.LBB203_11:
	s_mov_b32 s5, 0
.LBB203_12:
	s_delay_alu instid0(SALU_CYCLE_1)
	s_and_not1_b32 vcc_lo, exec_lo, s5
	s_cbranch_vccnz .LBB203_17
; %bb.13:
	s_and_not1_b32 vcc_lo, exec_lo, s2
	s_mov_b32 s5, -1
	s_cbranch_vccnz .LBB203_15
; %bb.14:
	v_mad_u64_u32 v[8:9], null, v0, s11, 0
	s_ashr_i32 s5, s11, 31
	v_mad_u64_u32 v[17:18], null, v6, s12, 0
	s_delay_alu instid0(VALU_DEP_2) | instskip(SKIP_1) | instid1(VALU_DEP_1)
	v_dual_mov_b32 v12, 0 :: v_dual_mov_b32 v1, v9
	s_waitcnt vmcnt(0)
	v_mad_u64_u32 v[9:10], null, v0, s5, v[1:2]
	s_sub_i32 s5, s16, s17
	s_delay_alu instid0(SALU_CYCLE_1) | instskip(SKIP_1) | instid1(VALU_DEP_2)
	v_add_nc_u32_e32 v11, s5, v6
	s_ashr_i32 s5, s12, 31
	v_lshlrev_b64 v[8:9], 4, v[8:9]
	s_delay_alu instid0(VALU_DEP_2) | instskip(NEXT) | instid1(VALU_DEP_2)
	v_lshlrev_b64 v[10:11], 4, v[11:12]
	v_add_co_u32 v1, vcc_lo, s3, v8
	s_delay_alu instid0(VALU_DEP_3) | instskip(NEXT) | instid1(VALU_DEP_2)
	v_add_co_ci_u32_e32 v9, vcc_lo, s4, v9, vcc_lo
	v_add_co_u32 v8, vcc_lo, v1, v10
	s_delay_alu instid0(VALU_DEP_2)
	v_add_co_ci_u32_e32 v9, vcc_lo, v9, v11, vcc_lo
	v_mov_b32_e32 v1, v18
	global_load_b128 v[8:11], v[8:9], off
	s_waitcnt vmcnt(0)
	v_mul_f64 v[13:14], v[4:5], v[10:11]
	v_mul_f64 v[15:16], v[4:5], v[8:9]
	s_delay_alu instid0(VALU_DEP_2) | instskip(NEXT) | instid1(VALU_DEP_2)
	v_fma_f64 v[8:9], v[8:9], -v[2:3], -v[13:14]
	v_fma_f64 v[10:11], v[2:3], v[10:11], -v[15:16]
	v_mad_u64_u32 v[13:14], null, v6, s5, v[1:2]
	v_mov_b32_e32 v1, v12
	s_mov_b32 s5, 0
	s_delay_alu instid0(VALU_DEP_1) | instskip(NEXT) | instid1(VALU_DEP_3)
	v_lshlrev_b64 v[14:15], 4, v[0:1]
	v_mov_b32_e32 v18, v13
	s_delay_alu instid0(VALU_DEP_1) | instskip(NEXT) | instid1(VALU_DEP_1)
	v_lshlrev_b64 v[12:13], 4, v[17:18]
	v_add_co_u32 v1, vcc_lo, s6, v12
	s_delay_alu instid0(VALU_DEP_2) | instskip(NEXT) | instid1(VALU_DEP_2)
	v_add_co_ci_u32_e32 v13, vcc_lo, s7, v13, vcc_lo
	v_add_co_u32 v12, vcc_lo, v1, v14
	s_delay_alu instid0(VALU_DEP_2)
	v_add_co_ci_u32_e32 v13, vcc_lo, v13, v15, vcc_lo
	global_store_b128 v[12:13], v[8:11], off
.LBB203_15:
	s_and_not1_b32 vcc_lo, exec_lo, s5
	s_cbranch_vccnz .LBB203_17
; %bb.16:
	v_mad_u64_u32 v[8:9], null, v0, s11, 0
	v_mad_u64_u32 v[10:11], null, v6, s12, 0
	s_ashr_i32 s5, s11, 31
	s_delay_alu instid0(VALU_DEP_2) | instskip(NEXT) | instid1(VALU_DEP_2)
	v_mov_b32_e32 v1, v9
	v_mov_b32_e32 v9, v11
	s_waitcnt vmcnt(0)
	s_delay_alu instid0(VALU_DEP_2) | instskip(SKIP_2) | instid1(VALU_DEP_1)
	v_mad_u64_u32 v[11:12], null, v0, s5, v[1:2]
	v_mov_b32_e32 v1, 0
	s_ashr_i32 s5, s12, 31
	v_mov_b32_e32 v14, v1
	v_mad_u64_u32 v[12:13], null, v6, s5, v[9:10]
	s_delay_alu instid0(VALU_DEP_4) | instskip(SKIP_3) | instid1(VALU_DEP_3)
	v_mov_b32_e32 v9, v11
	s_sub_i32 s5, s16, s17
	v_lshlrev_b64 v[15:16], 4, v[0:1]
	v_add_nc_u32_e32 v13, s5, v6
	v_lshlrev_b64 v[8:9], 4, v[8:9]
	v_mov_b32_e32 v11, v12
	s_delay_alu instid0(VALU_DEP_3) | instskip(NEXT) | instid1(VALU_DEP_2)
	v_lshlrev_b64 v[12:13], 4, v[13:14]
	v_lshlrev_b64 v[10:11], 4, v[10:11]
	s_delay_alu instid0(VALU_DEP_4) | instskip(SKIP_1) | instid1(VALU_DEP_3)
	v_add_co_u32 v1, vcc_lo, s3, v8
	v_add_co_ci_u32_e32 v9, vcc_lo, s4, v9, vcc_lo
	v_add_co_u32 v10, vcc_lo, s6, v10
	s_delay_alu instid0(VALU_DEP_4) | instskip(NEXT) | instid1(VALU_DEP_4)
	v_add_co_ci_u32_e32 v11, vcc_lo, s7, v11, vcc_lo
	v_add_co_u32 v8, vcc_lo, v1, v12
	s_delay_alu instid0(VALU_DEP_4) | instskip(NEXT) | instid1(VALU_DEP_4)
	v_add_co_ci_u32_e32 v9, vcc_lo, v9, v13, vcc_lo
	v_add_co_u32 v17, vcc_lo, v10, v15
	s_delay_alu instid0(VALU_DEP_4)
	v_add_co_ci_u32_e32 v18, vcc_lo, v11, v16, vcc_lo
	global_load_b128 v[8:11], v[8:9], off
	global_load_b128 v[12:15], v[17:18], off
	s_waitcnt vmcnt(0)
	v_add_f64 v[8:9], v[8:9], v[12:13]
	v_add_f64 v[10:11], v[14:15], -v[10:11]
	s_delay_alu instid0(VALU_DEP_2) | instskip(NEXT) | instid1(VALU_DEP_2)
	v_mul_f64 v[12:13], v[2:3], v[8:9]
	v_mul_f64 v[14:15], v[2:3], v[10:11]
	s_delay_alu instid0(VALU_DEP_2) | instskip(NEXT) | instid1(VALU_DEP_2)
	v_fma_f64 v[1:2], v[4:5], v[10:11], -v[12:13]
	v_fma_f64 v[3:4], v[8:9], -v[4:5], -v[14:15]
	global_store_b128 v[17:18], v[1:4], off
.LBB203_17:
	s_or_b32 exec_lo, exec_lo, s0
	s_mov_b32 s0, 0
.LBB203_18:
	s_delay_alu instid0(SALU_CYCLE_1)
	s_and_not1_b32 vcc_lo, exec_lo, s0
	s_cbranch_vccnz .LBB203_34
; %bb.19:
	s_mov_b32 s0, exec_lo
	v_cmpx_ge_u32_e64 v0, v6
	s_xor_b32 s0, exec_lo, s0
	s_cbranch_execz .LBB203_21
; %bb.20:
	s_waitcnt vmcnt(0)
	v_mad_u64_u32 v[2:3], null, v6, s12, 0
	s_ashr_i32 s5, s12, 31
	s_delay_alu instid0(VALU_DEP_1) | instskip(NEXT) | instid1(VALU_DEP_1)
	v_mov_b32_e32 v1, v3
	v_mad_u64_u32 v[3:4], null, v6, s5, v[1:2]
	v_mov_b32_e32 v1, 0
	s_delay_alu instid0(VALU_DEP_1) | instskip(NEXT) | instid1(VALU_DEP_3)
	v_lshlrev_b64 v[4:5], 4, v[0:1]
	v_lshlrev_b64 v[2:3], 4, v[2:3]
	v_mov_b32_e32 v0, v1
	s_delay_alu instid0(VALU_DEP_2) | instskip(NEXT) | instid1(VALU_DEP_3)
	v_add_co_u32 v6, vcc_lo, s6, v2
	v_add_co_ci_u32_e32 v3, vcc_lo, s7, v3, vcc_lo
	v_mov_b32_e32 v2, v1
	s_delay_alu instid0(VALU_DEP_3) | instskip(NEXT) | instid1(VALU_DEP_3)
	v_add_co_u32 v4, vcc_lo, v6, v4
	v_add_co_ci_u32_e32 v5, vcc_lo, v3, v5, vcc_lo
	v_mov_b32_e32 v3, v1
                                        ; implicit-def: $vgpr6_vgpr7
	global_store_b128 v[4:5], v[0:3], off
                                        ; implicit-def: $vgpr0_vgpr1
.LBB203_21:
	s_and_not1_saveexec_b32 s0, s0
	s_cbranch_execz .LBB203_33
; %bb.22:
	v_lshlrev_b64 v[7:8], 4, v[6:7]
	s_cmpk_lg_i32 s1, 0xb5
	s_mov_b32 s1, -1
	s_delay_alu instid0(VALU_DEP_1) | instskip(SKIP_1) | instid1(VALU_DEP_2)
	v_add_co_u32 v1, vcc_lo, s13, v7
	s_waitcnt vmcnt(0)
	v_add_co_ci_u32_e32 v2, vcc_lo, s14, v8, vcc_lo
	global_load_b128 v[2:5], v[1:2], off
	v_cndmask_b32_e64 v1, 0, 1, s2
	s_delay_alu instid0(VALU_DEP_1)
	v_cmp_ne_u32_e32 vcc_lo, 1, v1
	s_cbranch_scc0 .LBB203_28
; %bb.23:
	v_mov_b32_e32 v1, 0
	s_and_b32 vcc_lo, exec_lo, vcc_lo
	s_delay_alu instid0(VALU_DEP_1)
	v_lshlrev_b64 v[9:10], 4, v[0:1]
	s_cbranch_vccnz .LBB203_25
; %bb.24:
	v_mad_u64_u32 v[11:12], null, v6, s11, 0
	s_ashr_i32 s1, s11, 31
	v_mad_u64_u32 v[19:20], null, v6, s12, 0
	s_delay_alu instid0(VALU_DEP_2) | instskip(SKIP_1) | instid1(VALU_DEP_1)
	v_mov_b32_e32 v1, v12
	s_waitcnt vmcnt(0)
	v_mad_u64_u32 v[12:13], null, v6, s1, v[1:2]
	s_ashr_i32 s1, s12, 31
	s_delay_alu instid0(VALU_DEP_1) | instskip(NEXT) | instid1(VALU_DEP_1)
	v_lshlrev_b64 v[11:12], 4, v[11:12]
	v_add_co_u32 v1, vcc_lo, s3, v11
	s_delay_alu instid0(VALU_DEP_2) | instskip(NEXT) | instid1(VALU_DEP_2)
	v_add_co_ci_u32_e32 v12, vcc_lo, s4, v12, vcc_lo
	v_add_co_u32 v11, vcc_lo, v1, v9
	s_delay_alu instid0(VALU_DEP_2)
	v_add_co_ci_u32_e32 v12, vcc_lo, v12, v10, vcc_lo
	v_mov_b32_e32 v1, v20
	global_load_b128 v[11:14], v[11:12], off
	s_waitcnt vmcnt(0)
	v_mul_f64 v[15:16], v[2:3], v[11:12]
	v_mul_f64 v[17:18], v[2:3], v[13:14]
	s_delay_alu instid0(VALU_DEP_2) | instskip(NEXT) | instid1(VALU_DEP_2)
	v_fma_f64 v[13:14], v[4:5], v[13:14], -v[15:16]
	v_fma_f64 v[15:16], v[11:12], -v[4:5], -v[17:18]
	v_mad_u64_u32 v[11:12], null, v6, s1, v[1:2]
	s_mov_b32 s1, 0
	s_delay_alu instid0(VALU_DEP_1) | instskip(NEXT) | instid1(VALU_DEP_1)
	v_mov_b32_e32 v20, v11
	v_lshlrev_b64 v[11:12], 4, v[19:20]
	s_delay_alu instid0(VALU_DEP_1) | instskip(NEXT) | instid1(VALU_DEP_2)
	v_add_co_u32 v1, vcc_lo, s6, v11
	v_add_co_ci_u32_e32 v12, vcc_lo, s7, v12, vcc_lo
	s_delay_alu instid0(VALU_DEP_2) | instskip(NEXT) | instid1(VALU_DEP_2)
	v_add_co_u32 v11, vcc_lo, v1, v9
	v_add_co_ci_u32_e32 v12, vcc_lo, v12, v10, vcc_lo
	global_store_b128 v[11:12], v[13:16], off
.LBB203_25:
	s_and_not1_b32 vcc_lo, exec_lo, s1
	s_cbranch_vccnz .LBB203_27
; %bb.26:
	v_mad_u64_u32 v[11:12], null, v6, s11, 0
	v_mad_u64_u32 v[13:14], null, v6, s12, 0
	s_ashr_i32 s1, s11, 31
	s_delay_alu instid0(VALU_DEP_1) | instskip(SKIP_1) | instid1(VALU_DEP_1)
	v_dual_mov_b32 v1, v12 :: v_dual_mov_b32 v12, v14
	s_waitcnt vmcnt(0)
	v_mad_u64_u32 v[14:15], null, v6, s1, v[1:2]
	s_ashr_i32 s1, s12, 31
	s_delay_alu instid0(VALU_DEP_2) | instid1(SALU_CYCLE_1)
	v_mad_u64_u32 v[15:16], null, v6, s1, v[12:13]
	s_delay_alu instid0(VALU_DEP_2) | instskip(NEXT) | instid1(VALU_DEP_2)
	v_mov_b32_e32 v12, v14
	v_mov_b32_e32 v14, v15
	s_delay_alu instid0(VALU_DEP_2) | instskip(NEXT) | instid1(VALU_DEP_2)
	v_lshlrev_b64 v[11:12], 4, v[11:12]
	v_lshlrev_b64 v[13:14], 4, v[13:14]
	s_delay_alu instid0(VALU_DEP_2) | instskip(NEXT) | instid1(VALU_DEP_3)
	v_add_co_u32 v1, vcc_lo, s3, v11
	v_add_co_ci_u32_e32 v12, vcc_lo, s4, v12, vcc_lo
	s_delay_alu instid0(VALU_DEP_3) | instskip(NEXT) | instid1(VALU_DEP_4)
	v_add_co_u32 v13, vcc_lo, s6, v13
	v_add_co_ci_u32_e32 v14, vcc_lo, s7, v14, vcc_lo
	s_delay_alu instid0(VALU_DEP_4) | instskip(NEXT) | instid1(VALU_DEP_4)
	v_add_co_u32 v11, vcc_lo, v1, v9
	v_add_co_ci_u32_e32 v12, vcc_lo, v12, v10, vcc_lo
	s_delay_alu instid0(VALU_DEP_4) | instskip(NEXT) | instid1(VALU_DEP_4)
	v_add_co_u32 v17, vcc_lo, v13, v9
	v_add_co_ci_u32_e32 v18, vcc_lo, v14, v10, vcc_lo
	global_load_b128 v[9:12], v[11:12], off
	global_load_b128 v[13:16], v[17:18], off
	s_waitcnt vmcnt(0)
	v_add_f64 v[13:14], v[9:10], v[13:14]
	v_add_f64 v[9:10], v[11:12], v[15:16]
	s_delay_alu instid0(VALU_DEP_2) | instskip(NEXT) | instid1(VALU_DEP_2)
	v_mul_f64 v[11:12], v[2:3], v[13:14]
	v_mul_f64 v[15:16], v[2:3], v[9:10]
	s_delay_alu instid0(VALU_DEP_2) | instskip(NEXT) | instid1(VALU_DEP_2)
	v_fma_f64 v[9:10], v[4:5], v[9:10], -v[11:12]
	v_fma_f64 v[11:12], v[13:14], -v[4:5], -v[15:16]
	global_store_b128 v[17:18], v[9:12], off
.LBB203_27:
	s_mov_b32 s1, 0
.LBB203_28:
	s_delay_alu instid0(SALU_CYCLE_1)
	s_and_not1_b32 vcc_lo, exec_lo, s1
	s_cbranch_vccnz .LBB203_33
; %bb.29:
	v_mov_b32_e32 v1, 0
	s_and_not1_b32 vcc_lo, exec_lo, s2
	s_mov_b32 s1, -1
	s_delay_alu instid0(VALU_DEP_1)
	v_lshlrev_b64 v[9:10], 4, v[0:1]
	s_cbranch_vccnz .LBB203_31
; %bb.30:
	v_mad_u64_u32 v[11:12], null, v0, s11, 0
	s_ashr_i32 s1, s11, 31
	v_mad_u64_u32 v[19:20], null, v6, s12, 0
	s_delay_alu instid0(VALU_DEP_2) | instskip(SKIP_1) | instid1(VALU_DEP_1)
	v_mov_b32_e32 v1, v12
	s_waitcnt vmcnt(0)
	v_mad_u64_u32 v[12:13], null, v0, s1, v[1:2]
	s_ashr_i32 s1, s12, 31
	s_delay_alu instid0(VALU_DEP_1) | instskip(NEXT) | instid1(VALU_DEP_1)
	v_lshlrev_b64 v[11:12], 4, v[11:12]
	v_add_co_u32 v1, vcc_lo, s3, v11
	s_delay_alu instid0(VALU_DEP_2) | instskip(NEXT) | instid1(VALU_DEP_2)
	v_add_co_ci_u32_e32 v12, vcc_lo, s4, v12, vcc_lo
	v_add_co_u32 v11, vcc_lo, v1, v7
	s_delay_alu instid0(VALU_DEP_2)
	v_add_co_ci_u32_e32 v12, vcc_lo, v12, v8, vcc_lo
	v_mov_b32_e32 v1, v20
	global_load_b128 v[11:14], v[11:12], off
	s_waitcnt vmcnt(0)
	v_mul_f64 v[15:16], v[4:5], v[13:14]
	v_mul_f64 v[17:18], v[4:5], v[11:12]
	s_delay_alu instid0(VALU_DEP_2) | instskip(NEXT) | instid1(VALU_DEP_2)
	v_fma_f64 v[11:12], v[11:12], -v[2:3], -v[15:16]
	v_fma_f64 v[13:14], v[2:3], v[13:14], -v[17:18]
	v_mad_u64_u32 v[15:16], null, v6, s1, v[1:2]
	s_mov_b32 s1, 0
	s_delay_alu instid0(VALU_DEP_1) | instskip(NEXT) | instid1(VALU_DEP_1)
	v_mov_b32_e32 v20, v15
	v_lshlrev_b64 v[15:16], 4, v[19:20]
	s_delay_alu instid0(VALU_DEP_1) | instskip(NEXT) | instid1(VALU_DEP_2)
	v_add_co_u32 v1, vcc_lo, s6, v15
	v_add_co_ci_u32_e32 v16, vcc_lo, s7, v16, vcc_lo
	s_delay_alu instid0(VALU_DEP_2) | instskip(NEXT) | instid1(VALU_DEP_2)
	v_add_co_u32 v15, vcc_lo, v1, v9
	v_add_co_ci_u32_e32 v16, vcc_lo, v16, v10, vcc_lo
	global_store_b128 v[15:16], v[11:14], off
.LBB203_31:
	s_and_not1_b32 vcc_lo, exec_lo, s1
	s_cbranch_vccnz .LBB203_33
; %bb.32:
	v_mad_u64_u32 v[11:12], null, v0, s11, 0
	v_mad_u64_u32 v[13:14], null, v6, s12, 0
	s_ashr_i32 s1, s11, 31
	s_delay_alu instid0(VALU_DEP_1) | instskip(SKIP_1) | instid1(VALU_DEP_1)
	v_dual_mov_b32 v1, v12 :: v_dual_mov_b32 v12, v14
	s_waitcnt vmcnt(0)
	v_mad_u64_u32 v[14:15], null, v0, s1, v[1:2]
	s_ashr_i32 s1, s12, 31
	s_delay_alu instid0(VALU_DEP_2) | instid1(SALU_CYCLE_1)
	v_mad_u64_u32 v[0:1], null, v6, s1, v[12:13]
	s_delay_alu instid0(VALU_DEP_2) | instskip(NEXT) | instid1(VALU_DEP_2)
	v_mov_b32_e32 v12, v14
	v_mov_b32_e32 v14, v0
	s_delay_alu instid0(VALU_DEP_2) | instskip(NEXT) | instid1(VALU_DEP_2)
	v_lshlrev_b64 v[0:1], 4, v[11:12]
	v_lshlrev_b64 v[11:12], 4, v[13:14]
	s_delay_alu instid0(VALU_DEP_2) | instskip(NEXT) | instid1(VALU_DEP_3)
	v_add_co_u32 v0, vcc_lo, s3, v0
	v_add_co_ci_u32_e32 v1, vcc_lo, s4, v1, vcc_lo
	s_delay_alu instid0(VALU_DEP_3) | instskip(NEXT) | instid1(VALU_DEP_4)
	v_add_co_u32 v6, vcc_lo, s6, v11
	v_add_co_ci_u32_e32 v11, vcc_lo, s7, v12, vcc_lo
	s_delay_alu instid0(VALU_DEP_4) | instskip(NEXT) | instid1(VALU_DEP_4)
	v_add_co_u32 v0, vcc_lo, v0, v7
	v_add_co_ci_u32_e32 v1, vcc_lo, v1, v8, vcc_lo
	s_delay_alu instid0(VALU_DEP_4) | instskip(NEXT) | instid1(VALU_DEP_4)
	v_add_co_u32 v14, vcc_lo, v6, v9
	v_add_co_ci_u32_e32 v15, vcc_lo, v11, v10, vcc_lo
	global_load_b128 v[6:9], v[0:1], off
	global_load_b128 v[10:13], v[14:15], off
	s_waitcnt vmcnt(0)
	v_add_f64 v[6:7], v[6:7], v[10:11]
	v_add_f64 v[0:1], v[12:13], -v[8:9]
	s_delay_alu instid0(VALU_DEP_2) | instskip(NEXT) | instid1(VALU_DEP_2)
	v_mul_f64 v[8:9], v[2:3], v[6:7]
	v_mul_f64 v[2:3], v[2:3], v[0:1]
	s_delay_alu instid0(VALU_DEP_2) | instskip(NEXT) | instid1(VALU_DEP_2)
	v_fma_f64 v[0:1], v[4:5], v[0:1], -v[8:9]
	v_fma_f64 v[2:3], v[6:7], -v[4:5], -v[2:3]
	global_store_b128 v[14:15], v[0:3], off
.LBB203_33:
	s_or_b32 exec_lo, exec_lo, s0
                                        ; implicit-def: $vgpr6_vgpr7
.LBB203_34:
	s_and_not1_saveexec_b32 s0, s18
	s_cbranch_execz .LBB203_36
; %bb.35:
	v_mov_b32_e32 v7, 0
	s_ashr_i32 s0, s12, 31
	s_waitcnt vmcnt(0)
	s_delay_alu instid0(VALU_DEP_1) | instskip(SKIP_1) | instid1(VALU_DEP_2)
	v_lshlrev_b64 v[4:5], 4, v[6:7]
	v_mad_u64_u32 v[7:8], null, v6, s12, 0
	v_add_co_u32 v0, vcc_lo, s13, v4
	s_delay_alu instid0(VALU_DEP_3) | instskip(NEXT) | instid1(VALU_DEP_3)
	v_add_co_ci_u32_e32 v1, vcc_lo, s14, v5, vcc_lo
	v_mad_u64_u32 v[9:10], null, v6, s0, v[8:9]
	global_load_b128 v[0:3], v[0:1], off
	v_mov_b32_e32 v8, v9
	s_delay_alu instid0(VALU_DEP_1) | instskip(NEXT) | instid1(VALU_DEP_1)
	v_lshlrev_b64 v[6:7], 4, v[7:8]
	v_add_co_u32 v6, vcc_lo, s6, v6
	s_delay_alu instid0(VALU_DEP_2) | instskip(NEXT) | instid1(VALU_DEP_2)
	v_add_co_ci_u32_e32 v7, vcc_lo, s7, v7, vcc_lo
	v_add_co_u32 v4, vcc_lo, v6, v4
	s_delay_alu instid0(VALU_DEP_2)
	v_add_co_ci_u32_e32 v5, vcc_lo, v7, v5, vcc_lo
	s_waitcnt vmcnt(0)
	global_store_b128 v[4:5], v[0:3], off
.LBB203_36:
	s_nop 0
	s_sendmsg sendmsg(MSG_DEALLOC_VGPRS)
	s_endpgm
	.section	.rodata,"a",@progbits
	.p2align	6, 0x0
	.amdhsa_kernel _ZN9rocsolver6v33100L14set_triangularI19rocblas_complex_numIdEPS3_TnNSt9enable_ifIX18rocblas_is_complexIT_EEiE4typeELi0EEEviiT0_iilPS6_lSA_il15rocblas_direct_15rocblas_storev_b
		.amdhsa_group_segment_fixed_size 0
		.amdhsa_private_segment_fixed_size 0
		.amdhsa_kernarg_size 344
		.amdhsa_user_sgpr_count 13
		.amdhsa_user_sgpr_dispatch_ptr 0
		.amdhsa_user_sgpr_queue_ptr 0
		.amdhsa_user_sgpr_kernarg_segment_ptr 1
		.amdhsa_user_sgpr_dispatch_id 0
		.amdhsa_user_sgpr_private_segment_size 0
		.amdhsa_wavefront_size32 1
		.amdhsa_uses_dynamic_stack 0
		.amdhsa_enable_private_segment 0
		.amdhsa_system_sgpr_workgroup_id_x 1
		.amdhsa_system_sgpr_workgroup_id_y 1
		.amdhsa_system_sgpr_workgroup_id_z 1
		.amdhsa_system_sgpr_workgroup_info 0
		.amdhsa_system_vgpr_workitem_id 1
		.amdhsa_next_free_vgpr 21
		.amdhsa_next_free_sgpr 22
		.amdhsa_reserve_vcc 1
		.amdhsa_float_round_mode_32 0
		.amdhsa_float_round_mode_16_64 0
		.amdhsa_float_denorm_mode_32 3
		.amdhsa_float_denorm_mode_16_64 3
		.amdhsa_dx10_clamp 1
		.amdhsa_ieee_mode 1
		.amdhsa_fp16_overflow 0
		.amdhsa_workgroup_processor_mode 1
		.amdhsa_memory_ordered 1
		.amdhsa_forward_progress 0
		.amdhsa_shared_vgpr_count 0
		.amdhsa_exception_fp_ieee_invalid_op 0
		.amdhsa_exception_fp_denorm_src 0
		.amdhsa_exception_fp_ieee_div_zero 0
		.amdhsa_exception_fp_ieee_overflow 0
		.amdhsa_exception_fp_ieee_underflow 0
		.amdhsa_exception_fp_ieee_inexact 0
		.amdhsa_exception_int_div_zero 0
	.end_amdhsa_kernel
	.section	.text._ZN9rocsolver6v33100L14set_triangularI19rocblas_complex_numIdEPS3_TnNSt9enable_ifIX18rocblas_is_complexIT_EEiE4typeELi0EEEviiT0_iilPS6_lSA_il15rocblas_direct_15rocblas_storev_b,"axG",@progbits,_ZN9rocsolver6v33100L14set_triangularI19rocblas_complex_numIdEPS3_TnNSt9enable_ifIX18rocblas_is_complexIT_EEiE4typeELi0EEEviiT0_iilPS6_lSA_il15rocblas_direct_15rocblas_storev_b,comdat
.Lfunc_end203:
	.size	_ZN9rocsolver6v33100L14set_triangularI19rocblas_complex_numIdEPS3_TnNSt9enable_ifIX18rocblas_is_complexIT_EEiE4typeELi0EEEviiT0_iilPS6_lSA_il15rocblas_direct_15rocblas_storev_b, .Lfunc_end203-_ZN9rocsolver6v33100L14set_triangularI19rocblas_complex_numIdEPS3_TnNSt9enable_ifIX18rocblas_is_complexIT_EEiE4typeELi0EEEviiT0_iilPS6_lSA_il15rocblas_direct_15rocblas_storev_b
                                        ; -- End function
	.section	.AMDGPU.csdata,"",@progbits
; Kernel info:
; codeLenInByte = 2900
; NumSgprs: 24
; NumVgprs: 21
; ScratchSize: 0
; MemoryBound: 1
; FloatMode: 240
; IeeeMode: 1
; LDSByteSize: 0 bytes/workgroup (compile time only)
; SGPRBlocks: 2
; VGPRBlocks: 2
; NumSGPRsForWavesPerEU: 24
; NumVGPRsForWavesPerEU: 21
; Occupancy: 16
; WaveLimiterHint : 0
; COMPUTE_PGM_RSRC2:SCRATCH_EN: 0
; COMPUTE_PGM_RSRC2:USER_SGPR: 13
; COMPUTE_PGM_RSRC2:TRAP_HANDLER: 0
; COMPUTE_PGM_RSRC2:TGID_X_EN: 1
; COMPUTE_PGM_RSRC2:TGID_Y_EN: 1
; COMPUTE_PGM_RSRC2:TGID_Z_EN: 1
; COMPUTE_PGM_RSRC2:TIDIG_COMP_CNT: 1
	.section	.text._ZN9rocsolver6v33100L7set_tauI19rocblas_complex_numIdEEEviPT_l,"axG",@progbits,_ZN9rocsolver6v33100L7set_tauI19rocblas_complex_numIdEEEviPT_l,comdat
	.globl	_ZN9rocsolver6v33100L7set_tauI19rocblas_complex_numIdEEEviPT_l ; -- Begin function _ZN9rocsolver6v33100L7set_tauI19rocblas_complex_numIdEEEviPT_l
	.p2align	8
	.type	_ZN9rocsolver6v33100L7set_tauI19rocblas_complex_numIdEEEviPT_l,@function
_ZN9rocsolver6v33100L7set_tauI19rocblas_complex_numIdEEEviPT_l: ; @_ZN9rocsolver6v33100L7set_tauI19rocblas_complex_numIdEEEviPT_l
; %bb.0:
	s_clause 0x1
	s_load_b32 s2, s[0:1], 0x24
	s_load_b32 s3, s[0:1], 0x0
	s_waitcnt lgkmcnt(0)
	s_and_b32 s2, s2, 0xffff
	s_delay_alu instid0(SALU_CYCLE_1) | instskip(SKIP_1) | instid1(VALU_DEP_1)
	v_mad_u64_u32 v[1:2], null, s14, s2, v[0:1]
	s_mov_b32 s2, exec_lo
	v_cmpx_gt_u32_e64 s3, v1
	s_cbranch_execz .LBB204_2
; %bb.1:
	s_load_b128 s[0:3], s[0:1], 0x8
	v_mov_b32_e32 v2, 0
	s_delay_alu instid0(VALU_DEP_1)
	v_lshlrev_b64 v[0:1], 4, v[1:2]
	s_waitcnt lgkmcnt(0)
	s_mul_i32 s3, s15, s3
	s_mul_hi_u32 s4, s15, s2
	s_mul_i32 s2, s15, s2
	s_add_i32 s3, s4, s3
	s_delay_alu instid0(SALU_CYCLE_1) | instskip(NEXT) | instid1(SALU_CYCLE_1)
	s_lshl_b64 s[2:3], s[2:3], 4
	s_add_u32 s0, s0, s2
	s_addc_u32 s1, s1, s3
	v_add_co_u32 v4, vcc_lo, s0, v0
	v_add_co_ci_u32_e32 v5, vcc_lo, s1, v1, vcc_lo
	global_load_b128 v[0:3], v[4:5], off
	s_waitcnt vmcnt(0)
	v_xor_b32_e32 v1, 0x80000000, v1
	v_xor_b32_e32 v3, 0x80000000, v3
	global_store_b128 v[4:5], v[0:3], off
.LBB204_2:
	s_nop 0
	s_sendmsg sendmsg(MSG_DEALLOC_VGPRS)
	s_endpgm
	.section	.rodata,"a",@progbits
	.p2align	6, 0x0
	.amdhsa_kernel _ZN9rocsolver6v33100L7set_tauI19rocblas_complex_numIdEEEviPT_l
		.amdhsa_group_segment_fixed_size 0
		.amdhsa_private_segment_fixed_size 0
		.amdhsa_kernarg_size 280
		.amdhsa_user_sgpr_count 14
		.amdhsa_user_sgpr_dispatch_ptr 0
		.amdhsa_user_sgpr_queue_ptr 0
		.amdhsa_user_sgpr_kernarg_segment_ptr 1
		.amdhsa_user_sgpr_dispatch_id 0
		.amdhsa_user_sgpr_private_segment_size 0
		.amdhsa_wavefront_size32 1
		.amdhsa_uses_dynamic_stack 0
		.amdhsa_enable_private_segment 0
		.amdhsa_system_sgpr_workgroup_id_x 1
		.amdhsa_system_sgpr_workgroup_id_y 1
		.amdhsa_system_sgpr_workgroup_id_z 0
		.amdhsa_system_sgpr_workgroup_info 0
		.amdhsa_system_vgpr_workitem_id 0
		.amdhsa_next_free_vgpr 6
		.amdhsa_next_free_sgpr 16
		.amdhsa_reserve_vcc 1
		.amdhsa_float_round_mode_32 0
		.amdhsa_float_round_mode_16_64 0
		.amdhsa_float_denorm_mode_32 3
		.amdhsa_float_denorm_mode_16_64 3
		.amdhsa_dx10_clamp 1
		.amdhsa_ieee_mode 1
		.amdhsa_fp16_overflow 0
		.amdhsa_workgroup_processor_mode 1
		.amdhsa_memory_ordered 1
		.amdhsa_forward_progress 0
		.amdhsa_shared_vgpr_count 0
		.amdhsa_exception_fp_ieee_invalid_op 0
		.amdhsa_exception_fp_denorm_src 0
		.amdhsa_exception_fp_ieee_div_zero 0
		.amdhsa_exception_fp_ieee_overflow 0
		.amdhsa_exception_fp_ieee_underflow 0
		.amdhsa_exception_fp_ieee_inexact 0
		.amdhsa_exception_int_div_zero 0
	.end_amdhsa_kernel
	.section	.text._ZN9rocsolver6v33100L7set_tauI19rocblas_complex_numIdEEEviPT_l,"axG",@progbits,_ZN9rocsolver6v33100L7set_tauI19rocblas_complex_numIdEEEviPT_l,comdat
.Lfunc_end204:
	.size	_ZN9rocsolver6v33100L7set_tauI19rocblas_complex_numIdEEEviPT_l, .Lfunc_end204-_ZN9rocsolver6v33100L7set_tauI19rocblas_complex_numIdEEEviPT_l
                                        ; -- End function
	.section	.AMDGPU.csdata,"",@progbits
; Kernel info:
; codeLenInByte = 180
; NumSgprs: 18
; NumVgprs: 6
; ScratchSize: 0
; MemoryBound: 0
; FloatMode: 240
; IeeeMode: 1
; LDSByteSize: 0 bytes/workgroup (compile time only)
; SGPRBlocks: 2
; VGPRBlocks: 0
; NumSGPRsForWavesPerEU: 18
; NumVGPRsForWavesPerEU: 6
; Occupancy: 16
; WaveLimiterHint : 0
; COMPUTE_PGM_RSRC2:SCRATCH_EN: 0
; COMPUTE_PGM_RSRC2:USER_SGPR: 14
; COMPUTE_PGM_RSRC2:TRAP_HANDLER: 0
; COMPUTE_PGM_RSRC2:TGID_X_EN: 1
; COMPUTE_PGM_RSRC2:TGID_Y_EN: 1
; COMPUTE_PGM_RSRC2:TGID_Z_EN: 0
; COMPUTE_PGM_RSRC2:TIDIG_COMP_CNT: 0
	.section	.text._ZN9rocsolver6v33100L20larft_kernel_forwardI19rocblas_complex_numIdEPS3_EEv15rocblas_storev_iiT0_iilPT_lS8_il,"axG",@progbits,_ZN9rocsolver6v33100L20larft_kernel_forwardI19rocblas_complex_numIdEPS3_EEv15rocblas_storev_iiT0_iilPT_lS8_il,comdat
	.globl	_ZN9rocsolver6v33100L20larft_kernel_forwardI19rocblas_complex_numIdEPS3_EEv15rocblas_storev_iiT0_iilPT_lS8_il ; -- Begin function _ZN9rocsolver6v33100L20larft_kernel_forwardI19rocblas_complex_numIdEPS3_EEv15rocblas_storev_iiT0_iilPT_lS8_il
	.p2align	8
	.type	_ZN9rocsolver6v33100L20larft_kernel_forwardI19rocblas_complex_numIdEPS3_EEv15rocblas_storev_iiT0_iilPT_lS8_il,@function
_ZN9rocsolver6v33100L20larft_kernel_forwardI19rocblas_complex_numIdEPS3_EEv15rocblas_storev_iiT0_iilPT_lS8_il: ; @_ZN9rocsolver6v33100L20larft_kernel_forwardI19rocblas_complex_numIdEPS3_EEv15rocblas_storev_iiT0_iilPT_lS8_il
; %bb.0:
	s_clause 0x4
	s_load_b64 s[20:21], s[0:1], 0x48
	s_load_b128 s[16:19], s[0:1], 0x0
	s_load_b32 s13, s[0:1], 0x5c
	s_load_b256 s[4:11], s[0:1], 0x20
	s_load_b32 s3, s[0:1], 0x40
	s_ashr_i32 s12, s15, 31
	v_lshlrev_b32_e32 v11, 4, v0
	s_waitcnt lgkmcnt(0)
	s_mul_i32 s2, s15, s21
	s_mul_hi_u32 s14, s15, s20
	s_mul_i32 s19, s12, s20
	s_add_i32 s2, s14, s2
	s_mul_i32 s20, s15, s20
	s_add_i32 s21, s2, s19
	v_cmp_gt_i32_e64 s2, s18, v0
	s_lshl_b64 s[20:21], s[20:21], 4
	s_and_b32 s19, s13, 0xffff
	s_add_u32 s28, s10, s20
	s_addc_u32 s29, s11, s21
	s_and_saveexec_b32 s10, s2
	s_cbranch_execz .LBB205_5
; %bb.1:
	v_add_nc_u32_e32 v1, 16, v11
	s_lshl_b32 s13, s18, 4
	v_mov_b32_e32 v5, v0
	s_add_i32 s14, s13, 16
	s_add_i32 s20, s3, 1
	v_mul_lo_u32 v3, s18, v1
	v_mad_u64_u32 v[1:2], null, v0, s3, v[0:1]
	s_mov_b32 s11, 0
	s_mul_i32 s14, s14, s19
	s_mul_i32 s20, s20, s19
	s_delay_alu instid0(VALU_DEP_2)
	v_add3_u32 v4, v3, v11, 0
	.p2align	6
.LBB205_2:                              ; =>This Loop Header: Depth=1
                                        ;     Child Loop BB205_3 Depth 2
	s_delay_alu instid0(VALU_DEP_2) | instskip(NEXT) | instid1(VALU_DEP_2)
	v_mov_b32_e32 v2, v1
	v_dual_mov_b32 v6, v4 :: v_dual_mov_b32 v7, v5
	s_mov_b32 s21, 0
	.p2align	6
.LBB205_3:                              ;   Parent Loop BB205_2 Depth=1
                                        ; =>  This Inner Loop Header: Depth=2
	s_delay_alu instid0(VALU_DEP_2) | instskip(NEXT) | instid1(VALU_DEP_2)
	v_ashrrev_i32_e32 v3, 31, v2
	v_add_nc_u32_e32 v7, 1, v7
	s_delay_alu instid0(VALU_DEP_2) | instskip(SKIP_1) | instid1(VALU_DEP_2)
	v_lshlrev_b64 v[8:9], 4, v[2:3]
	v_add_nc_u32_e32 v2, s3, v2
	v_add_co_u32 v8, vcc_lo, s28, v8
	s_delay_alu instid0(VALU_DEP_3)
	v_add_co_ci_u32_e32 v9, vcc_lo, s29, v9, vcc_lo
	v_cmp_le_i32_e32 vcc_lo, s18, v7
	global_load_b128 v[12:15], v[8:9], off
	s_or_b32 s21, vcc_lo, s21
	s_waitcnt vmcnt(0)
	ds_store_2addr_b64 v6, v[12:13], v[14:15] offset1:1
	v_add_nc_u32_e32 v6, s13, v6
	s_and_not1_b32 exec_lo, exec_lo, s21
	s_cbranch_execnz .LBB205_3
; %bb.4:                                ;   in Loop: Header=BB205_2 Depth=1
	s_or_b32 exec_lo, exec_lo, s21
	v_add_nc_u32_e32 v5, s19, v5
	v_add_nc_u32_e32 v4, s14, v4
	;; [unrolled: 1-line block ×3, first 2 shown]
	s_delay_alu instid0(VALU_DEP_3) | instskip(SKIP_1) | instid1(SALU_CYCLE_1)
	v_cmp_le_i32_e32 vcc_lo, s18, v5
	s_or_b32 s11, vcc_lo, s11
	s_and_not1_b32 exec_lo, exec_lo, s11
	s_cbranch_execnz .LBB205_2
.LBB205_5:
	s_or_b32 exec_lo, exec_lo, s10
	s_cmp_lt_i32 s18, 2
	s_waitcnt lgkmcnt(0)
	s_barrier
	buffer_gl0_inv
	s_cbranch_scc1 .LBB205_29
; %bb.6:
	s_load_b128 s[20:23], s[0:1], 0x10
	s_mul_i32 s1, s15, s9
	s_mul_hi_u32 s10, s15, s8
	s_mul_i32 s11, s12, s8
	s_add_i32 s1, s10, s1
	s_mul_i32 s0, s15, s8
	s_add_i32 s1, s1, s11
	s_mul_i32 s12, s4, s12
	s_lshl_b64 s[0:1], s[0:1], 4
	s_mul_hi_u32 s13, s4, s15
	v_dual_mov_b32 v2, 0 :: v_dual_add_nc_u32 v3, 16, v11
	s_mul_i32 s5, s5, s15
	s_mul_i32 s4, s4, s15
	v_or_b32_e32 v1, 8, v11
	s_delay_alu instid0(VALU_DEP_2)
	v_mul_lo_u32 v3, s18, v3
	v_add_nc_u32_e32 v14, 0, v11
	s_mov_b32 s9, 0
	s_mov_b32 s8, 1
	s_waitcnt lgkmcnt(0)
	s_ashr_i32 s11, s22, 31
	s_add_u32 s30, s6, s0
	s_addc_u32 s31, s7, s1
	s_lshl_b32 s33, s18, 4
	s_mov_b32 s10, s22
	s_add_i32 s34, s33, 0
	s_cmpk_lg_i32 s16, 0xb5
	s_mov_b32 s6, s23
	s_cselect_b32 s16, -1, 0
	s_add_i32 s0, s13, s12
	v_mul_lo_u32 v12, v0, s23
	s_add_i32 s5, s0, s5
	s_lshl_b64 s[0:1], s[10:11], 4
	s_lshl_b64 s[4:5], s[4:5], 4
	v_add3_u32 v13, v3, v11, 0
	s_add_u32 s0, s4, s0
	s_addc_u32 s1, s5, s1
	s_add_u32 s22, s20, s0
	s_addc_u32 s35, s21, s1
	s_ashr_i32 s7, s23, 31
	s_lshl_b32 s10, s23, 1
	s_lshl_b32 s36, s19, 4
	s_lshl_b64 s[12:13], s[6:7], 4
	s_add_u32 s14, s22, 32
	s_addc_u32 s15, s35, 0
	s_add_i32 s38, s33, 16
	s_mul_i32 s37, s23, s19
	s_mul_i32 s38, s38, s19
	s_mov_b64 s[20:21], 0
	s_mov_b32 s24, s23
	s_branch .LBB205_8
.LBB205_7:                              ;   in Loop: Header=BB205_8 Depth=1
	s_set_inst_prefetch_distance 0x2
	s_or_b32 exec_lo, exec_lo, s0
	s_add_i32 s8, s8, 1
	s_add_u32 s20, s20, 16
	s_addc_u32 s21, s21, 0
	s_add_i32 s10, s10, s23
	s_add_u32 s14, s14, 16
	s_addc_u32 s15, s15, 0
	s_add_i32 s24, s24, s23
	s_cmp_eq_u32 s8, s18
	s_waitcnt lgkmcnt(0)
	s_barrier
	buffer_gl0_inv
	s_cbranch_scc1 .LBB205_29
.LBB205_8:                              ; =>This Loop Header: Depth=1
                                        ;     Child Loop BB205_12 Depth 2
                                        ;       Child Loop BB205_14 Depth 3
                                        ;     Child Loop BB205_20 Depth 2
                                        ;       Child Loop BB205_22 Depth 3
	;; [unrolled: 2-line block ×3, first 2 shown]
	s_mul_i32 s0, s8, s18
	s_not_b32 s40, s8
	s_lshl_b32 s0, s0, 4
	s_add_i32 s40, s40, s17
	s_add_i32 s39, s34, s0
	v_cmp_gt_u32_e64 s0, s8, v0
	s_and_b32 vcc_lo, exec_lo, s16
	s_mov_b32 s1, -1
	s_cbranch_vccz .LBB205_16
; %bb.9:                                ;   in Loop: Header=BB205_8 Depth=1
	s_delay_alu instid0(VALU_DEP_1)
	s_and_saveexec_b32 s25, s0
	s_cbranch_execz .LBB205_15
; %bb.10:                               ;   in Loop: Header=BB205_8 Depth=1
	s_ashr_i32 s11, s10, 31
	v_dual_mov_b32 v4, v2 :: v_dual_mov_b32 v3, v1
	s_lshl_b64 s[0:1], s[10:11], 4
	v_mov_b32_e32 v9, v0
	s_add_u32 s26, s22, s0
	s_addc_u32 s27, s35, s1
	s_cmp_gt_i32 s40, 0
	s_mov_b32 s41, 0
	s_cselect_b32 s11, -1, 0
	s_lshl_b64 s[0:1], s[8:9], 4
	s_delay_alu instid0(SALU_CYCLE_1)
	s_add_u32 s0, s30, s0
	s_addc_u32 s1, s31, s1
	s_load_b128 s[4:7], s[0:1], 0x0
	s_branch .LBB205_12
.LBB205_11:                             ;   in Loop: Header=BB205_12 Depth=2
	s_waitcnt lgkmcnt(0)
	s_delay_alu instid0(VALU_DEP_1) | instskip(NEXT) | instid1(VALU_DEP_2)
	v_mul_f64 v[15:16], v[5:6], s[6:7]
	v_mul_f64 v[17:18], v[7:8], s[6:7]
	v_lshlrev_b32_e32 v10, 4, v9
	v_add_nc_u32_e32 v9, s19, v9
	v_add_co_u32 v3, s0, v3, s36
	s_delay_alu instid0(VALU_DEP_1) | instskip(NEXT) | instid1(VALU_DEP_3)
	v_add_co_ci_u32_e64 v4, s0, 0, v4, s0
	v_cmp_le_u32_e32 vcc_lo, s8, v9
	s_or_b32 s41, vcc_lo, s41
	v_fma_f64 v[15:16], v[7:8], s[4:5], -v[15:16]
	v_fma_f64 v[17:18], v[5:6], s[4:5], v[17:18]
	v_add_nc_u32_e32 v5, s39, v10
	v_add_nc_u32_e32 v10, 0, v10
	ds_load_2addr_b64 v[5:8], v5 offset1:1
	s_waitcnt lgkmcnt(0)
	v_add_f64 v[5:6], v[5:6], v[15:16]
	v_add_f64 v[7:8], v[17:18], v[7:8]
	ds_store_2addr_b64 v10, v[5:6], v[7:8] offset1:1
	s_and_not1_b32 exec_lo, exec_lo, s41
	s_cbranch_execz .LBB205_15
.LBB205_12:                             ;   Parent Loop BB205_8 Depth=1
                                        ; =>  This Loop Header: Depth=2
                                        ;       Child Loop BB205_14 Depth 3
	v_mov_b32_e32 v5, 0
	v_mov_b32_e32 v6, 0
	s_and_not1_b32 vcc_lo, exec_lo, s11
	s_delay_alu instid0(VALU_DEP_1)
	v_dual_mov_b32 v8, v6 :: v_dual_mov_b32 v7, v5
	s_cbranch_vccnz .LBB205_11
; %bb.13:                               ;   in Loop: Header=BB205_12 Depth=2
	v_mov_b32_e32 v5, 0
	v_mov_b32_e32 v6, 0
	s_mov_b32 s42, 0
	s_mov_b64 s[0:1], s[26:27]
	s_delay_alu instid0(VALU_DEP_1)
	v_dual_mov_b32 v8, v6 :: v_dual_mov_b32 v7, v5
	.p2align	6
.LBB205_14:                             ;   Parent Loop BB205_8 Depth=1
                                        ;     Parent Loop BB205_12 Depth=2
                                        ; =>    This Inner Loop Header: Depth=3
	v_add_co_u32 v15, vcc_lo, s0, v3
	v_add_co_ci_u32_e32 v16, vcc_lo, s1, v4, vcc_lo
	s_add_u32 s44, s0, s20
	s_addc_u32 s45, s1, s21
	s_add_i32 s42, s42, 1
	s_load_b128 s[44:47], s[44:45], 0x10
	global_load_b128 v[15:18], v[15:16], off offset:-8
	s_add_u32 s0, s0, s12
	s_addc_u32 s1, s1, s13
	s_cmp_ge_i32 s42, s40
	s_waitcnt vmcnt(0) lgkmcnt(0)
	v_mul_f64 v[19:20], s[46:47], v[17:18]
	v_mul_f64 v[21:22], s[46:47], v[15:16]
	s_delay_alu instid0(VALU_DEP_2) | instskip(NEXT) | instid1(VALU_DEP_2)
	v_fma_f64 v[15:16], s[44:45], v[15:16], v[19:20]
	v_fma_f64 v[17:18], s[44:45], v[17:18], -v[21:22]
	s_delay_alu instid0(VALU_DEP_2) | instskip(NEXT) | instid1(VALU_DEP_2)
	v_add_f64 v[7:8], v[7:8], v[15:16]
	v_add_f64 v[5:6], v[5:6], v[17:18]
	s_cbranch_scc0 .LBB205_14
	s_branch .LBB205_11
.LBB205_15:                             ;   in Loop: Header=BB205_8 Depth=1
	s_or_b32 exec_lo, exec_lo, s25
	s_mov_b32 s1, 0
.LBB205_16:                             ;   in Loop: Header=BB205_8 Depth=1
	s_delay_alu instid0(SALU_CYCLE_1)
	s_and_not1_b32 vcc_lo, exec_lo, s1
	s_cbranch_vccnz .LBB205_24
; %bb.17:                               ;   in Loop: Header=BB205_8 Depth=1
	s_mov_b32 s11, exec_lo
	v_cmpx_gt_u32_e64 s8, v0
	s_cbranch_execz .LBB205_23
; %bb.18:                               ;   in Loop: Header=BB205_8 Depth=1
	s_ashr_i32 s25, s24, 31
	v_mov_b32_e32 v3, v12
	s_lshl_b64 s[0:1], s[24:25], 4
	s_cmp_gt_i32 s40, 0
	v_mov_b32_e32 v15, v0
	s_cselect_b32 s25, -1, 0
	s_lshl_b64 s[4:5], s[8:9], 4
	s_mov_b32 s41, 0
	s_add_u32 s4, s30, s4
	s_addc_u32 s5, s31, s5
	s_load_b128 s[4:7], s[4:5], 0x0
	s_branch .LBB205_20
.LBB205_19:                             ;   in Loop: Header=BB205_20 Depth=2
	s_waitcnt lgkmcnt(0)
	s_delay_alu instid0(VALU_DEP_1) | instskip(NEXT) | instid1(VALU_DEP_2)
	v_mul_f64 v[9:10], v[5:6], s[6:7]
	v_mul_f64 v[16:17], v[7:8], s[6:7]
	v_add_nc_u32_e32 v3, s37, v3
	s_delay_alu instid0(VALU_DEP_3) | instskip(NEXT) | instid1(VALU_DEP_3)
	v_fma_f64 v[8:9], v[7:8], s[4:5], -v[9:10]
	v_fma_f64 v[16:17], v[5:6], s[4:5], v[16:17]
	v_lshlrev_b32_e32 v10, 4, v15
	v_add_nc_u32_e32 v15, s19, v15
	s_delay_alu instid0(VALU_DEP_2) | instskip(NEXT) | instid1(VALU_DEP_2)
	v_add_nc_u32_e32 v4, s39, v10
	v_cmp_le_u32_e32 vcc_lo, s8, v15
	ds_load_2addr_b64 v[4:7], v4 offset1:1
	s_or_b32 s41, vcc_lo, s41
	s_waitcnt lgkmcnt(0)
	v_add_f64 v[4:5], v[4:5], v[8:9]
	v_add_f64 v[6:7], v[16:17], v[6:7]
	v_add_nc_u32_e32 v8, 0, v10
	ds_store_2addr_b64 v8, v[4:5], v[6:7] offset1:1
	s_and_not1_b32 exec_lo, exec_lo, s41
	s_cbranch_execz .LBB205_23
.LBB205_20:                             ;   Parent Loop BB205_8 Depth=1
                                        ; =>  This Loop Header: Depth=2
                                        ;       Child Loop BB205_22 Depth 3
	v_mov_b32_e32 v5, 0
	v_mov_b32_e32 v6, 0
	s_and_not1_b32 vcc_lo, exec_lo, s25
	s_delay_alu instid0(VALU_DEP_1)
	v_dual_mov_b32 v8, v6 :: v_dual_mov_b32 v7, v5
	s_cbranch_vccnz .LBB205_19
; %bb.21:                               ;   in Loop: Header=BB205_20 Depth=2
	v_ashrrev_i32_e32 v4, 31, v3
	v_mov_b32_e32 v5, 0
	v_mov_b32_e32 v6, 0
	s_mov_b32 s42, 0
	s_mov_b64 s[26:27], s[14:15]
	v_lshlrev_b64 v[9:10], 4, v[3:4]
	s_delay_alu instid0(VALU_DEP_2)
	v_dual_mov_b32 v8, v6 :: v_dual_mov_b32 v7, v5
	.p2align	6
.LBB205_22:                             ;   Parent Loop BB205_8 Depth=1
                                        ;     Parent Loop BB205_20 Depth=2
                                        ; =>    This Inner Loop Header: Depth=3
	s_delay_alu instid0(VALU_DEP_2) | instskip(NEXT) | instid1(VALU_DEP_3)
	v_add_co_u32 v16, vcc_lo, s26, v9
	v_add_co_ci_u32_e32 v17, vcc_lo, s27, v10, vcc_lo
	s_add_u32 s44, s26, s0
	s_addc_u32 s45, s27, s1
	s_add_i32 s42, s42, 1
	global_load_b128 v[16:19], v[16:17], off
	s_load_b128 s[44:47], s[44:45], 0x0
	s_add_u32 s26, s26, 16
	s_addc_u32 s27, s27, 0
	s_cmp_ge_i32 s42, s40
	s_waitcnt vmcnt(0) lgkmcnt(0)
	v_mul_f64 v[20:21], v[18:19], s[46:47]
	v_mul_f64 v[18:19], v[18:19], s[44:45]
	s_delay_alu instid0(VALU_DEP_2) | instskip(NEXT) | instid1(VALU_DEP_2)
	v_fma_f64 v[20:21], v[16:17], s[44:45], v[20:21]
	v_fma_f64 v[16:17], v[16:17], s[46:47], -v[18:19]
	s_delay_alu instid0(VALU_DEP_2) | instskip(NEXT) | instid1(VALU_DEP_2)
	v_add_f64 v[7:8], v[7:8], v[20:21]
	v_add_f64 v[5:6], v[5:6], v[16:17]
	s_cbranch_scc0 .LBB205_22
	s_branch .LBB205_19
.LBB205_23:                             ;   in Loop: Header=BB205_8 Depth=1
	s_or_b32 exec_lo, exec_lo, s11
.LBB205_24:                             ;   in Loop: Header=BB205_8 Depth=1
	s_delay_alu instid0(SALU_CYCLE_1)
	s_mov_b32 s0, exec_lo
	s_waitcnt lgkmcnt(0)
	s_barrier
	buffer_gl0_inv
	v_cmpx_gt_u32_e64 s8, v0
	s_cbranch_execz .LBB205_7
; %bb.25:                               ;   in Loop: Header=BB205_8 Depth=1
	v_dual_mov_b32 v7, v14 :: v_dual_mov_b32 v8, v13
	v_mov_b32_e32 v9, v0
	s_mov_b32 s1, 0
	s_set_inst_prefetch_distance 0x1
	.p2align	6
.LBB205_26:                             ;   Parent Loop BB205_8 Depth=1
                                        ; =>  This Loop Header: Depth=2
                                        ;       Child Loop BB205_27 Depth 3
	s_delay_alu instid0(VALU_DEP_2) | instskip(SKIP_3) | instid1(VALU_DEP_2)
	v_dual_mov_b32 v3, 0 :: v_dual_mov_b32 v10, v7
	v_dual_mov_b32 v4, 0 :: v_dual_mov_b32 v15, v8
	v_mov_b32_e32 v16, v9
	s_mov_b32 s4, 0
	v_dual_mov_b32 v6, v4 :: v_dual_mov_b32 v5, v3
	.p2align	6
.LBB205_27:                             ;   Parent Loop BB205_8 Depth=1
                                        ;     Parent Loop BB205_26 Depth=2
                                        ; =>    This Inner Loop Header: Depth=3
	ds_load_2addr_b64 v[17:20], v10 offset1:1
	ds_load_2addr_b64 v[21:24], v15 offset1:1
	v_add_nc_u32_e32 v16, 1, v16
	v_add_nc_u32_e32 v15, s33, v15
	;; [unrolled: 1-line block ×3, first 2 shown]
	s_delay_alu instid0(VALU_DEP_3) | instskip(SKIP_4) | instid1(VALU_DEP_2)
	v_cmp_le_u32_e32 vcc_lo, s8, v16
	s_or_b32 s4, vcc_lo, s4
	s_waitcnt lgkmcnt(0)
	v_mul_f64 v[25:26], v[19:20], v[23:24]
	v_mul_f64 v[23:24], v[17:18], v[23:24]
	v_fma_f64 v[17:18], v[17:18], v[21:22], -v[25:26]
	s_delay_alu instid0(VALU_DEP_2) | instskip(NEXT) | instid1(VALU_DEP_2)
	v_fma_f64 v[19:20], v[19:20], v[21:22], v[23:24]
	v_add_f64 v[3:4], v[3:4], v[17:18]
	s_delay_alu instid0(VALU_DEP_2)
	v_add_f64 v[5:6], v[5:6], v[19:20]
	s_and_not1_b32 exec_lo, exec_lo, s4
	s_cbranch_execnz .LBB205_27
; %bb.28:                               ;   in Loop: Header=BB205_26 Depth=2
	s_or_b32 exec_lo, exec_lo, s4
	v_lshl_add_u32 v10, v9, 4, s39
	v_add_nc_u32_e32 v9, s19, v9
	v_add_nc_u32_e32 v8, s38, v8
	;; [unrolled: 1-line block ×3, first 2 shown]
	ds_store_2addr_b64 v10, v[3:4], v[5:6] offset1:1
	v_cmp_le_u32_e32 vcc_lo, s8, v9
	s_or_b32 s1, vcc_lo, s1
	s_delay_alu instid0(SALU_CYCLE_1)
	s_and_not1_b32 exec_lo, exec_lo, s1
	s_cbranch_execnz .LBB205_26
	s_branch .LBB205_7
.LBB205_29:
	s_and_saveexec_b32 s0, s2
	s_cbranch_execz .LBB205_34
; %bb.30:
	v_add_nc_u32_e32 v1, 16, v11
	s_lshl_b32 s2, s18, 4
	s_add_i32 s1, s3, 1
	s_add_i32 s5, s2, 16
	s_mul_i32 s1, s1, s19
	v_mul_lo_u32 v3, s18, v1
	v_mad_u64_u32 v[1:2], null, v0, s3, v[0:1]
	s_mov_b32 s4, 0
	s_mul_i32 s5, s5, s19
	s_delay_alu instid0(VALU_DEP_2)
	v_add3_u32 v4, v3, v11, 0
	.p2align	6
.LBB205_31:                             ; =>This Loop Header: Depth=1
                                        ;     Child Loop BB205_32 Depth 2
	s_delay_alu instid0(VALU_DEP_1)
	v_dual_mov_b32 v5, v4 :: v_dual_mov_b32 v2, v1
	v_mov_b32_e32 v6, v0
	s_mov_b32 s6, 0
	.p2align	6
.LBB205_32:                             ;   Parent Loop BB205_31 Depth=1
                                        ; =>  This Inner Loop Header: Depth=2
	ds_load_2addr_b64 v[7:10], v5 offset1:1
	v_ashrrev_i32_e32 v3, 31, v2
	v_add_nc_u32_e32 v6, 1, v6
	v_add_nc_u32_e32 v5, s2, v5
	s_delay_alu instid0(VALU_DEP_3) | instskip(NEXT) | instid1(VALU_DEP_3)
	v_lshlrev_b64 v[11:12], 4, v[2:3]
	v_cmp_le_i32_e32 vcc_lo, s18, v6
	v_add_nc_u32_e32 v2, s3, v2
	s_or_b32 s6, vcc_lo, s6
	s_delay_alu instid0(VALU_DEP_3) | instskip(NEXT) | instid1(VALU_DEP_1)
	v_add_co_u32 v11, s0, s28, v11
	v_add_co_ci_u32_e64 v12, s0, s29, v12, s0
	s_waitcnt lgkmcnt(0)
	global_store_b128 v[11:12], v[7:10], off
	s_and_not1_b32 exec_lo, exec_lo, s6
	s_cbranch_execnz .LBB205_32
; %bb.33:                               ;   in Loop: Header=BB205_31 Depth=1
	s_or_b32 exec_lo, exec_lo, s6
	v_add_nc_u32_e32 v0, s19, v0
	v_add_nc_u32_e32 v1, s1, v1
	;; [unrolled: 1-line block ×3, first 2 shown]
	s_delay_alu instid0(VALU_DEP_3) | instskip(SKIP_1) | instid1(SALU_CYCLE_1)
	v_cmp_le_i32_e32 vcc_lo, s18, v0
	s_or_b32 s4, vcc_lo, s4
	s_and_not1_b32 exec_lo, exec_lo, s4
	s_cbranch_execnz .LBB205_31
.LBB205_34:
	s_nop 0
	s_sendmsg sendmsg(MSG_DEALLOC_VGPRS)
	s_endpgm
	.section	.rodata,"a",@progbits
	.p2align	6, 0x0
	.amdhsa_kernel _ZN9rocsolver6v33100L20larft_kernel_forwardI19rocblas_complex_numIdEPS3_EEv15rocblas_storev_iiT0_iilPT_lS8_il
		.amdhsa_group_segment_fixed_size 0
		.amdhsa_private_segment_fixed_size 0
		.amdhsa_kernarg_size 336
		.amdhsa_user_sgpr_count 14
		.amdhsa_user_sgpr_dispatch_ptr 0
		.amdhsa_user_sgpr_queue_ptr 0
		.amdhsa_user_sgpr_kernarg_segment_ptr 1
		.amdhsa_user_sgpr_dispatch_id 0
		.amdhsa_user_sgpr_private_segment_size 0
		.amdhsa_wavefront_size32 1
		.amdhsa_uses_dynamic_stack 0
		.amdhsa_enable_private_segment 0
		.amdhsa_system_sgpr_workgroup_id_x 1
		.amdhsa_system_sgpr_workgroup_id_y 1
		.amdhsa_system_sgpr_workgroup_id_z 0
		.amdhsa_system_sgpr_workgroup_info 0
		.amdhsa_system_vgpr_workitem_id 0
		.amdhsa_next_free_vgpr 27
		.amdhsa_next_free_sgpr 48
		.amdhsa_reserve_vcc 1
		.amdhsa_float_round_mode_32 0
		.amdhsa_float_round_mode_16_64 0
		.amdhsa_float_denorm_mode_32 3
		.amdhsa_float_denorm_mode_16_64 3
		.amdhsa_dx10_clamp 1
		.amdhsa_ieee_mode 1
		.amdhsa_fp16_overflow 0
		.amdhsa_workgroup_processor_mode 1
		.amdhsa_memory_ordered 1
		.amdhsa_forward_progress 0
		.amdhsa_shared_vgpr_count 0
		.amdhsa_exception_fp_ieee_invalid_op 0
		.amdhsa_exception_fp_denorm_src 0
		.amdhsa_exception_fp_ieee_div_zero 0
		.amdhsa_exception_fp_ieee_overflow 0
		.amdhsa_exception_fp_ieee_underflow 0
		.amdhsa_exception_fp_ieee_inexact 0
		.amdhsa_exception_int_div_zero 0
	.end_amdhsa_kernel
	.section	.text._ZN9rocsolver6v33100L20larft_kernel_forwardI19rocblas_complex_numIdEPS3_EEv15rocblas_storev_iiT0_iilPT_lS8_il,"axG",@progbits,_ZN9rocsolver6v33100L20larft_kernel_forwardI19rocblas_complex_numIdEPS3_EEv15rocblas_storev_iiT0_iilPT_lS8_il,comdat
.Lfunc_end205:
	.size	_ZN9rocsolver6v33100L20larft_kernel_forwardI19rocblas_complex_numIdEPS3_EEv15rocblas_storev_iiT0_iilPT_lS8_il, .Lfunc_end205-_ZN9rocsolver6v33100L20larft_kernel_forwardI19rocblas_complex_numIdEPS3_EEv15rocblas_storev_iiT0_iilPT_lS8_il
                                        ; -- End function
	.section	.AMDGPU.csdata,"",@progbits
; Kernel info:
; codeLenInByte = 1928
; NumSgprs: 50
; NumVgprs: 27
; ScratchSize: 0
; MemoryBound: 0
; FloatMode: 240
; IeeeMode: 1
; LDSByteSize: 0 bytes/workgroup (compile time only)
; SGPRBlocks: 6
; VGPRBlocks: 3
; NumSGPRsForWavesPerEU: 50
; NumVGPRsForWavesPerEU: 27
; Occupancy: 16
; WaveLimiterHint : 0
; COMPUTE_PGM_RSRC2:SCRATCH_EN: 0
; COMPUTE_PGM_RSRC2:USER_SGPR: 14
; COMPUTE_PGM_RSRC2:TRAP_HANDLER: 0
; COMPUTE_PGM_RSRC2:TGID_X_EN: 1
; COMPUTE_PGM_RSRC2:TGID_Y_EN: 1
; COMPUTE_PGM_RSRC2:TGID_Z_EN: 0
; COMPUTE_PGM_RSRC2:TIDIG_COMP_CNT: 0
	.section	.text._ZN9rocsolver6v33100L21larft_kernel_backwardI19rocblas_complex_numIdEPS3_EEv15rocblas_storev_iiT0_iilPT_lS8_il,"axG",@progbits,_ZN9rocsolver6v33100L21larft_kernel_backwardI19rocblas_complex_numIdEPS3_EEv15rocblas_storev_iiT0_iilPT_lS8_il,comdat
	.globl	_ZN9rocsolver6v33100L21larft_kernel_backwardI19rocblas_complex_numIdEPS3_EEv15rocblas_storev_iiT0_iilPT_lS8_il ; -- Begin function _ZN9rocsolver6v33100L21larft_kernel_backwardI19rocblas_complex_numIdEPS3_EEv15rocblas_storev_iiT0_iilPT_lS8_il
	.p2align	8
	.type	_ZN9rocsolver6v33100L21larft_kernel_backwardI19rocblas_complex_numIdEPS3_EEv15rocblas_storev_iiT0_iilPT_lS8_il,@function
_ZN9rocsolver6v33100L21larft_kernel_backwardI19rocblas_complex_numIdEPS3_EEv15rocblas_storev_iiT0_iilPT_lS8_il: ; @_ZN9rocsolver6v33100L21larft_kernel_backwardI19rocblas_complex_numIdEPS3_EEv15rocblas_storev_iiT0_iilPT_lS8_il
; %bb.0:
	s_clause 0x4
	s_load_b64 s[20:21], s[0:1], 0x48
	s_load_b128 s[16:19], s[0:1], 0x0
	s_load_b32 s13, s[0:1], 0x5c
	s_load_b256 s[4:11], s[0:1], 0x20
	s_load_b32 s3, s[0:1], 0x40
	s_ashr_i32 s12, s15, 31
	v_add_nc_u32_e32 v10, 1, v0
	v_lshlrev_b32_e32 v11, 4, v0
	s_waitcnt lgkmcnt(0)
	s_mul_i32 s2, s15, s21
	s_mul_hi_u32 s14, s15, s20
	s_mul_i32 s19, s12, s20
	s_add_i32 s2, s14, s2
	s_mul_i32 s20, s15, s20
	s_add_i32 s21, s2, s19
	v_cmp_gt_i32_e64 s2, s18, v0
	s_lshl_b64 s[20:21], s[20:21], 4
	s_and_b32 s19, s13, 0xffff
	s_add_u32 s24, s10, s20
	s_addc_u32 s25, s11, s21
	s_and_saveexec_b32 s10, s2
	s_cbranch_execz .LBB206_5
; %bb.1:
	s_lshl_b32 s11, s18, 4
	v_add_nc_u32_e32 v3, 1, v0
	v_add3_u32 v4, 0, s11, v11
	v_mov_b32_e32 v5, v0
	s_mov_b32 s13, 0
	s_lshl_b32 s14, s19, 4
	.p2align	6
.LBB206_2:                              ; =>This Loop Header: Depth=1
                                        ;     Child Loop BB206_3 Depth 2
	s_delay_alu instid0(VALU_DEP_1)
	v_dual_mov_b32 v1, v5 :: v_dual_mov_b32 v6, v4
	s_mov_b32 s20, 0
	s_mov_b32 s21, 0
	.p2align	6
.LBB206_3:                              ;   Parent Loop BB206_2 Depth=1
                                        ; =>  This Inner Loop Header: Depth=2
	s_delay_alu instid0(VALU_DEP_1) | instskip(SKIP_1) | instid1(VALU_DEP_1)
	v_ashrrev_i32_e32 v2, 31, v1
	s_add_i32 s21, s21, 1
	v_lshlrev_b64 v[7:8], 4, v[1:2]
	v_add_nc_u32_e32 v1, s3, v1
	s_delay_alu instid0(VALU_DEP_2) | instskip(NEXT) | instid1(VALU_DEP_3)
	v_add_co_u32 v7, vcc_lo, s24, v7
	v_add_co_ci_u32_e32 v8, vcc_lo, s25, v8, vcc_lo
	v_cmp_eq_u32_e32 vcc_lo, s21, v3
	global_load_b128 v[12:15], v[7:8], off
	s_or_b32 s20, vcc_lo, s20
	s_waitcnt vmcnt(0)
	ds_store_2addr_b64 v6, v[12:13], v[14:15] offset1:1
	v_add_nc_u32_e32 v6, s11, v6
	s_and_not1_b32 exec_lo, exec_lo, s20
	s_cbranch_execnz .LBB206_3
; %bb.4:                                ;   in Loop: Header=BB206_2 Depth=1
	s_or_b32 exec_lo, exec_lo, s20
	v_add_nc_u32_e32 v5, s19, v5
	v_add_nc_u32_e32 v3, s19, v3
	;; [unrolled: 1-line block ×3, first 2 shown]
	s_delay_alu instid0(VALU_DEP_3) | instskip(SKIP_1) | instid1(SALU_CYCLE_1)
	v_cmp_le_i32_e32 vcc_lo, s18, v5
	s_or_b32 s13, vcc_lo, s13
	s_and_not1_b32 exec_lo, exec_lo, s13
	s_cbranch_execnz .LBB206_2
.LBB206_5:
	s_or_b32 exec_lo, exec_lo, s10
	s_cmp_lt_i32 s18, 2
	s_waitcnt lgkmcnt(0)
	s_barrier
	buffer_gl0_inv
	s_cbranch_scc1 .LBB206_29
; %bb.6:
	s_load_b128 s[20:23], s[0:1], 0x10
	s_mul_i32 s1, s15, s9
	s_mul_hi_u32 s9, s15, s8
	s_mul_i32 s10, s12, s8
	s_add_i32 s1, s9, s1
	s_mul_i32 s0, s15, s8
	s_add_i32 s1, s1, s10
	s_mul_i32 s10, s5, s15
	s_lshl_b64 s[0:1], s[0:1], 4
	s_mul_i32 s11, s4, s12
	s_mul_hi_u32 s9, s4, s15
	s_waitcnt lgkmcnt(0)
	s_ashr_i32 s5, s22, 31
	s_add_u32 s26, s6, s0
	s_addc_u32 s27, s7, s1
	s_lshl_b32 s28, s18, 4
	s_add_i32 s8, s18, -2
	s_sub_i32 s29, s17, s18
	s_add_i32 s30, s28, 0
	s_cmpk_lg_i32 s16, 0xb5
	s_mul_i32 s0, s4, s15
	s_cselect_b32 s31, -1, 0
	s_add_i32 s1, s9, s11
	s_mov_b32 s4, s22
	s_add_i32 s1, s1, s10
	s_lshl_b64 s[4:5], s[4:5], 4
	s_lshl_b64 s[0:1], s[0:1], 4
	s_mov_b32 s9, 0
	s_add_u32 s6, s0, s4
	s_addc_u32 s7, s1, s5
	s_lshl_b64 s[0:1], s[8:9], 4
	s_mov_b32 s4, s23
	s_add_u32 s5, s20, s0
	s_addc_u32 s10, s21, s1
	s_add_u32 s11, s5, s6
	s_addc_u32 s10, s10, s7
	s_ashr_i32 s5, s23, 31
	v_add_co_u32 v1, s11, s11, v11
	s_lshl_b32 s22, s19, 4
	v_add_co_ci_u32_e64 v2, null, s10, 0, s11
	s_lshl_b64 s[10:11], s[4:5], 4
	s_add_u32 s4, s6, s20
	s_addc_u32 s5, s7, s21
	s_add_u32 s20, s4, 8
	s_addc_u32 s21, s5, 0
	;; [unrolled: 2-line block ×3, first 2 shown]
	s_add_i32 s0, s28, 16
	v_mul_lo_u32 v12, v0, s23
	s_mul_i32 s0, s18, s0
	v_add_co_u32 v1, vcc_lo, v1, 16
	s_add_i32 s0, s0, 0
	v_add_co_ci_u32_e32 v2, vcc_lo, 0, v2, vcc_lo
	v_add3_u32 v13, s0, v11, -16
	s_add_i32 s1, s18, -1
	s_mul_i32 s12, s23, s8
	s_mul_i32 s14, s23, s1
	;; [unrolled: 1-line block ×3, first 2 shown]
	s_xor_b32 s36, s28, -16
	s_branch .LBB206_8
.LBB206_7:                              ;   in Loop: Header=BB206_8 Depth=1
	s_set_inst_prefetch_distance 0x2
	s_or_b32 exec_lo, exec_lo, s0
	v_add_co_u32 v1, vcc_lo, v1, -16
	s_add_i32 s0, s8, -1
	v_add_co_ci_u32_e32 v2, vcc_lo, -1, v2, vcc_lo
	v_add_nc_u32_e32 v13, s36, v13
	s_add_u32 s33, s33, -16
	s_addc_u32 s34, s34, -1
	s_sub_i32 s12, s12, s23
	s_sub_i32 s14, s14, s23
	s_cmp_lt_i32 s8, 1
	s_mov_b32 s8, s0
	s_waitcnt lgkmcnt(0)
	s_barrier
	buffer_gl0_inv
	s_cbranch_scc1 .LBB206_29
.LBB206_8:                              ; =>This Loop Header: Depth=1
                                        ;     Child Loop BB206_12 Depth 2
                                        ;       Child Loop BB206_14 Depth 3
                                        ;     Child Loop BB206_20 Depth 2
                                        ;       Child Loop BB206_22 Depth 3
	;; [unrolled: 2-line block ×3, first 2 shown]
	s_not_b32 s37, s8
	s_lshl_b32 s0, s8, 4
	s_mul_i32 s1, s8, s18
	s_add_i32 s37, s37, s18
	s_add_i32 s38, s30, s0
	s_lshl_b32 s0, s1, 4
	s_add_i32 s39, s8, s29
	s_add_i32 s38, s38, s0
	v_cmp_gt_i32_e64 s0, s37, v0
	s_and_b32 vcc_lo, exec_lo, s31
	s_mov_b32 s1, -1
	s_cbranch_vccz .LBB206_16
; %bb.9:                                ;   in Loop: Header=BB206_8 Depth=1
	s_delay_alu instid0(VALU_DEP_1)
	s_and_saveexec_b32 s13, s0
	s_cbranch_execz .LBB206_15
; %bb.10:                               ;   in Loop: Header=BB206_8 Depth=1
	s_cmp_gt_i32 s39, 0
	v_dual_mov_b32 v4, v2 :: v_dual_mov_b32 v3, v1
	s_cselect_b32 s15, -1, 0
	s_lshl_b64 s[0:1], s[8:9], 4
	v_mov_b32_e32 v9, v0
	s_add_u32 s0, s26, s0
	s_addc_u32 s1, s27, s1
	s_mov_b32 s16, 0
	s_load_b128 s[4:7], s[0:1], 0x0
	s_add_i32 s17, s38, 16
	s_branch .LBB206_12
.LBB206_11:                             ;   in Loop: Header=BB206_12 Depth=2
	s_waitcnt lgkmcnt(0)
	s_delay_alu instid0(VALU_DEP_1) | instskip(NEXT) | instid1(VALU_DEP_2)
	v_mul_f64 v[14:15], v[5:6], s[6:7]
	v_mul_f64 v[16:17], v[7:8], s[6:7]
	v_lshlrev_b32_e32 v18, 4, v9
	v_add_nc_u32_e32 v9, s19, v9
	v_add_co_u32 v3, s0, v3, s22
	s_delay_alu instid0(VALU_DEP_1) | instskip(NEXT) | instid1(VALU_DEP_3)
	v_add_co_ci_u32_e64 v4, s0, 0, v4, s0
	v_cmp_le_i32_e32 vcc_lo, s37, v9
	s_or_b32 s16, vcc_lo, s16
	v_fma_f64 v[14:15], v[7:8], s[4:5], -v[14:15]
	v_fma_f64 v[16:17], v[5:6], s[4:5], v[16:17]
	v_add_nc_u32_e32 v5, s17, v18
	ds_load_2addr_b64 v[5:8], v5 offset1:1
	s_waitcnt lgkmcnt(0)
	v_add_f64 v[5:6], v[5:6], v[14:15]
	v_add_f64 v[7:8], v[16:17], v[7:8]
	v_add_nc_u32_e32 v14, 0, v18
	ds_store_2addr_b64 v14, v[5:6], v[7:8] offset1:1
	s_and_not1_b32 exec_lo, exec_lo, s16
	s_cbranch_execz .LBB206_15
.LBB206_12:                             ;   Parent Loop BB206_8 Depth=1
                                        ; =>  This Loop Header: Depth=2
                                        ;       Child Loop BB206_14 Depth 3
	v_mov_b32_e32 v5, 0
	v_mov_b32_e32 v6, 0
	s_and_not1_b32 vcc_lo, exec_lo, s15
	s_delay_alu instid0(VALU_DEP_1)
	v_dual_mov_b32 v8, v6 :: v_dual_mov_b32 v7, v5
	s_cbranch_vccnz .LBB206_11
; %bb.13:                               ;   in Loop: Header=BB206_12 Depth=2
	v_mov_b32_e32 v5, 0
	v_mov_b32_e32 v6, 0
	s_mov_b64 s[0:1], 0
	s_mov_b32 s40, 0
	s_delay_alu instid0(VALU_DEP_1)
	v_dual_mov_b32 v8, v6 :: v_dual_mov_b32 v7, v5
	.p2align	6
.LBB206_14:                             ;   Parent Loop BB206_8 Depth=1
                                        ;     Parent Loop BB206_12 Depth=2
                                        ; =>    This Inner Loop Header: Depth=3
	v_add_co_u32 v14, vcc_lo, v3, s0
	v_add_co_ci_u32_e32 v15, vcc_lo, s1, v4, vcc_lo
	s_add_u32 s41, s33, s0
	s_addc_u32 s43, s34, s1
	s_add_u32 s42, s41, -8
	global_load_b128 v[14:17], v[14:15], off
	s_addc_u32 s43, s43, -1
	s_add_i32 s40, s40, 1
	s_load_b128 s[44:47], s[42:43], 0x0
	s_add_u32 s0, s0, s10
	s_addc_u32 s1, s1, s11
	s_cmp_ge_i32 s40, s39
	s_waitcnt vmcnt(0) lgkmcnt(0)
	v_mul_f64 v[18:19], s[46:47], v[16:17]
	v_mul_f64 v[20:21], s[46:47], v[14:15]
	s_delay_alu instid0(VALU_DEP_2) | instskip(NEXT) | instid1(VALU_DEP_2)
	v_fma_f64 v[14:15], s[44:45], v[14:15], v[18:19]
	v_fma_f64 v[16:17], s[44:45], v[16:17], -v[20:21]
	s_delay_alu instid0(VALU_DEP_2) | instskip(NEXT) | instid1(VALU_DEP_2)
	v_add_f64 v[7:8], v[7:8], v[14:15]
	v_add_f64 v[5:6], v[5:6], v[16:17]
	s_cbranch_scc0 .LBB206_14
	s_branch .LBB206_11
.LBB206_15:                             ;   in Loop: Header=BB206_8 Depth=1
	s_or_b32 exec_lo, exec_lo, s13
	s_mov_b32 s1, 0
.LBB206_16:                             ;   in Loop: Header=BB206_8 Depth=1
	s_delay_alu instid0(SALU_CYCLE_1)
	s_and_not1_b32 vcc_lo, exec_lo, s1
	s_cbranch_vccnz .LBB206_24
; %bb.17:                               ;   in Loop: Header=BB206_8 Depth=1
	s_mov_b32 s40, exec_lo
	v_cmpx_gt_i32_e64 s37, v0
	s_cbranch_execz .LBB206_23
; %bb.18:                               ;   in Loop: Header=BB206_8 Depth=1
	s_ashr_i32 s13, s12, 31
	v_mov_b32_e32 v3, v12
	s_lshl_b64 s[0:1], s[12:13], 4
	v_mov_b32_e32 v14, v0
	s_add_u32 s0, s20, s0
	s_addc_u32 s1, s21, s1
	s_ashr_i32 s15, s14, 31
	s_delay_alu instid0(SALU_CYCLE_1) | instskip(SKIP_4) | instid1(SALU_CYCLE_1)
	s_lshl_b64 s[16:17], s[14:15], 4
	s_cmp_gt_i32 s39, 0
	s_mov_b32 s15, 0
	s_cselect_b32 s13, -1, 0
	s_lshl_b64 s[4:5], s[8:9], 4
	s_add_u32 s4, s26, s4
	s_addc_u32 s5, s27, s5
	s_add_i32 s41, s38, 16
	s_load_b128 s[4:7], s[4:5], 0x0
	s_add_u32 s42, s20, s16
	s_addc_u32 s43, s21, s17
	s_branch .LBB206_20
.LBB206_19:                             ;   in Loop: Header=BB206_20 Depth=2
	s_waitcnt lgkmcnt(0)
	s_delay_alu instid0(VALU_DEP_1) | instskip(NEXT) | instid1(VALU_DEP_2)
	v_mul_f64 v[8:9], v[4:5], s[6:7]
	v_mul_f64 v[15:16], v[6:7], s[6:7]
	v_lshlrev_b32_e32 v17, 4, v14
	v_add_nc_u32_e32 v14, s19, v14
	v_add_nc_u32_e32 v3, s35, v3
	s_delay_alu instid0(VALU_DEP_2)
	v_cmp_le_i32_e32 vcc_lo, s37, v14
	s_or_b32 s15, vcc_lo, s15
	v_fma_f64 v[8:9], v[6:7], s[4:5], -v[8:9]
	v_fma_f64 v[15:16], v[4:5], s[4:5], v[15:16]
	v_add_nc_u32_e32 v4, s41, v17
	ds_load_2addr_b64 v[4:7], v4 offset1:1
	s_waitcnt lgkmcnt(0)
	v_add_f64 v[4:5], v[4:5], v[8:9]
	v_add_f64 v[6:7], v[15:16], v[6:7]
	v_add_nc_u32_e32 v8, 0, v17
	ds_store_2addr_b64 v8, v[4:5], v[6:7] offset1:1
	s_and_not1_b32 exec_lo, exec_lo, s15
	s_cbranch_execz .LBB206_23
.LBB206_20:                             ;   Parent Loop BB206_8 Depth=1
                                        ; =>  This Loop Header: Depth=2
                                        ;       Child Loop BB206_22 Depth 3
	v_mov_b32_e32 v4, 0
	v_mov_b32_e32 v5, 0
	s_and_not1_b32 vcc_lo, exec_lo, s13
	s_delay_alu instid0(VALU_DEP_1)
	v_dual_mov_b32 v7, v5 :: v_dual_mov_b32 v6, v4
	s_cbranch_vccnz .LBB206_19
; %bb.21:                               ;   in Loop: Header=BB206_20 Depth=2
	v_ashrrev_i32_e32 v4, 31, v3
	s_mov_b32 s44, 0
	s_mov_b64 s[16:17], s[0:1]
	s_delay_alu instid0(VALU_DEP_1) | instskip(SKIP_2) | instid1(VALU_DEP_3)
	v_lshlrev_b64 v[6:7], 4, v[3:4]
	v_mov_b32_e32 v4, 0
	v_mov_b32_e32 v5, 0
	v_add_co_u32 v8, vcc_lo, s42, v6
	s_delay_alu instid0(VALU_DEP_4) | instskip(NEXT) | instid1(VALU_DEP_3)
	v_add_co_ci_u32_e32 v9, vcc_lo, s43, v7, vcc_lo
	v_dual_mov_b32 v7, v5 :: v_dual_mov_b32 v6, v4
	.p2align	6
.LBB206_22:                             ;   Parent Loop BB206_8 Depth=1
                                        ;     Parent Loop BB206_20 Depth=2
                                        ; =>    This Inner Loop Header: Depth=3
	global_load_b128 v[15:18], v[8:9], off offset:-8
	s_add_u32 s46, s16, -8
	s_addc_u32 s47, s17, -1
	v_add_co_u32 v8, vcc_lo, v8, 16
	s_load_b128 s[48:51], s[46:47], 0x0
	v_add_co_ci_u32_e32 v9, vcc_lo, 0, v9, vcc_lo
	s_add_i32 s44, s44, 1
	s_add_u32 s16, s16, 16
	s_addc_u32 s17, s17, 0
	s_cmp_ge_i32 s44, s39
	s_waitcnt vmcnt(0) lgkmcnt(0)
	v_mul_f64 v[19:20], v[17:18], s[50:51]
	v_mul_f64 v[17:18], v[17:18], s[48:49]
	s_delay_alu instid0(VALU_DEP_2) | instskip(NEXT) | instid1(VALU_DEP_2)
	v_fma_f64 v[19:20], v[15:16], s[48:49], v[19:20]
	v_fma_f64 v[15:16], v[15:16], s[50:51], -v[17:18]
	s_delay_alu instid0(VALU_DEP_2) | instskip(NEXT) | instid1(VALU_DEP_2)
	v_add_f64 v[6:7], v[6:7], v[19:20]
	v_add_f64 v[4:5], v[4:5], v[15:16]
	s_cbranch_scc0 .LBB206_22
	s_branch .LBB206_19
.LBB206_23:                             ;   in Loop: Header=BB206_8 Depth=1
	s_or_b32 exec_lo, exec_lo, s40
.LBB206_24:                             ;   in Loop: Header=BB206_8 Depth=1
	s_delay_alu instid0(SALU_CYCLE_1)
	s_mov_b32 s0, exec_lo
	s_waitcnt lgkmcnt(0)
	s_barrier
	buffer_gl0_inv
	v_cmpx_gt_i32_e64 s37, v0
	s_cbranch_execz .LBB206_7
; %bb.25:                               ;   in Loop: Header=BB206_8 Depth=1
	v_dual_mov_b32 v7, v13 :: v_dual_mov_b32 v8, v0
	s_add_i32 s38, s38, 16
	s_mov_b32 s1, 0
	s_set_inst_prefetch_distance 0x1
	.p2align	6
.LBB206_26:                             ;   Parent Loop BB206_8 Depth=1
                                        ; =>  This Loop Header: Depth=2
                                        ;       Child Loop BB206_27 Depth 3
	v_mov_b32_e32 v3, 0
	v_dual_mov_b32 v4, 0 :: v_dual_mov_b32 v9, v7
	s_mov_b32 s5, -1
	s_mov_b32 s4, 0
	s_mov_b32 s6, 0
	s_delay_alu instid0(VALU_DEP_1)
	v_dual_mov_b32 v6, v4 :: v_dual_mov_b32 v5, v3
	.p2align	6
.LBB206_27:                             ;   Parent Loop BB206_8 Depth=1
                                        ;     Parent Loop BB206_26 Depth=2
                                        ; =>    This Inner Loop Header: Depth=3
	v_mov_b32_e32 v18, s6
	s_add_i32 s5, s5, 1
	s_add_i32 s6, s6, 16
	v_cmp_eq_u32_e32 vcc_lo, s5, v8
	ds_load_2addr_b64 v[14:17], v9 offset1:1
	ds_load_2addr_b64 v[18:21], v18 offset1:1
	v_add_nc_u32_e32 v9, s28, v9
	s_or_b32 s4, vcc_lo, s4
	s_waitcnt lgkmcnt(0)
	v_mul_f64 v[22:23], v[20:21], v[16:17]
	v_mul_f64 v[16:17], v[18:19], v[16:17]
	s_delay_alu instid0(VALU_DEP_2) | instskip(NEXT) | instid1(VALU_DEP_2)
	v_fma_f64 v[18:19], v[18:19], v[14:15], -v[22:23]
	v_fma_f64 v[14:15], v[20:21], v[14:15], v[16:17]
	s_delay_alu instid0(VALU_DEP_2) | instskip(NEXT) | instid1(VALU_DEP_2)
	v_add_f64 v[3:4], v[3:4], v[18:19]
	v_add_f64 v[5:6], v[5:6], v[14:15]
	s_and_not1_b32 exec_lo, exec_lo, s4
	s_cbranch_execnz .LBB206_27
; %bb.28:                               ;   in Loop: Header=BB206_26 Depth=2
	s_or_b32 exec_lo, exec_lo, s4
	v_lshl_add_u32 v9, v8, 4, s38
	v_add_nc_u32_e32 v8, s19, v8
	v_add_nc_u32_e32 v7, s22, v7
	ds_store_2addr_b64 v9, v[3:4], v[5:6] offset1:1
	v_cmp_le_i32_e32 vcc_lo, s37, v8
	s_or_b32 s1, vcc_lo, s1
	s_delay_alu instid0(SALU_CYCLE_1)
	s_and_not1_b32 exec_lo, exec_lo, s1
	s_cbranch_execnz .LBB206_26
	s_branch .LBB206_7
.LBB206_29:
	s_and_saveexec_b32 s0, s2
	s_cbranch_execz .LBB206_34
; %bb.30:
	s_lshl_b32 s1, s18, 4
	s_mov_b32 s2, 0
	v_add3_u32 v3, 0, s1, v11
	s_lshl_b32 s4, s19, 4
	.p2align	6
.LBB206_31:                             ; =>This Loop Header: Depth=1
                                        ;     Child Loop BB206_32 Depth 2
	s_delay_alu instid0(VALU_DEP_1)
	v_dual_mov_b32 v4, v3 :: v_dual_mov_b32 v1, v0
	s_mov_b32 s5, 0
	s_mov_b32 s6, 0
	.p2align	6
.LBB206_32:                             ;   Parent Loop BB206_31 Depth=1
                                        ; =>  This Inner Loop Header: Depth=2
	ds_load_2addr_b64 v[5:8], v4 offset1:1
	v_ashrrev_i32_e32 v2, 31, v1
	s_add_i32 s6, s6, 1
	v_add_nc_u32_e32 v4, s1, v4
	v_cmp_eq_u32_e32 vcc_lo, s6, v10
	s_delay_alu instid0(VALU_DEP_3) | instskip(SKIP_2) | instid1(VALU_DEP_2)
	v_lshlrev_b64 v[11:12], 4, v[1:2]
	v_add_nc_u32_e32 v1, s3, v1
	s_or_b32 s5, vcc_lo, s5
	v_add_co_u32 v11, s0, s24, v11
	s_delay_alu instid0(VALU_DEP_1)
	v_add_co_ci_u32_e64 v12, s0, s25, v12, s0
	s_waitcnt lgkmcnt(0)
	global_store_b128 v[11:12], v[5:8], off
	s_and_not1_b32 exec_lo, exec_lo, s5
	s_cbranch_execnz .LBB206_32
; %bb.33:                               ;   in Loop: Header=BB206_31 Depth=1
	s_or_b32 exec_lo, exec_lo, s5
	v_add_nc_u32_e32 v0, s19, v0
	v_add_nc_u32_e32 v10, s19, v10
	;; [unrolled: 1-line block ×3, first 2 shown]
	s_delay_alu instid0(VALU_DEP_3) | instskip(SKIP_1) | instid1(SALU_CYCLE_1)
	v_cmp_le_i32_e32 vcc_lo, s18, v0
	s_or_b32 s2, vcc_lo, s2
	s_and_not1_b32 exec_lo, exec_lo, s2
	s_cbranch_execnz .LBB206_31
.LBB206_34:
	s_nop 0
	s_sendmsg sendmsg(MSG_DEALLOC_VGPRS)
	s_endpgm
	.section	.rodata,"a",@progbits
	.p2align	6, 0x0
	.amdhsa_kernel _ZN9rocsolver6v33100L21larft_kernel_backwardI19rocblas_complex_numIdEPS3_EEv15rocblas_storev_iiT0_iilPT_lS8_il
		.amdhsa_group_segment_fixed_size 0
		.amdhsa_private_segment_fixed_size 0
		.amdhsa_kernarg_size 336
		.amdhsa_user_sgpr_count 14
		.amdhsa_user_sgpr_dispatch_ptr 0
		.amdhsa_user_sgpr_queue_ptr 0
		.amdhsa_user_sgpr_kernarg_segment_ptr 1
		.amdhsa_user_sgpr_dispatch_id 0
		.amdhsa_user_sgpr_private_segment_size 0
		.amdhsa_wavefront_size32 1
		.amdhsa_uses_dynamic_stack 0
		.amdhsa_enable_private_segment 0
		.amdhsa_system_sgpr_workgroup_id_x 1
		.amdhsa_system_sgpr_workgroup_id_y 1
		.amdhsa_system_sgpr_workgroup_id_z 0
		.amdhsa_system_sgpr_workgroup_info 0
		.amdhsa_system_vgpr_workitem_id 0
		.amdhsa_next_free_vgpr 24
		.amdhsa_next_free_sgpr 52
		.amdhsa_reserve_vcc 1
		.amdhsa_float_round_mode_32 0
		.amdhsa_float_round_mode_16_64 0
		.amdhsa_float_denorm_mode_32 3
		.amdhsa_float_denorm_mode_16_64 3
		.amdhsa_dx10_clamp 1
		.amdhsa_ieee_mode 1
		.amdhsa_fp16_overflow 0
		.amdhsa_workgroup_processor_mode 1
		.amdhsa_memory_ordered 1
		.amdhsa_forward_progress 0
		.amdhsa_shared_vgpr_count 0
		.amdhsa_exception_fp_ieee_invalid_op 0
		.amdhsa_exception_fp_denorm_src 0
		.amdhsa_exception_fp_ieee_div_zero 0
		.amdhsa_exception_fp_ieee_overflow 0
		.amdhsa_exception_fp_ieee_underflow 0
		.amdhsa_exception_fp_ieee_inexact 0
		.amdhsa_exception_int_div_zero 0
	.end_amdhsa_kernel
	.section	.text._ZN9rocsolver6v33100L21larft_kernel_backwardI19rocblas_complex_numIdEPS3_EEv15rocblas_storev_iiT0_iilPT_lS8_il,"axG",@progbits,_ZN9rocsolver6v33100L21larft_kernel_backwardI19rocblas_complex_numIdEPS3_EEv15rocblas_storev_iiT0_iilPT_lS8_il,comdat
.Lfunc_end206:
	.size	_ZN9rocsolver6v33100L21larft_kernel_backwardI19rocblas_complex_numIdEPS3_EEv15rocblas_storev_iiT0_iilPT_lS8_il, .Lfunc_end206-_ZN9rocsolver6v33100L21larft_kernel_backwardI19rocblas_complex_numIdEPS3_EEv15rocblas_storev_iiT0_iilPT_lS8_il
                                        ; -- End function
	.section	.AMDGPU.csdata,"",@progbits
; Kernel info:
; codeLenInByte = 1952
; NumSgprs: 54
; NumVgprs: 24
; ScratchSize: 0
; MemoryBound: 0
; FloatMode: 240
; IeeeMode: 1
; LDSByteSize: 0 bytes/workgroup (compile time only)
; SGPRBlocks: 6
; VGPRBlocks: 2
; NumSGPRsForWavesPerEU: 54
; NumVGPRsForWavesPerEU: 24
; Occupancy: 16
; WaveLimiterHint : 0
; COMPUTE_PGM_RSRC2:SCRATCH_EN: 0
; COMPUTE_PGM_RSRC2:USER_SGPR: 14
; COMPUTE_PGM_RSRC2:TRAP_HANDLER: 0
; COMPUTE_PGM_RSRC2:TGID_X_EN: 1
; COMPUTE_PGM_RSRC2:TGID_Y_EN: 1
; COMPUTE_PGM_RSRC2:TGID_Z_EN: 0
; COMPUTE_PGM_RSRC2:TIDIG_COMP_CNT: 0
	.section	.text._ZN9rocsolver6v33100L9copymatA1I19rocblas_complex_numIdEPS3_EEviiT0_iilPT_,"axG",@progbits,_ZN9rocsolver6v33100L9copymatA1I19rocblas_complex_numIdEPS3_EEviiT0_iilPT_,comdat
	.globl	_ZN9rocsolver6v33100L9copymatA1I19rocblas_complex_numIdEPS3_EEviiT0_iilPT_ ; -- Begin function _ZN9rocsolver6v33100L9copymatA1I19rocblas_complex_numIdEPS3_EEviiT0_iilPT_
	.p2align	8
	.type	_ZN9rocsolver6v33100L9copymatA1I19rocblas_complex_numIdEPS3_EEviiT0_iilPT_,@function
_ZN9rocsolver6v33100L9copymatA1I19rocblas_complex_numIdEPS3_EEviiT0_iilPT_: ; @_ZN9rocsolver6v33100L9copymatA1I19rocblas_complex_numIdEPS3_EEviiT0_iilPT_
; %bb.0:
	s_clause 0x1
	s_load_b32 s2, s[0:1], 0x34
	s_load_b64 s[8:9], s[0:1], 0x0
	v_bfe_u32 v2, v0, 10, 10
	v_and_b32_e32 v3, 0x3ff, v0
	s_waitcnt lgkmcnt(0)
	s_lshr_b32 s3, s2, 16
	s_and_b32 s2, s2, 0xffff
	s_delay_alu instid0(VALU_DEP_1) | instskip(SKIP_1) | instid1(VALU_DEP_2)
	v_mad_u64_u32 v[0:1], null, s14, s3, v[2:3]
	v_mad_u64_u32 v[1:2], null, s13, s2, v[3:4]
	v_cmp_gt_u32_e32 vcc_lo, s8, v0
	s_delay_alu instid0(VALU_DEP_2) | instskip(NEXT) | instid1(VALU_DEP_1)
	v_cmp_gt_u32_e64 s2, s9, v1
	s_and_b32 s2, s2, vcc_lo
	s_delay_alu instid0(SALU_CYCLE_1)
	s_and_saveexec_b32 s3, s2
	s_cbranch_execz .LBB207_2
; %bb.1:
	s_load_b256 s[0:7], s[0:1], 0x8
	s_ashr_i32 s10, s8, 31
	s_ashr_i32 s11, s9, 31
	s_mul_hi_u32 s12, s8, s15
	s_mul_i32 s13, s8, s15
	s_mul_i32 s10, s10, s15
	s_mul_i32 s11, s13, s11
	s_mul_hi_u32 s14, s13, s9
	s_add_i32 s10, s12, s10
	s_add_i32 s11, s14, s11
	s_mul_i32 s12, s10, s9
	s_mul_i32 s10, s13, s9
	s_add_i32 s11, s11, s12
	v_mad_u64_u32 v[7:8], null, v1, s8, v[0:1]
	s_lshl_b64 s[10:11], s[10:11], 4
	s_waitcnt lgkmcnt(0)
	v_mad_u64_u32 v[5:6], null, v1, s3, v[0:1]
	s_add_u32 s9, s6, s10
	s_mul_i32 s5, s15, s5
	s_mul_hi_u32 s10, s15, s4
	v_mov_b32_e32 v6, 0
	s_mul_i32 s4, s15, s4
	s_addc_u32 s3, s7, s11
	s_add_i32 s5, s10, s5
	s_mov_b32 s6, s2
	s_lshl_b64 s[4:5], s[4:5], 4
	s_ashr_i32 s7, s2, 31
	v_lshlrev_b64 v[2:3], 4, v[5:6]
	s_add_u32 s2, s0, s4
	s_addc_u32 s4, s1, s5
	s_lshl_b64 s[0:1], s[6:7], 4
	v_mov_b32_e32 v8, v6
	s_add_u32 s0, s2, s0
	s_addc_u32 s1, s4, s1
	v_add_co_u32 v2, vcc_lo, s0, v2
	v_add_co_ci_u32_e32 v3, vcc_lo, s1, v3, vcc_lo
	v_lshlrev_b64 v[0:1], 4, v[7:8]
	global_load_b128 v[2:5], v[2:3], off
	v_add_co_u32 v0, vcc_lo, s9, v0
	v_add_co_ci_u32_e32 v1, vcc_lo, s3, v1, vcc_lo
	s_waitcnt vmcnt(0)
	global_store_b128 v[0:1], v[2:5], off
.LBB207_2:
	s_nop 0
	s_sendmsg sendmsg(MSG_DEALLOC_VGPRS)
	s_endpgm
	.section	.rodata,"a",@progbits
	.p2align	6, 0x0
	.amdhsa_kernel _ZN9rocsolver6v33100L9copymatA1I19rocblas_complex_numIdEPS3_EEviiT0_iilPT_
		.amdhsa_group_segment_fixed_size 0
		.amdhsa_private_segment_fixed_size 0
		.amdhsa_kernarg_size 296
		.amdhsa_user_sgpr_count 13
		.amdhsa_user_sgpr_dispatch_ptr 0
		.amdhsa_user_sgpr_queue_ptr 0
		.amdhsa_user_sgpr_kernarg_segment_ptr 1
		.amdhsa_user_sgpr_dispatch_id 0
		.amdhsa_user_sgpr_private_segment_size 0
		.amdhsa_wavefront_size32 1
		.amdhsa_uses_dynamic_stack 0
		.amdhsa_enable_private_segment 0
		.amdhsa_system_sgpr_workgroup_id_x 1
		.amdhsa_system_sgpr_workgroup_id_y 1
		.amdhsa_system_sgpr_workgroup_id_z 1
		.amdhsa_system_sgpr_workgroup_info 0
		.amdhsa_system_vgpr_workitem_id 1
		.amdhsa_next_free_vgpr 9
		.amdhsa_next_free_sgpr 16
		.amdhsa_reserve_vcc 1
		.amdhsa_float_round_mode_32 0
		.amdhsa_float_round_mode_16_64 0
		.amdhsa_float_denorm_mode_32 3
		.amdhsa_float_denorm_mode_16_64 3
		.amdhsa_dx10_clamp 1
		.amdhsa_ieee_mode 1
		.amdhsa_fp16_overflow 0
		.amdhsa_workgroup_processor_mode 1
		.amdhsa_memory_ordered 1
		.amdhsa_forward_progress 0
		.amdhsa_shared_vgpr_count 0
		.amdhsa_exception_fp_ieee_invalid_op 0
		.amdhsa_exception_fp_denorm_src 0
		.amdhsa_exception_fp_ieee_div_zero 0
		.amdhsa_exception_fp_ieee_overflow 0
		.amdhsa_exception_fp_ieee_underflow 0
		.amdhsa_exception_fp_ieee_inexact 0
		.amdhsa_exception_int_div_zero 0
	.end_amdhsa_kernel
	.section	.text._ZN9rocsolver6v33100L9copymatA1I19rocblas_complex_numIdEPS3_EEviiT0_iilPT_,"axG",@progbits,_ZN9rocsolver6v33100L9copymatA1I19rocblas_complex_numIdEPS3_EEviiT0_iilPT_,comdat
.Lfunc_end207:
	.size	_ZN9rocsolver6v33100L9copymatA1I19rocblas_complex_numIdEPS3_EEviiT0_iilPT_, .Lfunc_end207-_ZN9rocsolver6v33100L9copymatA1I19rocblas_complex_numIdEPS3_EEviiT0_iilPT_
                                        ; -- End function
	.section	.AMDGPU.csdata,"",@progbits
; Kernel info:
; codeLenInByte = 320
; NumSgprs: 18
; NumVgprs: 9
; ScratchSize: 0
; MemoryBound: 0
; FloatMode: 240
; IeeeMode: 1
; LDSByteSize: 0 bytes/workgroup (compile time only)
; SGPRBlocks: 2
; VGPRBlocks: 1
; NumSGPRsForWavesPerEU: 18
; NumVGPRsForWavesPerEU: 9
; Occupancy: 16
; WaveLimiterHint : 0
; COMPUTE_PGM_RSRC2:SCRATCH_EN: 0
; COMPUTE_PGM_RSRC2:USER_SGPR: 13
; COMPUTE_PGM_RSRC2:TRAP_HANDLER: 0
; COMPUTE_PGM_RSRC2:TGID_X_EN: 1
; COMPUTE_PGM_RSRC2:TGID_Y_EN: 1
; COMPUTE_PGM_RSRC2:TGID_Z_EN: 1
; COMPUTE_PGM_RSRC2:TIDIG_COMP_CNT: 1
	.section	.text._ZN9rocsolver6v33100L8addmatA1I19rocblas_complex_numIdEPS3_EEviiT0_iilPT_,"axG",@progbits,_ZN9rocsolver6v33100L8addmatA1I19rocblas_complex_numIdEPS3_EEviiT0_iilPT_,comdat
	.globl	_ZN9rocsolver6v33100L8addmatA1I19rocblas_complex_numIdEPS3_EEviiT0_iilPT_ ; -- Begin function _ZN9rocsolver6v33100L8addmatA1I19rocblas_complex_numIdEPS3_EEviiT0_iilPT_
	.p2align	8
	.type	_ZN9rocsolver6v33100L8addmatA1I19rocblas_complex_numIdEPS3_EEviiT0_iilPT_,@function
_ZN9rocsolver6v33100L8addmatA1I19rocblas_complex_numIdEPS3_EEviiT0_iilPT_: ; @_ZN9rocsolver6v33100L8addmatA1I19rocblas_complex_numIdEPS3_EEviiT0_iilPT_
; %bb.0:
	s_clause 0x1
	s_load_b32 s2, s[0:1], 0x34
	s_load_b64 s[8:9], s[0:1], 0x0
	v_bfe_u32 v2, v0, 10, 10
	v_and_b32_e32 v3, 0x3ff, v0
	s_waitcnt lgkmcnt(0)
	s_lshr_b32 s3, s2, 16
	s_and_b32 s2, s2, 0xffff
	s_delay_alu instid0(VALU_DEP_1) | instskip(SKIP_1) | instid1(VALU_DEP_2)
	v_mad_u64_u32 v[0:1], null, s14, s3, v[2:3]
	v_mad_u64_u32 v[1:2], null, s13, s2, v[3:4]
	v_cmp_gt_u32_e32 vcc_lo, s8, v0
	s_delay_alu instid0(VALU_DEP_2) | instskip(NEXT) | instid1(VALU_DEP_1)
	v_cmp_gt_u32_e64 s2, s9, v1
	s_and_b32 s2, s2, vcc_lo
	s_delay_alu instid0(SALU_CYCLE_1)
	s_and_saveexec_b32 s3, s2
	s_cbranch_execz .LBB208_2
; %bb.1:
	s_load_b256 s[0:7], s[0:1], 0x8
	s_ashr_i32 s10, s8, 31
	s_ashr_i32 s11, s9, 31
	s_mul_hi_u32 s12, s8, s15
	s_mul_i32 s13, s8, s15
	s_mul_i32 s10, s10, s15
	;; [unrolled: 1-line block ×3, first 2 shown]
	s_mul_hi_u32 s14, s13, s9
	s_add_i32 s10, s12, s10
	s_add_i32 s11, s14, s11
	s_mul_i32 s12, s10, s9
	v_mad_u64_u32 v[2:3], null, v1, s8, v[0:1]
	v_mov_b32_e32 v3, 0
	s_mul_i32 s10, s13, s9
	s_add_i32 s11, s11, s12
	s_delay_alu instid0(SALU_CYCLE_1)
	s_lshl_b64 s[8:9], s[10:11], 4
	s_waitcnt lgkmcnt(0)
	v_mad_u64_u32 v[4:5], null, v1, s3, v[0:1]
	s_add_u32 s8, s6, s8
	s_mul_i32 s5, s15, s5
	s_mul_hi_u32 s6, s15, s4
	v_mov_b32_e32 v5, v3
	s_mul_i32 s4, s15, s4
	s_addc_u32 s9, s7, s9
	s_add_i32 s5, s6, s5
	v_lshlrev_b64 v[0:1], 4, v[2:3]
	s_lshl_b64 s[4:5], s[4:5], 4
	s_mov_b32 s6, s2
	s_ashr_i32 s7, s2, 31
	v_lshlrev_b64 v[2:3], 4, v[4:5]
	s_add_u32 s2, s0, s4
	s_addc_u32 s3, s1, s5
	s_lshl_b64 s[0:1], s[6:7], 4
	v_add_co_u32 v0, vcc_lo, s8, v0
	s_add_u32 s0, s2, s0
	v_add_co_ci_u32_e32 v1, vcc_lo, s9, v1, vcc_lo
	s_addc_u32 s1, s3, s1
	v_add_co_u32 v8, vcc_lo, s0, v2
	v_add_co_ci_u32_e32 v9, vcc_lo, s1, v3, vcc_lo
	global_load_b128 v[0:3], v[0:1], off
	global_load_b128 v[4:7], v[8:9], off
	s_waitcnt vmcnt(0)
	v_add_f64 v[0:1], v[4:5], -v[0:1]
	v_add_f64 v[2:3], v[6:7], -v[2:3]
	global_store_b128 v[8:9], v[0:3], off
.LBB208_2:
	s_nop 0
	s_sendmsg sendmsg(MSG_DEALLOC_VGPRS)
	s_endpgm
	.section	.rodata,"a",@progbits
	.p2align	6, 0x0
	.amdhsa_kernel _ZN9rocsolver6v33100L8addmatA1I19rocblas_complex_numIdEPS3_EEviiT0_iilPT_
		.amdhsa_group_segment_fixed_size 0
		.amdhsa_private_segment_fixed_size 0
		.amdhsa_kernarg_size 296
		.amdhsa_user_sgpr_count 13
		.amdhsa_user_sgpr_dispatch_ptr 0
		.amdhsa_user_sgpr_queue_ptr 0
		.amdhsa_user_sgpr_kernarg_segment_ptr 1
		.amdhsa_user_sgpr_dispatch_id 0
		.amdhsa_user_sgpr_private_segment_size 0
		.amdhsa_wavefront_size32 1
		.amdhsa_uses_dynamic_stack 0
		.amdhsa_enable_private_segment 0
		.amdhsa_system_sgpr_workgroup_id_x 1
		.amdhsa_system_sgpr_workgroup_id_y 1
		.amdhsa_system_sgpr_workgroup_id_z 1
		.amdhsa_system_sgpr_workgroup_info 0
		.amdhsa_system_vgpr_workitem_id 1
		.amdhsa_next_free_vgpr 10
		.amdhsa_next_free_sgpr 16
		.amdhsa_reserve_vcc 1
		.amdhsa_float_round_mode_32 0
		.amdhsa_float_round_mode_16_64 0
		.amdhsa_float_denorm_mode_32 3
		.amdhsa_float_denorm_mode_16_64 3
		.amdhsa_dx10_clamp 1
		.amdhsa_ieee_mode 1
		.amdhsa_fp16_overflow 0
		.amdhsa_workgroup_processor_mode 1
		.amdhsa_memory_ordered 1
		.amdhsa_forward_progress 0
		.amdhsa_shared_vgpr_count 0
		.amdhsa_exception_fp_ieee_invalid_op 0
		.amdhsa_exception_fp_denorm_src 0
		.amdhsa_exception_fp_ieee_div_zero 0
		.amdhsa_exception_fp_ieee_overflow 0
		.amdhsa_exception_fp_ieee_underflow 0
		.amdhsa_exception_fp_ieee_inexact 0
		.amdhsa_exception_int_div_zero 0
	.end_amdhsa_kernel
	.section	.text._ZN9rocsolver6v33100L8addmatA1I19rocblas_complex_numIdEPS3_EEviiT0_iilPT_,"axG",@progbits,_ZN9rocsolver6v33100L8addmatA1I19rocblas_complex_numIdEPS3_EEviiT0_iilPT_,comdat
.Lfunc_end208:
	.size	_ZN9rocsolver6v33100L8addmatA1I19rocblas_complex_numIdEPS3_EEviiT0_iilPT_, .Lfunc_end208-_ZN9rocsolver6v33100L8addmatA1I19rocblas_complex_numIdEPS3_EEviiT0_iilPT_
                                        ; -- End function
	.section	.AMDGPU.csdata,"",@progbits
; Kernel info:
; codeLenInByte = 348
; NumSgprs: 18
; NumVgprs: 10
; ScratchSize: 0
; MemoryBound: 0
; FloatMode: 240
; IeeeMode: 1
; LDSByteSize: 0 bytes/workgroup (compile time only)
; SGPRBlocks: 2
; VGPRBlocks: 1
; NumSGPRsForWavesPerEU: 18
; NumVGPRsForWavesPerEU: 10
; Occupancy: 16
; WaveLimiterHint : 0
; COMPUTE_PGM_RSRC2:SCRATCH_EN: 0
; COMPUTE_PGM_RSRC2:USER_SGPR: 13
; COMPUTE_PGM_RSRC2:TRAP_HANDLER: 0
; COMPUTE_PGM_RSRC2:TGID_X_EN: 1
; COMPUTE_PGM_RSRC2:TGID_Y_EN: 1
; COMPUTE_PGM_RSRC2:TGID_Z_EN: 1
; COMPUTE_PGM_RSRC2:TIDIG_COMP_CNT: 1
	.section	.text._ZN9rocsolver6v33100L8copy_matI19rocblas_complex_numIdEPS3_S4_NS0_7no_maskEEEviiT0_iilT1_iilT2_13rocblas_fill_17rocblas_diagonal_,"axG",@progbits,_ZN9rocsolver6v33100L8copy_matI19rocblas_complex_numIdEPS3_S4_NS0_7no_maskEEEviiT0_iilT1_iilT2_13rocblas_fill_17rocblas_diagonal_,comdat
	.globl	_ZN9rocsolver6v33100L8copy_matI19rocblas_complex_numIdEPS3_S4_NS0_7no_maskEEEviiT0_iilT1_iilT2_13rocblas_fill_17rocblas_diagonal_ ; -- Begin function _ZN9rocsolver6v33100L8copy_matI19rocblas_complex_numIdEPS3_S4_NS0_7no_maskEEEviiT0_iilT1_iilT2_13rocblas_fill_17rocblas_diagonal_
	.p2align	8
	.type	_ZN9rocsolver6v33100L8copy_matI19rocblas_complex_numIdEPS3_S4_NS0_7no_maskEEEviiT0_iilT1_iilT2_13rocblas_fill_17rocblas_diagonal_,@function
_ZN9rocsolver6v33100L8copy_matI19rocblas_complex_numIdEPS3_S4_NS0_7no_maskEEEviiT0_iilT1_iilT2_13rocblas_fill_17rocblas_diagonal_: ; @_ZN9rocsolver6v33100L8copy_matI19rocblas_complex_numIdEPS3_S4_NS0_7no_maskEEEviiT0_iilT1_iilT2_13rocblas_fill_17rocblas_diagonal_
; %bb.0:
	s_clause 0x1
	s_load_b32 s4, s[0:1], 0x54
	s_load_b64 s[2:3], s[0:1], 0x0
	v_and_b32_e32 v2, 0x3ff, v0
	v_bfe_u32 v3, v0, 10, 10
	s_waitcnt lgkmcnt(0)
	s_lshr_b32 s5, s4, 16
	s_and_b32 s4, s4, 0xffff
	s_delay_alu instid0(VALU_DEP_1) | instid1(SALU_CYCLE_1)
	v_mad_u64_u32 v[0:1], null, s13, s4, v[2:3]
	v_mad_u64_u32 v[1:2], null, s14, s5, v[3:4]
	s_delay_alu instid0(VALU_DEP_2) | instskip(NEXT) | instid1(VALU_DEP_2)
	v_cmp_gt_u32_e32 vcc_lo, s2, v0
	v_cmp_gt_u32_e64 s2, s3, v1
	s_delay_alu instid0(VALU_DEP_1) | instskip(NEXT) | instid1(SALU_CYCLE_1)
	s_and_b32 s2, s2, vcc_lo
	s_and_saveexec_b32 s3, s2
	s_cbranch_execz .LBB209_14
; %bb.1:
	s_load_b64 s[4:5], s[0:1], 0x3c
	s_waitcnt lgkmcnt(0)
	s_cmpk_lt_i32 s4, 0x7a
	s_cbranch_scc1 .LBB209_4
; %bb.2:
	s_cmpk_gt_i32 s4, 0x7a
	s_cbranch_scc0 .LBB209_5
; %bb.3:
	s_cmpk_lg_i32 s4, 0x7b
	s_mov_b32 s3, -1
	s_cselect_b32 s6, -1, 0
	s_cbranch_execz .LBB209_6
	s_branch .LBB209_7
.LBB209_4:
	s_mov_b32 s6, 0
	s_mov_b32 s3, 0
	s_cbranch_execnz .LBB209_8
	s_branch .LBB209_10
.LBB209_5:
	s_mov_b32 s3, 0
	s_mov_b32 s6, 0
.LBB209_6:
	v_cmp_gt_u32_e32 vcc_lo, v0, v1
	v_cmp_le_u32_e64 s2, v0, v1
	s_and_not1_b32 s3, s3, exec_lo
	s_and_not1_b32 s6, s6, exec_lo
	s_and_b32 s7, vcc_lo, exec_lo
	s_delay_alu instid0(VALU_DEP_1)
	s_and_b32 s2, s2, exec_lo
	s_or_b32 s3, s3, s7
	s_or_b32 s6, s6, s2
.LBB209_7:
	s_branch .LBB209_10
.LBB209_8:
	s_cmpk_eq_i32 s4, 0x79
	s_mov_b32 s6, -1
	s_cbranch_scc0 .LBB209_10
; %bb.9:
	v_cmp_gt_u32_e32 vcc_lo, v1, v0
	v_cmp_le_u32_e64 s2, v1, v0
	s_and_not1_b32 s3, s3, exec_lo
	s_and_b32 s4, vcc_lo, exec_lo
	s_delay_alu instid0(VALU_DEP_1)
	s_or_not1_b32 s6, s2, exec_lo
	s_or_b32 s3, s3, s4
.LBB209_10:
	s_and_saveexec_b32 s2, s6
; %bb.11:
	v_cmp_eq_u32_e32 vcc_lo, v0, v1
	s_cmpk_eq_i32 s5, 0x83
	s_cselect_b32 s4, -1, 0
	s_and_not1_b32 s3, s3, exec_lo
	s_and_b32 s4, s4, vcc_lo
	s_delay_alu instid0(SALU_CYCLE_1) | instskip(NEXT) | instid1(SALU_CYCLE_1)
	s_and_b32 s4, s4, exec_lo
	s_or_b32 s3, s3, s4
; %bb.12:
	s_or_b32 exec_lo, exec_lo, s2
	s_delay_alu instid0(SALU_CYCLE_1)
	s_and_b32 exec_lo, exec_lo, s3
	s_cbranch_execz .LBB209_14
; %bb.13:
	s_load_b256 s[4:11], s[0:1], 0x8
	s_waitcnt lgkmcnt(0)
	v_mad_u64_u32 v[5:6], null, v1, s7, v[0:1]
	s_mul_i32 s2, s15, s9
	s_mul_hi_u32 s9, s15, s8
	v_mov_b32_e32 v6, 0
	s_mul_i32 s8, s15, s8
	s_add_i32 s9, s9, s2
	s_ashr_i32 s3, s6, 31
	s_lshl_b64 s[8:9], s[8:9], 4
	s_mov_b32 s2, s6
	v_lshlrev_b64 v[2:3], 4, v[5:6]
	s_add_u32 s4, s4, s8
	s_addc_u32 s5, s5, s9
	s_lshl_b64 s[2:3], s[2:3], 4
	s_delay_alu instid0(SALU_CYCLE_1)
	s_add_u32 s2, s4, s2
	s_addc_u32 s3, s5, s3
	v_add_co_u32 v2, vcc_lo, s2, v2
	v_add_co_ci_u32_e32 v3, vcc_lo, s3, v3, vcc_lo
	s_load_b128 s[0:3], s[0:1], 0x28
	global_load_b128 v[2:5], v[2:3], off
	s_waitcnt lgkmcnt(0)
	v_mad_u64_u32 v[7:8], null, v1, s1, v[0:1]
	s_mul_i32 s3, s15, s3
	s_mul_hi_u32 s4, s15, s2
	v_mov_b32_e32 v8, v6
	s_add_i32 s3, s4, s3
	s_mul_i32 s2, s15, s2
	s_ashr_i32 s5, s0, 31
	s_lshl_b64 s[2:3], s[2:3], 4
	s_mov_b32 s4, s0
	v_lshlrev_b64 v[0:1], 4, v[7:8]
	s_add_u32 s2, s10, s2
	s_addc_u32 s3, s11, s3
	s_lshl_b64 s[0:1], s[4:5], 4
	s_delay_alu instid0(SALU_CYCLE_1)
	s_add_u32 s0, s2, s0
	s_addc_u32 s1, s3, s1
	v_add_co_u32 v0, vcc_lo, s0, v0
	v_add_co_ci_u32_e32 v1, vcc_lo, s1, v1, vcc_lo
	s_waitcnt vmcnt(0)
	global_store_b128 v[0:1], v[2:5], off
.LBB209_14:
	s_nop 0
	s_sendmsg sendmsg(MSG_DEALLOC_VGPRS)
	s_endpgm
	.section	.rodata,"a",@progbits
	.p2align	6, 0x0
	.amdhsa_kernel _ZN9rocsolver6v33100L8copy_matI19rocblas_complex_numIdEPS3_S4_NS0_7no_maskEEEviiT0_iilT1_iilT2_13rocblas_fill_17rocblas_diagonal_
		.amdhsa_group_segment_fixed_size 0
		.amdhsa_private_segment_fixed_size 0
		.amdhsa_kernarg_size 328
		.amdhsa_user_sgpr_count 13
		.amdhsa_user_sgpr_dispatch_ptr 0
		.amdhsa_user_sgpr_queue_ptr 0
		.amdhsa_user_sgpr_kernarg_segment_ptr 1
		.amdhsa_user_sgpr_dispatch_id 0
		.amdhsa_user_sgpr_private_segment_size 0
		.amdhsa_wavefront_size32 1
		.amdhsa_uses_dynamic_stack 0
		.amdhsa_enable_private_segment 0
		.amdhsa_system_sgpr_workgroup_id_x 1
		.amdhsa_system_sgpr_workgroup_id_y 1
		.amdhsa_system_sgpr_workgroup_id_z 1
		.amdhsa_system_sgpr_workgroup_info 0
		.amdhsa_system_vgpr_workitem_id 1
		.amdhsa_next_free_vgpr 9
		.amdhsa_next_free_sgpr 16
		.amdhsa_reserve_vcc 1
		.amdhsa_float_round_mode_32 0
		.amdhsa_float_round_mode_16_64 0
		.amdhsa_float_denorm_mode_32 3
		.amdhsa_float_denorm_mode_16_64 3
		.amdhsa_dx10_clamp 1
		.amdhsa_ieee_mode 1
		.amdhsa_fp16_overflow 0
		.amdhsa_workgroup_processor_mode 1
		.amdhsa_memory_ordered 1
		.amdhsa_forward_progress 0
		.amdhsa_shared_vgpr_count 0
		.amdhsa_exception_fp_ieee_invalid_op 0
		.amdhsa_exception_fp_denorm_src 0
		.amdhsa_exception_fp_ieee_div_zero 0
		.amdhsa_exception_fp_ieee_overflow 0
		.amdhsa_exception_fp_ieee_underflow 0
		.amdhsa_exception_fp_ieee_inexact 0
		.amdhsa_exception_int_div_zero 0
	.end_amdhsa_kernel
	.section	.text._ZN9rocsolver6v33100L8copy_matI19rocblas_complex_numIdEPS3_S4_NS0_7no_maskEEEviiT0_iilT1_iilT2_13rocblas_fill_17rocblas_diagonal_,"axG",@progbits,_ZN9rocsolver6v33100L8copy_matI19rocblas_complex_numIdEPS3_S4_NS0_7no_maskEEEviiT0_iilT1_iilT2_13rocblas_fill_17rocblas_diagonal_,comdat
.Lfunc_end209:
	.size	_ZN9rocsolver6v33100L8copy_matI19rocblas_complex_numIdEPS3_S4_NS0_7no_maskEEEviiT0_iilT1_iilT2_13rocblas_fill_17rocblas_diagonal_, .Lfunc_end209-_ZN9rocsolver6v33100L8copy_matI19rocblas_complex_numIdEPS3_S4_NS0_7no_maskEEEviiT0_iilT1_iilT2_13rocblas_fill_17rocblas_diagonal_
                                        ; -- End function
	.section	.AMDGPU.csdata,"",@progbits
; Kernel info:
; codeLenInByte = 540
; NumSgprs: 18
; NumVgprs: 9
; ScratchSize: 0
; MemoryBound: 0
; FloatMode: 240
; IeeeMode: 1
; LDSByteSize: 0 bytes/workgroup (compile time only)
; SGPRBlocks: 2
; VGPRBlocks: 1
; NumSGPRsForWavesPerEU: 18
; NumVGPRsForWavesPerEU: 9
; Occupancy: 16
; WaveLimiterHint : 0
; COMPUTE_PGM_RSRC2:SCRATCH_EN: 0
; COMPUTE_PGM_RSRC2:USER_SGPR: 13
; COMPUTE_PGM_RSRC2:TRAP_HANDLER: 0
; COMPUTE_PGM_RSRC2:TGID_X_EN: 1
; COMPUTE_PGM_RSRC2:TGID_Y_EN: 1
; COMPUTE_PGM_RSRC2:TGID_Z_EN: 1
; COMPUTE_PGM_RSRC2:TIDIG_COMP_CNT: 1
	.section	.text._ZN9rocsolver6v33100L18geqr2_kernel_smallILi256E19rocblas_complex_numIdEidPS3_EEvT1_S5_T3_lS5_lPT2_lPT0_l,"axG",@progbits,_ZN9rocsolver6v33100L18geqr2_kernel_smallILi256E19rocblas_complex_numIdEidPS3_EEvT1_S5_T3_lS5_lPT2_lPT0_l,comdat
	.globl	_ZN9rocsolver6v33100L18geqr2_kernel_smallILi256E19rocblas_complex_numIdEidPS3_EEvT1_S5_T3_lS5_lPT2_lPT0_l ; -- Begin function _ZN9rocsolver6v33100L18geqr2_kernel_smallILi256E19rocblas_complex_numIdEidPS3_EEvT1_S5_T3_lS5_lPT2_lPT0_l
	.p2align	8
	.type	_ZN9rocsolver6v33100L18geqr2_kernel_smallILi256E19rocblas_complex_numIdEidPS3_EEvT1_S5_T3_lS5_lPT2_lPT0_l,@function
_ZN9rocsolver6v33100L18geqr2_kernel_smallILi256E19rocblas_complex_numIdEidPS3_EEvT1_S5_T3_lS5_lPT2_lPT0_l: ; @_ZN9rocsolver6v33100L18geqr2_kernel_smallILi256E19rocblas_complex_numIdEidPS3_EEvT1_S5_T3_lS5_lPT2_lPT0_l
; %bb.0:
	s_clause 0x4
	s_load_b256 s[4:11], s[0:1], 0x20
	s_load_b64 s[12:13], s[0:1], 0x0
	s_load_b128 s[20:23], s[0:1], 0x8
	s_load_b32 s18, s[0:1], 0x18
	s_load_b64 s[2:3], s[0:1], 0x40
	s_ashr_i32 s14, s15, 31
	v_and_b32_e32 v5, 0x7f, v0
	v_lshrrev_b32_e32 v15, 7, v0
	s_delay_alu instid0(VALU_DEP_2)
	v_lshlrev_b32_e32 v16, 4, v5
	s_waitcnt lgkmcnt(0)
	s_mul_i32 s0, s15, s5
	s_mul_hi_u32 s1, s15, s4
	s_mul_i32 s5, s14, s4
	s_add_i32 s1, s1, s0
	s_mul_i32 s0, s15, s4
	s_add_i32 s1, s1, s5
	s_delay_alu instid0(SALU_CYCLE_1) | instskip(SKIP_4) | instid1(SALU_CYCLE_1)
	s_lshl_b64 s[4:5], s[0:1], 4
	v_cmp_gt_i32_e64 s0, s12, v5
	s_add_u32 s1, s20, s4
	s_addc_u32 s17, s21, s5
	s_lshl_b64 s[4:5], s[22:23], 4
	s_add_u32 s16, s1, s4
	s_addc_u32 s17, s17, s5
	s_and_saveexec_b32 s4, s0
	s_cbranch_execz .LBB210_6
; %bb.1:
	v_lshrrev_b32_e32 v4, 7, v0
	v_mov_b32_e32 v7, v5
	s_mov_b32 s5, 0
	s_lshl_b32 s19, s12, 5
	s_lshl_b32 s20, s18, 1
	v_mul_lo_u32 v1, s12, v4
	v_cmp_gt_i32_e32 vcc_lo, s13, v4
	s_delay_alu instid0(VALU_DEP_2) | instskip(SKIP_1) | instid1(VALU_DEP_2)
	v_lshlrev_b32_e32 v3, 4, v1
	v_mad_u64_u32 v[1:2], null, s18, v4, v[5:6]
	v_add3_u32 v6, v3, v16, 0
	s_set_inst_prefetch_distance 0x1
	s_branch .LBB210_3
	.p2align	6
.LBB210_2:                              ;   in Loop: Header=BB210_3 Depth=1
	s_or_b32 exec_lo, exec_lo, s21
	v_add_nc_u32_e32 v7, 0x80, v7
	v_add_nc_u32_e32 v6, 0x800, v6
	;; [unrolled: 1-line block ×3, first 2 shown]
	s_delay_alu instid0(VALU_DEP_3) | instskip(NEXT) | instid1(VALU_DEP_1)
	v_cmp_le_i32_e64 s1, s12, v7
	s_or_b32 s5, s1, s5
	s_delay_alu instid0(SALU_CYCLE_1)
	s_and_not1_b32 exec_lo, exec_lo, s5
	s_cbranch_execz .LBB210_6
.LBB210_3:                              ; =>This Loop Header: Depth=1
                                        ;     Child Loop BB210_5 Depth 2
	s_and_saveexec_b32 s21, vcc_lo
	s_cbranch_execz .LBB210_2
; %bb.4:                                ;   in Loop: Header=BB210_3 Depth=1
	s_delay_alu instid0(VALU_DEP_2)
	v_dual_mov_b32 v2, v1 :: v_dual_mov_b32 v9, v4
	v_mov_b32_e32 v8, v6
	s_mov_b32 s22, 0
	.p2align	6
.LBB210_5:                              ;   Parent Loop BB210_3 Depth=1
                                        ; =>  This Inner Loop Header: Depth=2
	s_delay_alu instid0(VALU_DEP_2) | instskip(NEXT) | instid1(VALU_DEP_3)
	v_ashrrev_i32_e32 v3, 31, v2
	v_add_nc_u32_e32 v9, 2, v9
	s_delay_alu instid0(VALU_DEP_2) | instskip(SKIP_1) | instid1(VALU_DEP_2)
	v_lshlrev_b64 v[10:11], 4, v[2:3]
	v_add_nc_u32_e32 v2, s20, v2
	v_add_co_u32 v10, s1, s16, v10
	s_delay_alu instid0(VALU_DEP_1)
	v_add_co_ci_u32_e64 v11, s1, s17, v11, s1
	v_cmp_le_i32_e64 s1, s13, v9
	global_load_b128 v[10:13], v[10:11], off
	s_or_b32 s22, s1, s22
	s_waitcnt vmcnt(0)
	ds_store_2addr_b64 v8, v[10:11], v[12:13] offset1:1
	v_add_nc_u32_e32 v8, s19, v8
	s_and_not1_b32 exec_lo, exec_lo, s22
	s_cbranch_execnz .LBB210_5
	s_branch .LBB210_2
.LBB210_6:
	s_set_inst_prefetch_distance 0x2
	s_or_b32 exec_lo, exec_lo, s4
	s_min_i32 s19, s13, s12
	s_waitcnt lgkmcnt(0)
	s_cmp_lt_i32 s19, 1
	s_barrier
	buffer_gl0_inv
	s_cbranch_scc1 .LBB210_43
; %bb.7:
	v_mbcnt_lo_u32_b32 v1, -1, 0
	s_mul_i32 s1, s15, s9
	s_mul_hi_u32 s4, s15, s8
	s_mul_i32 s5, s14, s8
	s_add_i32 s1, s4, s1
	v_cmp_ne_u32_e32 vcc_lo, 31, v1
	s_mul_i32 s4, s15, s8
	s_add_i32 s5, s1, s5
	s_mul_i32 s1, s15, s3
	s_lshl_b64 s[4:5], s[4:5], 3
	v_add_co_ci_u32_e32 v2, vcc_lo, 0, v1, vcc_lo
	v_cmp_gt_u32_e32 vcc_lo, 30, v1
	s_mul_hi_u32 s3, s15, s2
	s_add_u32 s20, s6, s4
	s_addc_u32 s21, s7, s5
	s_add_i32 s1, s3, s1
	v_cndmask_b32_e64 v3, 0, 1, vcc_lo
	v_cmp_gt_u32_e32 vcc_lo, 28, v1
	s_mul_i32 s3, s14, s2
	s_mul_i32 s2, s15, s2
	s_add_i32 s3, s1, s3
	s_mul_i32 s1, s13, s12
	v_cndmask_b32_e64 v4, 0, 1, vcc_lo
	v_cmp_gt_u32_e32 vcc_lo, 24, v1
	s_lshl_b64 s[2:3], s[2:3], 4
	v_lshlrev_b32_e32 v17, 2, v2
	v_lshlrev_b32_e32 v2, 1, v3
	;; [unrolled: 1-line block ×3, first 2 shown]
	v_cndmask_b32_e64 v6, 0, 1, vcc_lo
	v_cmp_gt_u32_e32 vcc_lo, 16, v1
	s_add_u32 s22, s10, s2
	s_addc_u32 s23, s11, s3
	s_lshl_b32 s1, s1, 4
	v_lshlrev_b32_e32 v4, 3, v6
	v_cndmask_b32_e64 v7, 0, 1, vcc_lo
	s_add_i32 s24, s1, 0
	s_lshl_b32 s1, s13, 4
	v_add_lshl_u32 v18, v2, v1, 2
	v_add_lshl_u32 v19, v3, v1, 2
	v_lshlrev_b32_e32 v6, 4, v7
	v_add_lshl_u32 v20, v4, v1, 2
	s_add_i32 s25, s24, s1
	s_cmp_eq_u64 s[6:7], 0
	v_and_b32_e32 v7, 31, v0
	v_add_lshl_u32 v21, v6, v1, 2
	v_mov_b32_e32 v6, 0
	v_mad_u64_u32 v[1:2], null, s12, v0, s[12:13]
	v_lshrrev_b32_e32 v3, 1, v0
	v_lshlrev_b32_e32 v2, 4, v0
	s_cselect_b32 s26, -1, 0
	s_cmp_lg_u64 s[6:7], 0
	v_cmp_eq_u32_e64 s1, 0, v7
	s_cselect_b32 s27, -1, 0
	s_lshl_b32 s28, s12, 4
	v_cmp_eq_u32_e64 s2, 0, v0
	v_add3_u32 v22, v2, 0, 16
	v_lshl_add_u32 v23, v1, 4, 0
	v_add3_u32 v24, 0, s28, v2
	v_add_nc_u32_e32 v25, s25, v3
	s_mov_b32 s9, 0
	s_add_i32 s29, s28, 16
	s_lshl_b32 s30, s12, 12
	s_mov_b32 s31, 0
	s_mov_b32 s8, s9
	s_branch .LBB210_9
.LBB210_8:                              ;   in Loop: Header=BB210_9 Depth=1
	s_set_inst_prefetch_distance 0x2
	s_or_b32 exec_lo, exec_lo, s4
	v_add_nc_u32_e32 v22, s29, v22
	v_add_nc_u32_e32 v23, s29, v23
	;; [unrolled: 1-line block ×3, first 2 shown]
	s_add_i32 s8, s8, 1
	s_add_i32 s31, s31, s29
	s_cmp_eq_u32 s8, s19
	s_waitcnt lgkmcnt(0)
	s_barrier
	buffer_gl0_inv
	s_cbranch_scc1 .LBB210_43
.LBB210_9:                              ; =>This Loop Header: Depth=1
                                        ;     Child Loop BB210_11 Depth 2
                                        ;     Child Loop BB210_30 Depth 2
	;; [unrolled: 1-line block ×3, first 2 shown]
                                        ;       Child Loop BB210_36 Depth 3
                                        ;     Child Loop BB210_40 Depth 2
                                        ;       Child Loop BB210_42 Depth 3
	v_mov_b32_e32 v1, 0
	v_mov_b32_e32 v2, 0
	s_sub_i32 s33, s12, s8
	s_delay_alu instid0(SALU_CYCLE_1) | instskip(NEXT) | instid1(SALU_CYCLE_1)
	s_add_i32 s35, s33, -1
	v_cmp_gt_i32_e64 s3, s35, v0
	s_delay_alu instid0(VALU_DEP_2) | instskip(NEXT) | instid1(VALU_DEP_2)
	v_dual_mov_b32 v4, v2 :: v_dual_mov_b32 v3, v1
	s_and_saveexec_b32 s4, s3
	s_cbranch_execz .LBB210_13
; %bb.10:                               ;   in Loop: Header=BB210_9 Depth=1
	v_dual_mov_b32 v1, 0 :: v_dual_mov_b32 v8, v0
	v_dual_mov_b32 v2, 0 :: v_dual_mov_b32 v7, v22
	s_mov_b32 s5, 0
	s_delay_alu instid0(VALU_DEP_1)
	v_dual_mov_b32 v4, v2 :: v_dual_mov_b32 v3, v1
	.p2align	6
.LBB210_11:                             ;   Parent Loop BB210_9 Depth=1
                                        ; =>  This Inner Loop Header: Depth=2
	ds_load_2addr_b64 v[9:12], v7 offset1:1
	v_add_nc_u32_e32 v8, 0x100, v8
	v_add_nc_u32_e32 v7, 0x1000, v7
	s_delay_alu instid0(VALU_DEP_2) | instskip(SKIP_4) | instid1(VALU_DEP_2)
	v_cmp_le_i32_e32 vcc_lo, s35, v8
	s_or_b32 s5, vcc_lo, s5
	s_waitcnt lgkmcnt(0)
	v_mul_f64 v[13:14], v[11:12], v[11:12]
	v_mul_f64 v[26:27], v[9:10], v[11:12]
	v_fma_f64 v[13:14], v[9:10], v[9:10], v[13:14]
	s_delay_alu instid0(VALU_DEP_2) | instskip(NEXT) | instid1(VALU_DEP_2)
	v_fma_f64 v[9:10], v[9:10], v[11:12], -v[26:27]
	v_add_f64 v[3:4], v[3:4], v[13:14]
	s_delay_alu instid0(VALU_DEP_2)
	v_add_f64 v[1:2], v[1:2], v[9:10]
	s_and_not1_b32 exec_lo, exec_lo, s5
	s_cbranch_execnz .LBB210_11
; %bb.12:                               ;   in Loop: Header=BB210_9 Depth=1
	s_or_b32 exec_lo, exec_lo, s5
.LBB210_13:                             ;   in Loop: Header=BB210_9 Depth=1
	s_delay_alu instid0(SALU_CYCLE_1)
	s_or_b32 exec_lo, exec_lo, s4
	ds_bpermute_b32 v7, v17, v3
	ds_bpermute_b32 v8, v17, v4
	s_waitcnt lgkmcnt(0)
	v_add_f64 v[3:4], v[3:4], v[7:8]
	ds_bpermute_b32 v7, v17, v1
	ds_bpermute_b32 v8, v17, v2
	s_waitcnt lgkmcnt(0)
	v_add_f64 v[1:2], v[1:2], v[7:8]
	;; [unrolled: 4-line block ×9, first 2 shown]
	ds_bpermute_b32 v7, v21, v3
	ds_bpermute_b32 v8, v21, v4
	s_and_saveexec_b32 s4, s1
	s_cbranch_execz .LBB210_15
; %bb.14:                               ;   in Loop: Header=BB210_9 Depth=1
	s_waitcnt lgkmcnt(0)
	v_add_f64 v[3:4], v[3:4], v[7:8]
	ds_store_2addr_b64 v25, v[1:2], v[3:4] offset0:2 offset1:3
.LBB210_15:                             ;   in Loop: Header=BB210_9 Depth=1
	s_or_b32 exec_lo, exec_lo, s4
	s_lshl_b32 s4, s8, 4
	s_mul_i32 s5, s8, s12
	s_add_i32 s34, s4, 0
	s_lshl_b32 s4, s5, 4
	s_waitcnt lgkmcnt(0)
	s_add_i32 s34, s34, s4
	s_barrier
	buffer_gl0_inv
	s_and_saveexec_b32 s36, s2
	s_cbranch_execz .LBB210_28
; %bb.16:                               ;   in Loop: Header=BB210_9 Depth=1
	v_mov_b32_e32 v11, s25
	s_mov_b32 s39, 0
	s_mov_b32 s37, 0
	s_mov_b32 s38, exec_lo
                                        ; implicit-def: $sgpr10_sgpr11
                                        ; implicit-def: $sgpr14_sgpr15
                                        ; implicit-def: $sgpr4_sgpr5
                                        ; implicit-def: $sgpr6_sgpr7
	ds_load_2addr_b64 v[7:10], v11 offset0:4 offset1:6
	s_waitcnt lgkmcnt(0)
	v_add_f64 v[1:2], v[1:2], v[7:8]
	s_delay_alu instid0(VALU_DEP_1) | instskip(SKIP_3) | instid1(VALU_DEP_1)
	v_add_f64 v[7:8], v[1:2], v[9:10]
	ds_load_2addr_b64 v[1:4], v11 offset0:8 offset1:10
	s_waitcnt lgkmcnt(0)
	v_add_f64 v[1:2], v[7:8], v[1:2]
	v_add_f64 v[7:8], v[1:2], v[3:4]
	ds_load_2addr_b64 v[1:4], v11 offset0:12 offset1:14
	s_waitcnt lgkmcnt(0)
	v_add_f64 v[1:2], v[7:8], v[1:2]
	v_mov_b32_e32 v7, s34
	s_delay_alu instid0(VALU_DEP_2)
	v_add_f64 v[1:2], v[1:2], v[3:4]
	ds_load_b64 v[3:4], v11 offset:128
	ds_load_b64 v[7:8], v7 offset:8
	s_waitcnt lgkmcnt(0)
	v_mul_f64 v[11:12], v[7:8], v[7:8]
	v_add_f64 v[13:14], v[1:2], v[3:4]
	s_delay_alu instid0(VALU_DEP_1) | instskip(NEXT) | instid1(VALU_DEP_1)
	v_max_f64 v[1:2], v[13:14], v[11:12]
	v_cmpx_nlt_f64_e32 0, v[1:2]
	s_xor_b32 s38, exec_lo, s38
                                        ; implicit-def: $vgpr1_vgpr2_vgpr3_vgpr4
	s_cbranch_execz .LBB210_21
; %bb.17:                               ;   in Loop: Header=BB210_9 Depth=1
	s_mov_b32 s4, s9
	s_mov_b32 s6, s9
	;; [unrolled: 1-line block ×4, first 2 shown]
	v_mov_b32_e32 v1, s4
	v_dual_mov_b32 v3, s6 :: v_dual_mov_b32 v4, s7
	v_dual_mov_b32 v7, s25 :: v_dual_mov_b32 v2, s5
	s_and_b32 vcc_lo, exec_lo, s27
	ds_store_2addr_b64 v7, v[1:2], v[3:4] offset1:1
	s_cbranch_vccz .LBB210_19
; %bb.18:                               ;   in Loop: Header=BB210_9 Depth=1
	v_mov_b32_e32 v1, s34
	s_mov_b32 s37, -1
	s_mov_b64 s[6:7], 1.0
	s_mov_b64 s[4:5], 0
	ds_load_b64 v[1:2], v1
	s_branch .LBB210_20
.LBB210_19:                             ;   in Loop: Header=BB210_9 Depth=1
                                        ; implicit-def: $sgpr4_sgpr5
                                        ; implicit-def: $sgpr6_sgpr7
                                        ; implicit-def: $vgpr1_vgpr2_vgpr3_vgpr4
.LBB210_20:                             ;   in Loop: Header=BB210_9 Depth=1
	s_mov_b64 s[14:15], 0
	s_mov_b64 s[10:11], 1.0
	s_and_b32 s37, s37, exec_lo
                                        ; implicit-def: $vgpr11_vgpr12
                                        ; implicit-def: $vgpr13_vgpr14
                                        ; implicit-def: $vgpr7_vgpr8
.LBB210_21:                             ;   in Loop: Header=BB210_9 Depth=1
	s_or_saveexec_b32 s38, s38
	v_dual_mov_b32 v10, s5 :: v_dual_mov_b32 v9, s4
	v_dual_mov_b32 v3, s6 :: v_dual_mov_b32 v4, s7
	s_xor_b32 exec_lo, exec_lo, s38
	s_cbranch_execz .LBB210_23
; %bb.22:                               ;   in Loop: Header=BB210_9 Depth=1
	s_waitcnt lgkmcnt(0)
	v_mov_b32_e32 v1, s34
	s_and_b32 s39, s26, exec_lo
	ds_load_b64 v[3:4], v1
	s_waitcnt lgkmcnt(0)
	v_fma_f64 v[1:2], v[3:4], v[3:4], v[11:12]
	s_delay_alu instid0(VALU_DEP_1) | instskip(NEXT) | instid1(VALU_DEP_1)
	v_add_f64 v[1:2], v[13:14], v[1:2]
	v_cmp_gt_f64_e32 vcc_lo, 0x10000000, v[1:2]
	v_cndmask_b32_e64 v9, 0, 1, vcc_lo
	s_delay_alu instid0(VALU_DEP_1) | instskip(NEXT) | instid1(VALU_DEP_1)
	v_lshlrev_b32_e32 v9, 8, v9
	v_ldexp_f64 v[1:2], v[1:2], v9
	s_delay_alu instid0(VALU_DEP_1) | instskip(SKIP_3) | instid1(VALU_DEP_1)
	v_rsq_f64_e32 v[9:10], v[1:2]
	s_waitcnt_depctr 0xfff
	v_mul_f64 v[13:14], v[1:2], v[9:10]
	v_mul_f64 v[9:10], v[9:10], 0.5
	v_fma_f64 v[26:27], -v[9:10], v[13:14], 0.5
	s_delay_alu instid0(VALU_DEP_1) | instskip(SKIP_1) | instid1(VALU_DEP_2)
	v_fma_f64 v[13:14], v[13:14], v[26:27], v[13:14]
	v_fma_f64 v[9:10], v[9:10], v[26:27], v[9:10]
	v_fma_f64 v[26:27], -v[13:14], v[13:14], v[1:2]
	s_delay_alu instid0(VALU_DEP_1) | instskip(NEXT) | instid1(VALU_DEP_1)
	v_fma_f64 v[13:14], v[26:27], v[9:10], v[13:14]
	v_fma_f64 v[26:27], -v[13:14], v[13:14], v[1:2]
	s_delay_alu instid0(VALU_DEP_1) | instskip(SKIP_2) | instid1(VALU_DEP_2)
	v_fma_f64 v[9:10], v[26:27], v[9:10], v[13:14]
	v_cndmask_b32_e64 v13, 0, 0xffffff80, vcc_lo
	v_cmp_class_f64_e64 vcc_lo, v[1:2], 0x260
	v_ldexp_f64 v[9:10], v[9:10], v13
	s_delay_alu instid0(VALU_DEP_1) | instskip(SKIP_1) | instid1(VALU_DEP_2)
	v_dual_cndmask_b32 v2, v10, v2 :: v_dual_cndmask_b32 v1, v9, v1
	v_cmp_le_f64_e32 vcc_lo, 0, v[3:4]
	v_xor_b32_e32 v9, 0x80000000, v2
	s_delay_alu instid0(VALU_DEP_1) | instskip(NEXT) | instid1(VALU_DEP_1)
	v_cndmask_b32_e32 v2, v2, v9, vcc_lo
	v_add_f64 v[9:10], v[3:4], -v[1:2]
	v_add_f64 v[13:14], v[1:2], -v[3:4]
	v_div_scale_f64 v[30:31], null, v[1:2], v[1:2], -v[7:8]
	s_delay_alu instid0(VALU_DEP_3) | instskip(NEXT) | instid1(VALU_DEP_3)
	v_fma_f64 v[11:12], v[9:10], v[9:10], v[11:12]
	v_div_scale_f64 v[28:29], null, v[1:2], v[1:2], v[13:14]
	s_delay_alu instid0(VALU_DEP_3) | instskip(NEXT) | instid1(VALU_DEP_2)
	v_rcp_f64_e32 v[38:39], v[30:31]
	v_div_scale_f64 v[3:4], null, v[11:12], v[11:12], v[9:10]
	v_div_scale_f64 v[26:27], null, v[11:12], v[11:12], -v[7:8]
	s_delay_alu instid0(VALU_DEP_3)
	v_rcp_f64_e32 v[36:37], v[28:29]
	s_waitcnt_depctr 0xfff
	v_fma_f64 v[46:47], -v[30:31], v[38:39], 1.0
	v_div_scale_f64 v[48:49], vcc_lo, v[9:10], v[11:12], v[9:10]
	v_rcp_f64_e32 v[32:33], v[3:4]
	v_rcp_f64_e32 v[34:35], v[26:27]
	s_delay_alu instid0(VALU_DEP_2)
	v_fma_f64 v[38:39], v[38:39], v[46:47], v[38:39]
	v_fma_f64 v[44:45], -v[28:29], v[36:37], 1.0
	s_waitcnt_depctr 0xfff
	v_fma_f64 v[40:41], -v[3:4], v[32:33], 1.0
	v_fma_f64 v[42:43], -v[26:27], v[34:35], 1.0
	;; [unrolled: 1-line block ×3, first 2 shown]
	v_fma_f64 v[36:37], v[36:37], v[44:45], v[36:37]
	s_delay_alu instid0(VALU_DEP_4) | instskip(NEXT) | instid1(VALU_DEP_4)
	v_fma_f64 v[32:33], v[32:33], v[40:41], v[32:33]
	v_fma_f64 v[34:35], v[34:35], v[42:43], v[34:35]
	s_delay_alu instid0(VALU_DEP_4) | instskip(NEXT) | instid1(VALU_DEP_4)
	v_fma_f64 v[38:39], v[38:39], v[46:47], v[38:39]
	v_fma_f64 v[44:45], -v[28:29], v[36:37], 1.0
	s_delay_alu instid0(VALU_DEP_4) | instskip(NEXT) | instid1(VALU_DEP_4)
	v_fma_f64 v[40:41], -v[3:4], v[32:33], 1.0
	v_fma_f64 v[42:43], -v[26:27], v[34:35], 1.0
	s_delay_alu instid0(VALU_DEP_3) | instskip(SKIP_1) | instid1(VALU_DEP_4)
	v_fma_f64 v[36:37], v[36:37], v[44:45], v[36:37]
	v_div_scale_f64 v[44:45], s6, -v[7:8], v[1:2], -v[7:8]
	v_fma_f64 v[32:33], v[32:33], v[40:41], v[32:33]
	v_div_scale_f64 v[40:41], s4, -v[7:8], v[11:12], -v[7:8]
	v_fma_f64 v[34:35], v[34:35], v[42:43], v[34:35]
	v_div_scale_f64 v[42:43], s5, v[13:14], v[1:2], v[13:14]
	v_mul_f64 v[54:55], v[44:45], v[38:39]
	v_mul_f64 v[46:47], v[48:49], v[32:33]
	s_delay_alu instid0(VALU_DEP_4) | instskip(NEXT) | instid1(VALU_DEP_4)
	v_mul_f64 v[50:51], v[40:41], v[34:35]
	v_mul_f64 v[52:53], v[42:43], v[36:37]
	s_delay_alu instid0(VALU_DEP_4) | instskip(NEXT) | instid1(VALU_DEP_4)
	v_fma_f64 v[30:31], -v[30:31], v[54:55], v[44:45]
	v_fma_f64 v[3:4], -v[3:4], v[46:47], v[48:49]
	s_delay_alu instid0(VALU_DEP_4) | instskip(NEXT) | instid1(VALU_DEP_4)
	v_fma_f64 v[26:27], -v[26:27], v[50:51], v[40:41]
	v_fma_f64 v[28:29], -v[28:29], v[52:53], v[42:43]
	s_delay_alu instid0(VALU_DEP_3) | instskip(SKIP_2) | instid1(VALU_DEP_3)
	v_div_fmas_f64 v[3:4], v[3:4], v[32:33], v[46:47]
	s_mov_b32 vcc_lo, s4
	s_and_not1_b32 s4, s37, exec_lo
	v_div_fmas_f64 v[26:27], v[26:27], v[34:35], v[50:51]
	s_mov_b32 vcc_lo, s5
	s_and_b32 s5, s27, exec_lo
	s_delay_alu instid0(VALU_DEP_3) | instskip(SKIP_3) | instid1(VALU_DEP_4)
	v_div_fmas_f64 v[28:29], v[28:29], v[36:37], v[52:53]
	s_mov_b32 vcc_lo, s6
	s_or_b32 s37, s4, s5
	v_div_fmas_f64 v[30:31], v[30:31], v[38:39], v[54:55]
	v_div_fixup_f64 v[3:4], v[3:4], v[11:12], v[9:10]
	s_delay_alu instid0(VALU_DEP_4) | instskip(NEXT) | instid1(VALU_DEP_4)
	v_div_fixup_f64 v[9:10], v[26:27], v[11:12], -v[7:8]
	v_div_fixup_f64 v[13:14], v[28:29], v[1:2], v[13:14]
	s_delay_alu instid0(VALU_DEP_4)
	v_div_fixup_f64 v[28:29], v[30:31], v[1:2], -v[7:8]
	v_mov_b32_e32 v7, s25
	ds_store_2addr_b64 v7, v[13:14], v[28:29] offset1:1
.LBB210_23:                             ;   in Loop: Header=BB210_9 Depth=1
	s_or_b32 exec_lo, exec_lo, s38
	s_and_saveexec_b32 s4, s37
	s_cbranch_execz .LBB210_25
; %bb.24:                               ;   in Loop: Header=BB210_9 Depth=1
	s_lshl_b64 s[6:7], s[8:9], 3
	s_delay_alu instid0(SALU_CYCLE_1)
	s_add_u32 s6, s20, s6
	s_addc_u32 s7, s21, s7
	s_or_b32 s39, s39, exec_lo
	s_waitcnt lgkmcnt(0)
	global_store_b64 v6, v[1:2], s[6:7]
	v_mov_b32_e32 v1, 0
	v_mov_b32_e32 v2, 0x3ff00000
.LBB210_25:                             ;   in Loop: Header=BB210_9 Depth=1
	s_or_b32 exec_lo, exec_lo, s4
	v_dual_mov_b32 v7, s14 :: v_dual_mov_b32 v8, s15
	v_dual_mov_b32 v12, s11 :: v_dual_mov_b32 v11, s10
	;; [unrolled: 1-line block ×3, first 2 shown]
	s_and_saveexec_b32 s4, s39
	s_cbranch_execz .LBB210_27
; %bb.26:                               ;   in Loop: Header=BB210_9 Depth=1
	v_dual_mov_b32 v7, v6 :: v_dual_mov_b32 v8, s34
	v_dual_mov_b32 v11, s25 :: v_dual_mov_b32 v14, v10
	v_mov_b32_e32 v13, v9
	s_waitcnt lgkmcnt(0)
	ds_store_2addr_b64 v8, v[1:2], v[6:7] offset1:1
	ds_load_b64 v[7:8], v11 offset:8
	v_dual_mov_b32 v12, v4 :: v_dual_mov_b32 v11, v3
.LBB210_27:                             ;   in Loop: Header=BB210_9 Depth=1
	s_or_b32 exec_lo, exec_lo, s4
	v_mov_b32_e32 v9, s25
	s_lshl_b64 s[4:5], s[8:9], 4
	s_waitcnt lgkmcnt(0)
	v_xor_b32_e32 v8, 0x80000000, v8
	s_add_u32 s4, s22, s4
	s_addc_u32 s5, s23, s5
	ds_load_2addr_b64 v[1:4], v9 offset1:1
	s_waitcnt lgkmcnt(0)
	global_store_b128 v6, v[1:4], s[4:5]
	ds_store_b64 v9, v[13:14] offset:24
	ds_store_2addr_b64 v9, v[7:8], v[11:12] offset0:1 offset1:2
.LBB210_28:                             ;   in Loop: Header=BB210_9 Depth=1
	s_or_b32 exec_lo, exec_lo, s36
	s_waitcnt lgkmcnt(0)
	s_waitcnt_vscnt null, 0x0
	s_barrier
	buffer_gl0_inv
	s_and_saveexec_b32 s4, s3
	s_cbranch_execz .LBB210_31
; %bb.29:                               ;   in Loop: Header=BB210_9 Depth=1
	v_mov_b32_e32 v1, v0
	s_mov_b32 s3, 0
	s_mov_b32 s5, 0
	.p2align	6
.LBB210_30:                             ;   Parent Loop BB210_9 Depth=1
                                        ; =>  This Inner Loop Header: Depth=2
	s_delay_alu instid0(VALU_DEP_1)
	v_dual_mov_b32 v2, s25 :: v_dual_add_nc_u32 v1, 0x100, v1
	v_add_nc_u32_e32 v4, s5, v22
	s_addk_i32 s5, 0x1000
	ds_load_2addr_b64 v[7:10], v2 offset0:2 offset1:3
	ds_load_2addr_b64 v[11:14], v4 offset1:1
	v_cmp_le_i32_e32 vcc_lo, s35, v1
	s_or_b32 s3, vcc_lo, s3
	s_waitcnt lgkmcnt(0)
	v_mul_f64 v[2:3], v[9:10], v[13:14]
	v_mul_f64 v[13:14], v[7:8], v[13:14]
	s_delay_alu instid0(VALU_DEP_2) | instskip(NEXT) | instid1(VALU_DEP_2)
	v_fma_f64 v[2:3], v[7:8], v[11:12], -v[2:3]
	v_fma_f64 v[7:8], v[9:10], v[11:12], v[13:14]
	ds_store_2addr_b64 v4, v[2:3], v[7:8] offset1:1
	s_and_not1_b32 exec_lo, exec_lo, s3
	s_cbranch_execnz .LBB210_30
.LBB210_31:                             ;   in Loop: Header=BB210_9 Depth=1
	s_or_b32 exec_lo, exec_lo, s4
	s_not_b32 s3, s8
	s_mov_b32 s4, exec_lo
	s_add_i32 s3, s3, s13
	s_waitcnt lgkmcnt(0)
	s_barrier
	buffer_gl0_inv
	v_cmpx_gt_i32_e64 s3, v0
	s_cbranch_execz .LBB210_37
; %bb.32:                               ;   in Loop: Header=BB210_9 Depth=1
	v_dual_mov_b32 v7, v23 :: v_dual_mov_b32 v8, v0
	s_cmp_gt_i32 s33, 0
	s_mov_b32 s5, 0
	s_cselect_b32 s6, -1, 0
	s_branch .LBB210_34
.LBB210_33:                             ;   in Loop: Header=BB210_34 Depth=2
	v_mov_b32_e32 v9, s25
	v_add_nc_u32_e32 v7, s30, v7
	ds_load_2addr_b64 v[9:12], v9 offset1:1
	s_waitcnt lgkmcnt(0)
	v_mul_f64 v[13:14], v[1:2], v[11:12]
	v_mul_f64 v[11:12], v[3:4], v[11:12]
	s_delay_alu instid0(VALU_DEP_2) | instskip(NEXT) | instid1(VALU_DEP_2)
	v_fma_f64 v[3:4], v[3:4], v[9:10], -v[13:14]
	v_fma_f64 v[1:2], v[1:2], v[9:10], v[11:12]
	v_lshl_add_u32 v9, v8, 4, s24
	v_add_nc_u32_e32 v8, 0x100, v8
	s_delay_alu instid0(VALU_DEP_1)
	v_cmp_le_i32_e32 vcc_lo, s3, v8
	s_or_b32 s5, vcc_lo, s5
	ds_store_2addr_b64 v9, v[3:4], v[1:2] offset1:1
	s_and_not1_b32 exec_lo, exec_lo, s5
	s_cbranch_execz .LBB210_37
.LBB210_34:                             ;   Parent Loop BB210_9 Depth=1
                                        ; =>  This Loop Header: Depth=2
                                        ;       Child Loop BB210_36 Depth 3
	v_mov_b32_e32 v1, 0
	v_mov_b32_e32 v2, 0
	s_and_not1_b32 vcc_lo, exec_lo, s6
	s_delay_alu instid0(VALU_DEP_1)
	v_dual_mov_b32 v4, v2 :: v_dual_mov_b32 v3, v1
	s_cbranch_vccnz .LBB210_33
; %bb.35:                               ;   in Loop: Header=BB210_34 Depth=2
	v_mov_b32_e32 v1, 0
	v_dual_mov_b32 v2, 0 :: v_dual_mov_b32 v9, v7
	s_mov_b32 s7, 0
	s_mov_b32 s10, s31
	s_delay_alu instid0(VALU_DEP_1)
	v_dual_mov_b32 v4, v2 :: v_dual_mov_b32 v3, v1
	.p2align	6
.LBB210_36:                             ;   Parent Loop BB210_9 Depth=1
                                        ;     Parent Loop BB210_34 Depth=2
                                        ; =>    This Inner Loop Header: Depth=3
	v_mov_b32_e32 v14, s10
	s_add_i32 s7, s7, 1
	s_add_i32 s10, s10, 16
	s_cmp_ge_i32 s7, s33
	ds_load_2addr_b64 v[10:13], v9 offset1:1
	ds_load_2addr_b64 v[26:29], v14 offset1:1
	v_add_nc_u32_e32 v9, 16, v9
	s_waitcnt lgkmcnt(0)
	v_mul_f64 v[30:31], v[28:29], v[12:13]
	v_mul_f64 v[28:29], v[28:29], v[10:11]
	s_delay_alu instid0(VALU_DEP_2) | instskip(NEXT) | instid1(VALU_DEP_2)
	v_fma_f64 v[10:11], v[26:27], v[10:11], v[30:31]
	v_fma_f64 v[12:13], v[26:27], v[12:13], -v[28:29]
	s_delay_alu instid0(VALU_DEP_2) | instskip(NEXT) | instid1(VALU_DEP_2)
	v_add_f64 v[3:4], v[3:4], v[10:11]
	v_add_f64 v[1:2], v[1:2], v[12:13]
	s_cbranch_scc0 .LBB210_36
	s_branch .LBB210_33
.LBB210_37:                             ;   in Loop: Header=BB210_9 Depth=1
	s_or_b32 exec_lo, exec_lo, s4
	s_delay_alu instid0(SALU_CYCLE_1)
	s_mov_b32 s4, exec_lo
	s_waitcnt lgkmcnt(0)
	s_barrier
	buffer_gl0_inv
	v_cmpx_gt_i32_e64 s33, v0
	s_cbranch_execz .LBB210_8
; %bb.38:                               ;   in Loop: Header=BB210_9 Depth=1
	v_mov_b32_e32 v1, v24
	v_mov_b32_e32 v2, v0
	s_cmp_gt_i32 s3, 0
	s_mov_b32 s5, 0
	s_cselect_b32 s6, -1, 0
	s_set_inst_prefetch_distance 0x1
	s_branch .LBB210_40
	.p2align	6
.LBB210_39:                             ;   in Loop: Header=BB210_40 Depth=2
	v_add_nc_u32_e32 v2, 0x100, v2
	v_add_nc_u32_e32 v1, 0x1000, v1
	s_delay_alu instid0(VALU_DEP_2) | instskip(SKIP_1) | instid1(SALU_CYCLE_1)
	v_cmp_le_i32_e32 vcc_lo, s33, v2
	s_or_b32 s5, vcc_lo, s5
	s_and_not1_b32 exec_lo, exec_lo, s5
	s_cbranch_execz .LBB210_8
.LBB210_40:                             ;   Parent Loop BB210_9 Depth=1
                                        ; =>  This Loop Header: Depth=2
                                        ;       Child Loop BB210_42 Depth 3
	s_and_not1_b32 vcc_lo, exec_lo, s6
	s_cbranch_vccnz .LBB210_39
; %bb.41:                               ;   in Loop: Header=BB210_40 Depth=2
	v_lshl_add_u32 v3, v2, 4, s34
	v_mov_b32_e32 v4, v1
	s_mov_b32 s7, 0
	s_mov_b32 s10, s24
	.p2align	6
.LBB210_42:                             ;   Parent Loop BB210_9 Depth=1
                                        ;     Parent Loop BB210_40 Depth=2
                                        ; =>    This Inner Loop Header: Depth=3
	s_delay_alu instid0(SALU_CYCLE_1)
	v_mov_b32_e32 v11, s10
	s_add_i32 s7, s7, 1
	s_add_i32 s10, s10, 16
	s_cmp_ge_i32 s7, s3
	ds_load_2addr_b64 v[7:10], v3 offset1:1
	ds_load_2addr_b64 v[11:14], v11 offset1:1
	s_waitcnt lgkmcnt(0)
	v_mul_f64 v[26:27], v[13:14], v[9:10]
	v_mul_f64 v[9:10], v[11:12], v[9:10]
	s_delay_alu instid0(VALU_DEP_2) | instskip(NEXT) | instid1(VALU_DEP_2)
	v_fma_f64 v[11:12], v[11:12], v[7:8], -v[26:27]
	v_fma_f64 v[13:14], v[13:14], v[7:8], v[9:10]
	ds_load_2addr_b64 v[7:10], v4 offset1:1
	s_waitcnt lgkmcnt(0)
	v_add_f64 v[7:8], v[7:8], -v[11:12]
	v_add_f64 v[9:10], v[9:10], -v[13:14]
	ds_store_2addr_b64 v4, v[7:8], v[9:10] offset1:1
	v_add_nc_u32_e32 v4, s28, v4
	s_cbranch_scc0 .LBB210_42
	s_branch .LBB210_39
.LBB210_43:
	s_and_saveexec_b32 s1, s0
	s_cbranch_execz .LBB210_49
; %bb.44:
	v_mul_lo_u32 v0, s12, v15
	v_cmp_gt_i32_e32 vcc_lo, s13, v15
	s_lshl_b32 s2, s18, 1
	s_mov_b32 s3, 0
	s_lshl_b32 s4, s12, 5
	s_delay_alu instid0(VALU_DEP_2) | instskip(SKIP_1) | instid1(VALU_DEP_2)
	v_lshlrev_b32_e32 v2, 4, v0
	v_mad_u64_u32 v[0:1], null, s18, v15, v[5:6]
	v_add3_u32 v3, v2, v16, 0
	s_set_inst_prefetch_distance 0x1
	s_branch .LBB210_46
	.p2align	6
.LBB210_45:                             ;   in Loop: Header=BB210_46 Depth=1
	s_or_b32 exec_lo, exec_lo, s5
	v_add_nc_u32_e32 v5, 0x80, v5
	v_add_nc_u32_e32 v0, 0x80, v0
	;; [unrolled: 1-line block ×3, first 2 shown]
	s_delay_alu instid0(VALU_DEP_3) | instskip(NEXT) | instid1(VALU_DEP_1)
	v_cmp_le_i32_e64 s0, s12, v5
	s_or_b32 s3, s0, s3
	s_delay_alu instid0(SALU_CYCLE_1)
	s_and_not1_b32 exec_lo, exec_lo, s3
	s_cbranch_execz .LBB210_49
.LBB210_46:                             ; =>This Loop Header: Depth=1
                                        ;     Child Loop BB210_48 Depth 2
	s_and_saveexec_b32 s5, vcc_lo
	s_cbranch_execz .LBB210_45
; %bb.47:                               ;   in Loop: Header=BB210_46 Depth=1
	s_delay_alu instid0(VALU_DEP_2)
	v_dual_mov_b32 v4, v3 :: v_dual_mov_b32 v1, v0
	v_mov_b32_e32 v6, v15
	s_mov_b32 s6, 0
	.p2align	6
.LBB210_48:                             ;   Parent Loop BB210_46 Depth=1
                                        ; =>  This Inner Loop Header: Depth=2
	ds_load_2addr_b64 v[7:10], v4 offset1:1
	v_ashrrev_i32_e32 v2, 31, v1
	v_add_nc_u32_e32 v6, 2, v6
	v_add_nc_u32_e32 v4, s4, v4
	s_delay_alu instid0(VALU_DEP_3) | instskip(NEXT) | instid1(VALU_DEP_3)
	v_lshlrev_b64 v[11:12], 4, v[1:2]
	v_cmp_le_i32_e64 s0, s13, v6
	v_add_nc_u32_e32 v1, s2, v1
	s_delay_alu instid0(VALU_DEP_2) | instskip(NEXT) | instid1(VALU_DEP_3)
	s_or_b32 s6, s0, s6
	v_add_co_u32 v11, s1, s16, v11
	s_delay_alu instid0(VALU_DEP_1)
	v_add_co_ci_u32_e64 v12, s1, s17, v12, s1
	s_waitcnt lgkmcnt(0)
	global_store_b128 v[11:12], v[7:10], off
	s_and_not1_b32 exec_lo, exec_lo, s6
	s_cbranch_execnz .LBB210_48
	s_branch .LBB210_45
.LBB210_49:
	s_set_inst_prefetch_distance 0x2
	s_nop 0
	s_sendmsg sendmsg(MSG_DEALLOC_VGPRS)
	s_endpgm
	.section	.rodata,"a",@progbits
	.p2align	6, 0x0
	.amdhsa_kernel _ZN9rocsolver6v33100L18geqr2_kernel_smallILi256E19rocblas_complex_numIdEidPS3_EEvT1_S5_T3_lS5_lPT2_lPT0_l
		.amdhsa_group_segment_fixed_size 0
		.amdhsa_private_segment_fixed_size 0
		.amdhsa_kernarg_size 72
		.amdhsa_user_sgpr_count 14
		.amdhsa_user_sgpr_dispatch_ptr 0
		.amdhsa_user_sgpr_queue_ptr 0
		.amdhsa_user_sgpr_kernarg_segment_ptr 1
		.amdhsa_user_sgpr_dispatch_id 0
		.amdhsa_user_sgpr_private_segment_size 0
		.amdhsa_wavefront_size32 1
		.amdhsa_uses_dynamic_stack 0
		.amdhsa_enable_private_segment 0
		.amdhsa_system_sgpr_workgroup_id_x 1
		.amdhsa_system_sgpr_workgroup_id_y 0
		.amdhsa_system_sgpr_workgroup_id_z 1
		.amdhsa_system_sgpr_workgroup_info 0
		.amdhsa_system_vgpr_workitem_id 0
		.amdhsa_next_free_vgpr 56
		.amdhsa_next_free_sgpr 40
		.amdhsa_reserve_vcc 1
		.amdhsa_float_round_mode_32 0
		.amdhsa_float_round_mode_16_64 0
		.amdhsa_float_denorm_mode_32 3
		.amdhsa_float_denorm_mode_16_64 3
		.amdhsa_dx10_clamp 1
		.amdhsa_ieee_mode 1
		.amdhsa_fp16_overflow 0
		.amdhsa_workgroup_processor_mode 1
		.amdhsa_memory_ordered 1
		.amdhsa_forward_progress 0
		.amdhsa_shared_vgpr_count 0
		.amdhsa_exception_fp_ieee_invalid_op 0
		.amdhsa_exception_fp_denorm_src 0
		.amdhsa_exception_fp_ieee_div_zero 0
		.amdhsa_exception_fp_ieee_overflow 0
		.amdhsa_exception_fp_ieee_underflow 0
		.amdhsa_exception_fp_ieee_inexact 0
		.amdhsa_exception_int_div_zero 0
	.end_amdhsa_kernel
	.section	.text._ZN9rocsolver6v33100L18geqr2_kernel_smallILi256E19rocblas_complex_numIdEidPS3_EEvT1_S5_T3_lS5_lPT2_lPT0_l,"axG",@progbits,_ZN9rocsolver6v33100L18geqr2_kernel_smallILi256E19rocblas_complex_numIdEidPS3_EEvT1_S5_T3_lS5_lPT2_lPT0_l,comdat
.Lfunc_end210:
	.size	_ZN9rocsolver6v33100L18geqr2_kernel_smallILi256E19rocblas_complex_numIdEidPS3_EEvT1_S5_T3_lS5_lPT2_lPT0_l, .Lfunc_end210-_ZN9rocsolver6v33100L18geqr2_kernel_smallILi256E19rocblas_complex_numIdEidPS3_EEvT1_S5_T3_lS5_lPT2_lPT0_l
                                        ; -- End function
	.section	.AMDGPU.csdata,"",@progbits
; Kernel info:
; codeLenInByte = 3528
; NumSgprs: 42
; NumVgprs: 56
; ScratchSize: 0
; MemoryBound: 0
; FloatMode: 240
; IeeeMode: 1
; LDSByteSize: 0 bytes/workgroup (compile time only)
; SGPRBlocks: 5
; VGPRBlocks: 6
; NumSGPRsForWavesPerEU: 42
; NumVGPRsForWavesPerEU: 56
; Occupancy: 16
; WaveLimiterHint : 0
; COMPUTE_PGM_RSRC2:SCRATCH_EN: 0
; COMPUTE_PGM_RSRC2:USER_SGPR: 14
; COMPUTE_PGM_RSRC2:TRAP_HANDLER: 0
; COMPUTE_PGM_RSRC2:TGID_X_EN: 1
; COMPUTE_PGM_RSRC2:TGID_Y_EN: 0
; COMPUTE_PGM_RSRC2:TGID_Z_EN: 1
; COMPUTE_PGM_RSRC2:TIDIG_COMP_CNT: 0
	.section	.text._ZN9rocsolver6v33100L12restore_diagI19rocblas_complex_numIdEidPS3_EEvPT1_llT2_lT0_lS8_,"axG",@progbits,_ZN9rocsolver6v33100L12restore_diagI19rocblas_complex_numIdEidPS3_EEvPT1_llT2_lT0_lS8_,comdat
	.globl	_ZN9rocsolver6v33100L12restore_diagI19rocblas_complex_numIdEidPS3_EEvPT1_llT2_lT0_lS8_ ; -- Begin function _ZN9rocsolver6v33100L12restore_diagI19rocblas_complex_numIdEidPS3_EEvPT1_llT2_lT0_lS8_
	.p2align	8
	.type	_ZN9rocsolver6v33100L12restore_diagI19rocblas_complex_numIdEidPS3_EEvPT1_llT2_lT0_lS8_,@function
_ZN9rocsolver6v33100L12restore_diagI19rocblas_complex_numIdEidPS3_EEvPT1_llT2_lT0_lS8_: ; @_ZN9rocsolver6v33100L12restore_diagI19rocblas_complex_numIdEidPS3_EEvPT1_llT2_lT0_lS8_
; %bb.0:
	s_clause 0x1
	s_load_b32 s2, s[0:1], 0x4c
	s_load_b32 s3, s[0:1], 0x38
	v_bfe_u32 v2, v0, 10, 10
	s_waitcnt lgkmcnt(0)
	s_lshr_b32 s2, s2, 16
	s_delay_alu instid0(VALU_DEP_1) | instid1(SALU_CYCLE_1)
	v_mad_u64_u32 v[0:1], null, s15, s2, v[2:3]
	s_mov_b32 s2, exec_lo
	s_delay_alu instid0(VALU_DEP_1)
	v_cmpx_gt_i32_e64 s3, v0
	s_cbranch_execz .LBB211_2
; %bb.1:
	s_clause 0x3
	s_load_b64 s[2:3], s[0:1], 0x30
	s_load_b256 s[4:11], s[0:1], 0x0
	s_load_b32 s12, s[0:1], 0x28
	s_load_b64 s[0:1], s[0:1], 0x20
	s_ashr_i32 s13, s14, 31
	s_waitcnt lgkmcnt(0)
	s_mul_i32 s3, s14, s3
	s_mul_hi_u32 s15, s14, s2
	s_mul_i32 s16, s13, s2
	s_add_i32 s3, s15, s3
	s_mul_i32 s2, s14, s2
	s_add_i32 s3, s3, s16
	s_mul_i32 s9, s14, s9
	s_lshl_b64 s[2:3], s[2:3], 4
	s_mul_hi_u32 s15, s14, s8
	s_add_u32 s2, s10, s2
	s_addc_u32 s3, s11, s3
	s_lshl_b64 s[0:1], s[0:1], 4
	s_mul_i32 s13, s13, s8
	s_add_u32 s2, s2, s0
	v_mad_u64_u32 v[2:3], null, v0, s12, v[0:1]
	v_ashrrev_i32_e32 v1, 31, v0
	s_addc_u32 s3, s3, s1
	s_add_i32 s1, s15, s9
	s_mul_i32 s0, s14, s8
	s_add_i32 s1, s1, s13
	v_lshlrev_b64 v[0:1], 3, v[0:1]
	s_lshl_b64 s[0:1], s[0:1], 3
	v_ashrrev_i32_e32 v3, 31, v2
	s_add_u32 s4, s4, s0
	s_addc_u32 s5, s5, s1
	s_lshl_b64 s[0:1], s[6:7], 3
	s_delay_alu instid0(SALU_CYCLE_1)
	s_add_u32 s0, s4, s0
	s_addc_u32 s1, s5, s1
	v_add_co_u32 v0, vcc_lo, s0, v0
	v_add_co_ci_u32_e32 v1, vcc_lo, s1, v1, vcc_lo
	v_lshlrev_b64 v[3:4], 4, v[2:3]
	v_mov_b32_e32 v2, 0
	global_load_b64 v[0:1], v[0:1], off
	v_add_co_u32 v5, vcc_lo, s2, v3
	v_add_co_ci_u32_e32 v6, vcc_lo, s3, v4, vcc_lo
	v_mov_b32_e32 v3, v2
	s_waitcnt vmcnt(0)
	global_store_b128 v[5:6], v[0:3], off
.LBB211_2:
	s_nop 0
	s_sendmsg sendmsg(MSG_DEALLOC_VGPRS)
	s_endpgm
	.section	.rodata,"a",@progbits
	.p2align	6, 0x0
	.amdhsa_kernel _ZN9rocsolver6v33100L12restore_diagI19rocblas_complex_numIdEidPS3_EEvPT1_llT2_lT0_lS8_
		.amdhsa_group_segment_fixed_size 0
		.amdhsa_private_segment_fixed_size 0
		.amdhsa_kernarg_size 320
		.amdhsa_user_sgpr_count 14
		.amdhsa_user_sgpr_dispatch_ptr 0
		.amdhsa_user_sgpr_queue_ptr 0
		.amdhsa_user_sgpr_kernarg_segment_ptr 1
		.amdhsa_user_sgpr_dispatch_id 0
		.amdhsa_user_sgpr_private_segment_size 0
		.amdhsa_wavefront_size32 1
		.amdhsa_uses_dynamic_stack 0
		.amdhsa_enable_private_segment 0
		.amdhsa_system_sgpr_workgroup_id_x 1
		.amdhsa_system_sgpr_workgroup_id_y 1
		.amdhsa_system_sgpr_workgroup_id_z 0
		.amdhsa_system_sgpr_workgroup_info 0
		.amdhsa_system_vgpr_workitem_id 1
		.amdhsa_next_free_vgpr 7
		.amdhsa_next_free_sgpr 17
		.amdhsa_reserve_vcc 1
		.amdhsa_float_round_mode_32 0
		.amdhsa_float_round_mode_16_64 0
		.amdhsa_float_denorm_mode_32 3
		.amdhsa_float_denorm_mode_16_64 3
		.amdhsa_dx10_clamp 1
		.amdhsa_ieee_mode 1
		.amdhsa_fp16_overflow 0
		.amdhsa_workgroup_processor_mode 1
		.amdhsa_memory_ordered 1
		.amdhsa_forward_progress 0
		.amdhsa_shared_vgpr_count 0
		.amdhsa_exception_fp_ieee_invalid_op 0
		.amdhsa_exception_fp_denorm_src 0
		.amdhsa_exception_fp_ieee_div_zero 0
		.amdhsa_exception_fp_ieee_overflow 0
		.amdhsa_exception_fp_ieee_underflow 0
		.amdhsa_exception_fp_ieee_inexact 0
		.amdhsa_exception_int_div_zero 0
	.end_amdhsa_kernel
	.section	.text._ZN9rocsolver6v33100L12restore_diagI19rocblas_complex_numIdEidPS3_EEvPT1_llT2_lT0_lS8_,"axG",@progbits,_ZN9rocsolver6v33100L12restore_diagI19rocblas_complex_numIdEidPS3_EEvPT1_llT2_lT0_lS8_,comdat
.Lfunc_end211:
	.size	_ZN9rocsolver6v33100L12restore_diagI19rocblas_complex_numIdEidPS3_EEvPT1_llT2_lT0_lS8_, .Lfunc_end211-_ZN9rocsolver6v33100L12restore_diagI19rocblas_complex_numIdEidPS3_EEvPT1_llT2_lT0_lS8_
                                        ; -- End function
	.section	.AMDGPU.csdata,"",@progbits
; Kernel info:
; codeLenInByte = 308
; NumSgprs: 19
; NumVgprs: 7
; ScratchSize: 0
; MemoryBound: 0
; FloatMode: 240
; IeeeMode: 1
; LDSByteSize: 0 bytes/workgroup (compile time only)
; SGPRBlocks: 2
; VGPRBlocks: 0
; NumSGPRsForWavesPerEU: 19
; NumVGPRsForWavesPerEU: 7
; Occupancy: 16
; WaveLimiterHint : 0
; COMPUTE_PGM_RSRC2:SCRATCH_EN: 0
; COMPUTE_PGM_RSRC2:USER_SGPR: 14
; COMPUTE_PGM_RSRC2:TRAP_HANDLER: 0
; COMPUTE_PGM_RSRC2:TGID_X_EN: 1
; COMPUTE_PGM_RSRC2:TGID_Y_EN: 1
; COMPUTE_PGM_RSRC2:TGID_Z_EN: 0
; COMPUTE_PGM_RSRC2:TIDIG_COMP_CNT: 1
	.section	.text._ZN9rocsolver6v33100L16gesdd_flip_signsI19rocblas_complex_numIdEdEEviPT0_lPT_ilS7_ili,"axG",@progbits,_ZN9rocsolver6v33100L16gesdd_flip_signsI19rocblas_complex_numIdEdEEviPT0_lPT_ilS7_ili,comdat
	.globl	_ZN9rocsolver6v33100L16gesdd_flip_signsI19rocblas_complex_numIdEdEEviPT0_lPT_ilS7_ili ; -- Begin function _ZN9rocsolver6v33100L16gesdd_flip_signsI19rocblas_complex_numIdEdEEviPT0_lPT_ilS7_ili
	.p2align	8
	.type	_ZN9rocsolver6v33100L16gesdd_flip_signsI19rocblas_complex_numIdEdEEviPT0_lPT_ilS7_ili,@function
_ZN9rocsolver6v33100L16gesdd_flip_signsI19rocblas_complex_numIdEdEEviPT0_lPT_ilS7_ili: ; @_ZN9rocsolver6v33100L16gesdd_flip_signsI19rocblas_complex_numIdEdEEviPT0_lPT_ilS7_ili
; %bb.0:
	s_load_b32 s24, s[0:1], 0x48
	s_waitcnt lgkmcnt(0)
	s_cmp_ge_i32 s15, s24
	s_cbranch_scc1 .LBB212_13
; %bb.1:
	s_clause 0x8
	s_load_b32 s18, s[0:1], 0x5c
	s_load_b32 s25, s[0:1], 0x0
	s_load_b64 s[2:3], s[0:1], 0x40
	s_load_b64 s[12:13], s[0:1], 0x50
	s_load_b32 s27, s[0:1], 0x20
	s_load_b64 s[16:17], s[0:1], 0x18
	s_load_b128 s[4:7], s[0:1], 0x8
	s_load_b128 s[8:11], s[0:1], 0x28
	s_load_b32 s26, s[0:1], 0x38
	s_waitcnt lgkmcnt(0)
	s_and_b32 s1, s18, 0xffff
	s_cmp_gt_i32 s25, 0
	v_mad_u64_u32 v[1:2], null, s14, s1, v[0:1]
	v_mov_b32_e32 v0, 0
	s_cselect_b32 s14, -1, 0
	s_add_i32 s27, s27, 1
	s_mul_i32 s12, s12, s1
	s_lshl_b64 s[6:7], s[6:7], 3
	s_delay_alu instid0(VALU_DEP_2)
	v_cmp_gt_i32_e64 s0, s25, v1
	s_branch .LBB212_3
.LBB212_2:                              ;   in Loop: Header=BB212_3 Depth=1
	s_or_b32 exec_lo, exec_lo, s28
	s_add_i32 s15, s15, s13
	s_delay_alu instid0(SALU_CYCLE_1)
	s_cmp_lt_i32 s15, s24
	s_cbranch_scc0 .LBB212_13
.LBB212_3:                              ; =>This Loop Header: Depth=1
                                        ;     Child Loop BB212_6 Depth 2
                                        ;       Child Loop BB212_9 Depth 3
	s_delay_alu instid0(VALU_DEP_1)
	s_and_saveexec_b32 s28, s0
	s_cbranch_execz .LBB212_2
; %bb.4:                                ;   in Loop: Header=BB212_3 Depth=1
	s_ashr_i32 s1, s15, 31
	s_mul_hi_u32 s18, s6, s15
	s_mul_i32 s19, s6, s1
	s_mul_i32 s20, s7, s15
	s_add_i32 s18, s18, s19
	s_mul_i32 s19, s6, s15
	s_add_i32 s20, s18, s20
	s_mul_i32 s21, s15, s9
	s_mul_hi_u32 s22, s15, s8
	s_add_u32 s18, s4, s19
	s_addc_u32 s19, s5, s20
	s_add_i32 s20, s22, s21
	s_mul_i32 s21, s1, s8
	s_mul_hi_u32 s22, s15, s2
	s_add_i32 s21, s20, s21
	s_mul_i32 s20, s15, s8
	s_mul_i32 s1, s1, s2
	s_lshl_b64 s[20:21], s[20:21], 4
	v_mov_b32_e32 v6, v1
	s_add_u32 s29, s16, s20
	s_mul_i32 s20, s15, s3
	s_addc_u32 s30, s17, s21
	s_add_i32 s20, s22, s20
	s_mov_b32 s34, 0
	s_add_i32 s21, s20, s1
	s_mul_i32 s20, s15, s2
	s_delay_alu instid0(SALU_CYCLE_1) | instskip(NEXT) | instid1(SALU_CYCLE_1)
	s_lshl_b64 s[20:21], s[20:21], 4
	s_add_u32 s31, s10, s20
	s_addc_u32 s33, s11, s21
	s_branch .LBB212_6
.LBB212_5:                              ;   in Loop: Header=BB212_6 Depth=2
	s_set_inst_prefetch_distance 0x2
	v_add_nc_u32_e32 v6, s12, v6
	s_delay_alu instid0(VALU_DEP_1) | instskip(SKIP_1) | instid1(SALU_CYCLE_1)
	v_cmp_le_i32_e32 vcc_lo, s25, v6
	s_or_b32 s34, vcc_lo, s34
	s_and_not1_b32 exec_lo, exec_lo, s34
	s_cbranch_execz .LBB212_2
.LBB212_6:                              ;   Parent Loop BB212_3 Depth=1
                                        ; =>  This Loop Header: Depth=2
                                        ;       Child Loop BB212_9 Depth 3
	s_and_not1_b32 vcc_lo, exec_lo, s14
	s_cbranch_vccnz .LBB212_5
; %bb.7:                                ;   in Loop: Header=BB212_6 Depth=2
	v_cmp_eq_u32_e64 s1, 0, v6
	v_mov_b32_e32 v2, v6
	s_mov_b32 s20, 0
	s_mov_b64 s[22:23], s[18:19]
	s_mov_b32 s35, s25
	s_set_inst_prefetch_distance 0x1
	s_branch .LBB212_9
	.p2align	6
.LBB212_8:                              ;   in Loop: Header=BB212_9 Depth=3
	s_or_b32 exec_lo, exec_lo, s21
	s_add_i32 s35, s35, -1
	v_add_nc_u32_e32 v2, s26, v2
	s_add_i32 s20, s20, s27
	s_add_u32 s22, s22, 8
	s_addc_u32 s23, s23, 0
	s_cmp_lg_u32 s35, 0
	s_cbranch_scc0 .LBB212_5
.LBB212_9:                              ;   Parent Loop BB212_3 Depth=1
                                        ;     Parent Loop BB212_6 Depth=2
                                        ; =>    This Inner Loop Header: Depth=3
	s_ashr_i32 s21, s20, 31
	s_delay_alu instid0(SALU_CYCLE_1) | instskip(NEXT) | instid1(SALU_CYCLE_1)
	s_lshl_b64 s[36:37], s[20:21], 4
	s_add_u32 s36, s29, s36
	s_addc_u32 s37, s30, s37
	global_load_b64 v[4:5], v0, s[36:37]
	s_waitcnt vmcnt(0)
	v_cmp_ngt_f64_e32 vcc_lo, 0, v[4:5]
	s_cbranch_vccnz .LBB212_11
; %bb.10:                               ;   in Loop: Header=BB212_9 Depth=3
	v_ashrrev_i32_e32 v3, 31, v2
	s_delay_alu instid0(VALU_DEP_1) | instskip(NEXT) | instid1(VALU_DEP_1)
	v_lshlrev_b64 v[7:8], 4, v[2:3]
	v_add_co_u32 v11, vcc_lo, s31, v7
	s_delay_alu instid0(VALU_DEP_2)
	v_add_co_ci_u32_e32 v12, vcc_lo, s33, v8, vcc_lo
	global_load_b128 v[7:10], v[11:12], off
	s_waitcnt vmcnt(0)
	v_xor_b32_e32 v8, 0x80000000, v8
	v_xor_b32_e32 v10, 0x80000000, v10
	global_store_b128 v[11:12], v[7:10], off
.LBB212_11:                             ;   in Loop: Header=BB212_9 Depth=3
	s_and_saveexec_b32 s21, s1
	s_cbranch_execz .LBB212_8
; %bb.12:                               ;   in Loop: Header=BB212_9 Depth=3
	v_and_b32_e32 v5, 0x7fffffff, v5
	global_store_b64 v0, v[4:5], s[22:23]
	s_branch .LBB212_8
.LBB212_13:
	s_nop 0
	s_sendmsg sendmsg(MSG_DEALLOC_VGPRS)
	s_endpgm
	.section	.rodata,"a",@progbits
	.p2align	6, 0x0
	.amdhsa_kernel _ZN9rocsolver6v33100L16gesdd_flip_signsI19rocblas_complex_numIdEdEEviPT0_lPT_ilS7_ili
		.amdhsa_group_segment_fixed_size 0
		.amdhsa_private_segment_fixed_size 0
		.amdhsa_kernarg_size 336
		.amdhsa_user_sgpr_count 14
		.amdhsa_user_sgpr_dispatch_ptr 0
		.amdhsa_user_sgpr_queue_ptr 0
		.amdhsa_user_sgpr_kernarg_segment_ptr 1
		.amdhsa_user_sgpr_dispatch_id 0
		.amdhsa_user_sgpr_private_segment_size 0
		.amdhsa_wavefront_size32 1
		.amdhsa_uses_dynamic_stack 0
		.amdhsa_enable_private_segment 0
		.amdhsa_system_sgpr_workgroup_id_x 1
		.amdhsa_system_sgpr_workgroup_id_y 1
		.amdhsa_system_sgpr_workgroup_id_z 0
		.amdhsa_system_sgpr_workgroup_info 0
		.amdhsa_system_vgpr_workitem_id 0
		.amdhsa_next_free_vgpr 13
		.amdhsa_next_free_sgpr 38
		.amdhsa_reserve_vcc 1
		.amdhsa_float_round_mode_32 0
		.amdhsa_float_round_mode_16_64 0
		.amdhsa_float_denorm_mode_32 3
		.amdhsa_float_denorm_mode_16_64 3
		.amdhsa_dx10_clamp 1
		.amdhsa_ieee_mode 1
		.amdhsa_fp16_overflow 0
		.amdhsa_workgroup_processor_mode 1
		.amdhsa_memory_ordered 1
		.amdhsa_forward_progress 0
		.amdhsa_shared_vgpr_count 0
		.amdhsa_exception_fp_ieee_invalid_op 0
		.amdhsa_exception_fp_denorm_src 0
		.amdhsa_exception_fp_ieee_div_zero 0
		.amdhsa_exception_fp_ieee_overflow 0
		.amdhsa_exception_fp_ieee_underflow 0
		.amdhsa_exception_fp_ieee_inexact 0
		.amdhsa_exception_int_div_zero 0
	.end_amdhsa_kernel
	.section	.text._ZN9rocsolver6v33100L16gesdd_flip_signsI19rocblas_complex_numIdEdEEviPT0_lPT_ilS7_ili,"axG",@progbits,_ZN9rocsolver6v33100L16gesdd_flip_signsI19rocblas_complex_numIdEdEEviPT0_lPT_ilS7_ili,comdat
.Lfunc_end212:
	.size	_ZN9rocsolver6v33100L16gesdd_flip_signsI19rocblas_complex_numIdEdEEviPT0_lPT_ilS7_ili, .Lfunc_end212-_ZN9rocsolver6v33100L16gesdd_flip_signsI19rocblas_complex_numIdEdEEviPT0_lPT_ilS7_ili
                                        ; -- End function
	.section	.AMDGPU.csdata,"",@progbits
; Kernel info:
; codeLenInByte = 560
; NumSgprs: 40
; NumVgprs: 13
; ScratchSize: 0
; MemoryBound: 0
; FloatMode: 240
; IeeeMode: 1
; LDSByteSize: 0 bytes/workgroup (compile time only)
; SGPRBlocks: 4
; VGPRBlocks: 1
; NumSGPRsForWavesPerEU: 40
; NumVGPRsForWavesPerEU: 13
; Occupancy: 16
; WaveLimiterHint : 0
; COMPUTE_PGM_RSRC2:SCRATCH_EN: 0
; COMPUTE_PGM_RSRC2:USER_SGPR: 14
; COMPUTE_PGM_RSRC2:TRAP_HANDLER: 0
; COMPUTE_PGM_RSRC2:TGID_X_EN: 1
; COMPUTE_PGM_RSRC2:TGID_Y_EN: 1
; COMPUTE_PGM_RSRC2:TGID_Z_EN: 0
; COMPUTE_PGM_RSRC2:TIDIG_COMP_CNT: 0
	.section	.text._ZN9rocsolver6v33100L16org2r_init_identI19rocblas_complex_numIdEPS3_EEviiiT0_iil,"axG",@progbits,_ZN9rocsolver6v33100L16org2r_init_identI19rocblas_complex_numIdEPS3_EEviiiT0_iil,comdat
	.globl	_ZN9rocsolver6v33100L16org2r_init_identI19rocblas_complex_numIdEPS3_EEviiiT0_iil ; -- Begin function _ZN9rocsolver6v33100L16org2r_init_identI19rocblas_complex_numIdEPS3_EEviiiT0_iil
	.p2align	8
	.type	_ZN9rocsolver6v33100L16org2r_init_identI19rocblas_complex_numIdEPS3_EEviiiT0_iil,@function
_ZN9rocsolver6v33100L16org2r_init_identI19rocblas_complex_numIdEPS3_EEviiiT0_iil: ; @_ZN9rocsolver6v33100L16org2r_init_identI19rocblas_complex_numIdEPS3_EEviiiT0_iil
; %bb.0:
	s_clause 0x1
	s_load_b32 s2, s[0:1], 0x34
	s_load_b128 s[4:7], s[0:1], 0x0
	v_and_b32_e32 v1, 0x3ff, v0
	v_bfe_u32 v0, v0, 10, 10
	s_waitcnt lgkmcnt(0)
	s_lshr_b32 s3, s2, 16
	s_and_b32 s2, s2, 0xffff
	s_delay_alu instid0(SALU_CYCLE_1) | instskip(SKIP_1) | instid1(VALU_DEP_2)
	v_mad_u64_u32 v[4:5], null, s13, s2, v[1:2]
	v_mad_u64_u32 v[2:3], null, s14, s3, v[0:1]
	v_cmp_gt_u32_e32 vcc_lo, s4, v4
	s_delay_alu instid0(VALU_DEP_2) | instskip(NEXT) | instid1(VALU_DEP_1)
	v_cmp_gt_u32_e64 s2, s5, v2
	s_and_b32 s2, vcc_lo, s2
	s_delay_alu instid0(SALU_CYCLE_1)
	s_and_saveexec_b32 s3, s2
	s_cbranch_execz .LBB213_5
; %bb.1:
	s_clause 0x1
	s_load_b64 s[4:5], s[0:1], 0x20
	s_load_b128 s[0:3], s[0:1], 0x10
                                        ; implicit-def: $vgpr0_vgpr1
	s_waitcnt lgkmcnt(0)
	s_mul_i32 s5, s15, s5
	s_mul_hi_u32 s7, s15, s4
	s_mul_i32 s4, s15, s4
	s_add_i32 s5, s7, s5
	s_ashr_i32 s9, s2, 31
	s_lshl_b64 s[4:5], s[4:5], 4
	s_mov_b32 s8, s2
	s_add_u32 s2, s0, s4
	s_addc_u32 s4, s1, s5
	s_lshl_b64 s[0:1], s[8:9], 4
	s_delay_alu instid0(SALU_CYCLE_1)
	s_add_u32 s0, s2, s0
	s_addc_u32 s1, s4, s1
	s_mov_b32 s4, 0
	s_mov_b32 s2, exec_lo
	v_cmpx_ne_u32_e64 v4, v2
	s_xor_b32 s2, exec_lo, s2
	s_cbranch_execnz .LBB213_6
; %bb.2:
	s_and_not1_saveexec_b32 s2, s2
	s_cbranch_execnz .LBB213_13
.LBB213_3:
	s_or_b32 exec_lo, exec_lo, s2
	s_delay_alu instid0(SALU_CYCLE_1)
	s_and_b32 exec_lo, exec_lo, s4
	s_cbranch_execz .LBB213_5
.LBB213_4:
	v_mov_b32_e32 v2, 0
	s_delay_alu instid0(VALU_DEP_1)
	v_mov_b32_e32 v3, v2
	global_store_b64 v[0:1], v[2:3], off
.LBB213_5:
	s_nop 0
	s_sendmsg sendmsg(MSG_DEALLOC_VGPRS)
	s_endpgm
.LBB213_6:
	s_mov_b32 s5, exec_lo
                                        ; implicit-def: $vgpr0_vgpr1
	v_cmpx_le_u32_e64 v2, v4
	s_xor_b32 s5, exec_lo, s5
	s_cbranch_execz .LBB213_10
; %bb.7:
	v_cmp_le_u32_e32 vcc_lo, s6, v2
                                        ; implicit-def: $vgpr0_vgpr1
	s_and_saveexec_b32 s6, vcc_lo
	s_delay_alu instid0(SALU_CYCLE_1)
	s_xor_b32 s6, exec_lo, s6
	s_cbranch_execz .LBB213_9
; %bb.8:
	v_mad_u64_u32 v[5:6], null, v2, s3, v[4:5]
	v_mov_b32_e32 v6, 0
	s_mov_b32 s4, exec_lo
	s_delay_alu instid0(VALU_DEP_1) | instskip(SKIP_1) | instid1(VALU_DEP_2)
	v_lshlrev_b64 v[0:1], 4, v[5:6]
	v_mov_b32_e32 v5, v6
	v_add_co_u32 v2, vcc_lo, s0, v0
	s_delay_alu instid0(VALU_DEP_3) | instskip(NEXT) | instid1(VALU_DEP_2)
	v_add_co_ci_u32_e32 v3, vcc_lo, s1, v1, vcc_lo
	v_add_co_u32 v0, vcc_lo, v2, 8
	s_delay_alu instid0(VALU_DEP_2)
	v_add_co_ci_u32_e32 v1, vcc_lo, 0, v3, vcc_lo
	global_store_b64 v[2:3], v[5:6], off
.LBB213_9:
	s_or_b32 exec_lo, exec_lo, s6
	s_delay_alu instid0(SALU_CYCLE_1)
	s_and_b32 s4, s4, exec_lo
                                        ; implicit-def: $vgpr4_vgpr5
                                        ; implicit-def: $vgpr2_vgpr3
.LBB213_10:
	s_and_not1_saveexec_b32 s5, s5
	s_cbranch_execz .LBB213_12
; %bb.11:
	v_mad_u64_u32 v[5:6], null, v2, s3, v[4:5]
	v_mov_b32_e32 v6, 0
	s_or_b32 s4, s4, exec_lo
	s_delay_alu instid0(VALU_DEP_1) | instskip(SKIP_1) | instid1(VALU_DEP_2)
	v_lshlrev_b64 v[0:1], 4, v[5:6]
	v_mov_b32_e32 v5, v6
	v_add_co_u32 v2, vcc_lo, s0, v0
	s_delay_alu instid0(VALU_DEP_3) | instskip(NEXT) | instid1(VALU_DEP_2)
	v_add_co_ci_u32_e32 v3, vcc_lo, s1, v1, vcc_lo
	v_add_co_u32 v0, vcc_lo, v2, 8
	s_delay_alu instid0(VALU_DEP_2)
	v_add_co_ci_u32_e32 v1, vcc_lo, 0, v3, vcc_lo
	global_store_b64 v[2:3], v[5:6], off
.LBB213_12:
	s_or_b32 exec_lo, exec_lo, s5
	s_delay_alu instid0(SALU_CYCLE_1)
	s_and_b32 s4, s4, exec_lo
                                        ; implicit-def: $vgpr2_vgpr3
	s_and_not1_saveexec_b32 s2, s2
	s_cbranch_execz .LBB213_3
.LBB213_13:
	v_mad_u64_u32 v[0:1], null, v2, s3, v[2:3]
	v_dual_mov_b32 v1, 0 :: v_dual_mov_b32 v4, 0x3ff00000
	s_or_b32 s4, s4, exec_lo
	s_delay_alu instid0(VALU_DEP_1) | instskip(NEXT) | instid1(VALU_DEP_1)
	v_lshlrev_b64 v[2:3], 4, v[0:1]
	v_add_co_u32 v5, vcc_lo, s0, v2
	s_delay_alu instid0(VALU_DEP_2) | instskip(SKIP_1) | instid1(VALU_DEP_3)
	v_add_co_ci_u32_e32 v6, vcc_lo, s1, v3, vcc_lo
	v_mov_b32_e32 v3, v1
	v_add_co_u32 v0, vcc_lo, v5, 8
	s_delay_alu instid0(VALU_DEP_3) | instskip(SKIP_2) | instid1(SALU_CYCLE_1)
	v_add_co_ci_u32_e32 v1, vcc_lo, 0, v6, vcc_lo
	global_store_b64 v[5:6], v[3:4], off
	s_or_b32 exec_lo, exec_lo, s2
	s_and_b32 exec_lo, exec_lo, s4
	s_cbranch_execnz .LBB213_4
	s_branch .LBB213_5
	.section	.rodata,"a",@progbits
	.p2align	6, 0x0
	.amdhsa_kernel _ZN9rocsolver6v33100L16org2r_init_identI19rocblas_complex_numIdEPS3_EEviiiT0_iil
		.amdhsa_group_segment_fixed_size 0
		.amdhsa_private_segment_fixed_size 0
		.amdhsa_kernarg_size 296
		.amdhsa_user_sgpr_count 13
		.amdhsa_user_sgpr_dispatch_ptr 0
		.amdhsa_user_sgpr_queue_ptr 0
		.amdhsa_user_sgpr_kernarg_segment_ptr 1
		.amdhsa_user_sgpr_dispatch_id 0
		.amdhsa_user_sgpr_private_segment_size 0
		.amdhsa_wavefront_size32 1
		.amdhsa_uses_dynamic_stack 0
		.amdhsa_enable_private_segment 0
		.amdhsa_system_sgpr_workgroup_id_x 1
		.amdhsa_system_sgpr_workgroup_id_y 1
		.amdhsa_system_sgpr_workgroup_id_z 1
		.amdhsa_system_sgpr_workgroup_info 0
		.amdhsa_system_vgpr_workitem_id 1
		.amdhsa_next_free_vgpr 7
		.amdhsa_next_free_sgpr 16
		.amdhsa_reserve_vcc 1
		.amdhsa_float_round_mode_32 0
		.amdhsa_float_round_mode_16_64 0
		.amdhsa_float_denorm_mode_32 3
		.amdhsa_float_denorm_mode_16_64 3
		.amdhsa_dx10_clamp 1
		.amdhsa_ieee_mode 1
		.amdhsa_fp16_overflow 0
		.amdhsa_workgroup_processor_mode 1
		.amdhsa_memory_ordered 1
		.amdhsa_forward_progress 0
		.amdhsa_shared_vgpr_count 0
		.amdhsa_exception_fp_ieee_invalid_op 0
		.amdhsa_exception_fp_denorm_src 0
		.amdhsa_exception_fp_ieee_div_zero 0
		.amdhsa_exception_fp_ieee_overflow 0
		.amdhsa_exception_fp_ieee_underflow 0
		.amdhsa_exception_fp_ieee_inexact 0
		.amdhsa_exception_int_div_zero 0
	.end_amdhsa_kernel
	.section	.text._ZN9rocsolver6v33100L16org2r_init_identI19rocblas_complex_numIdEPS3_EEviiiT0_iil,"axG",@progbits,_ZN9rocsolver6v33100L16org2r_init_identI19rocblas_complex_numIdEPS3_EEviiiT0_iil,comdat
.Lfunc_end213:
	.size	_ZN9rocsolver6v33100L16org2r_init_identI19rocblas_complex_numIdEPS3_EEviiiT0_iil, .Lfunc_end213-_ZN9rocsolver6v33100L16org2r_init_identI19rocblas_complex_numIdEPS3_EEviiiT0_iil
                                        ; -- End function
	.section	.AMDGPU.csdata,"",@progbits
; Kernel info:
; codeLenInByte = 580
; NumSgprs: 18
; NumVgprs: 7
; ScratchSize: 0
; MemoryBound: 0
; FloatMode: 240
; IeeeMode: 1
; LDSByteSize: 0 bytes/workgroup (compile time only)
; SGPRBlocks: 2
; VGPRBlocks: 0
; NumSGPRsForWavesPerEU: 18
; NumVGPRsForWavesPerEU: 7
; Occupancy: 16
; WaveLimiterHint : 0
; COMPUTE_PGM_RSRC2:SCRATCH_EN: 0
; COMPUTE_PGM_RSRC2:USER_SGPR: 13
; COMPUTE_PGM_RSRC2:TRAP_HANDLER: 0
; COMPUTE_PGM_RSRC2:TGID_X_EN: 1
; COMPUTE_PGM_RSRC2:TGID_Y_EN: 1
; COMPUTE_PGM_RSRC2:TGID_Z_EN: 1
; COMPUTE_PGM_RSRC2:TIDIG_COMP_CNT: 1
	.section	.text._ZN9rocsolver6v33100L12subtract_tauI19rocblas_complex_numIdEPS3_EEviiT0_iilPT_l,"axG",@progbits,_ZN9rocsolver6v33100L12subtract_tauI19rocblas_complex_numIdEPS3_EEviiT0_iilPT_l,comdat
	.globl	_ZN9rocsolver6v33100L12subtract_tauI19rocblas_complex_numIdEPS3_EEviiT0_iilPT_l ; -- Begin function _ZN9rocsolver6v33100L12subtract_tauI19rocblas_complex_numIdEPS3_EEviiT0_iilPT_l
	.p2align	8
	.type	_ZN9rocsolver6v33100L12subtract_tauI19rocblas_complex_numIdEPS3_EEviiT0_iilPT_l,@function
_ZN9rocsolver6v33100L12subtract_tauI19rocblas_complex_numIdEPS3_EEviiT0_iilPT_l: ; @_ZN9rocsolver6v33100L12subtract_tauI19rocblas_complex_numIdEPS3_EEviiT0_iilPT_l
; %bb.0:
	s_clause 0x3
	s_load_b64 s[8:9], s[0:1], 0x10
	s_load_b128 s[4:7], s[0:1], 0x18
	s_load_b64 s[10:11], s[0:1], 0x28
	s_load_b128 s[0:3], s[0:1], 0x0
	s_waitcnt lgkmcnt(0)
	s_ashr_i32 s13, s8, 31
	s_mov_b32 s12, s8
	s_mul_i32 s5, s15, s5
	s_mul_hi_u32 s8, s15, s4
	s_mul_i32 s4, s15, s4
	s_add_i32 s5, s8, s5
	s_mul_i32 s8, s15, s11
	s_lshl_b64 s[4:5], s[4:5], 4
	s_mul_hi_u32 s11, s15, s10
	s_add_u32 s14, s2, s4
	s_addc_u32 s5, s3, s5
	s_lshl_b64 s[2:3], s[12:13], 4
	s_mul_i32 s4, s15, s10
	s_add_u32 s10, s14, s2
	s_addc_u32 s12, s5, s3
	s_add_i32 s5, s11, s8
	s_mul_i32 s1, s9, s1
	s_lshl_b64 s[2:3], s[4:5], 4
	s_delay_alu instid0(SALU_CYCLE_1) | instskip(SKIP_4) | instid1(SALU_CYCLE_1)
	s_add_u32 s2, s6, s2
	s_addc_u32 s3, s7, s3
	s_add_i32 s0, s1, s0
	s_load_b128 s[4:7], s[2:3], 0x0
	s_ashr_i32 s1, s0, 31
	s_lshl_b64 s[0:1], s[0:1], 4
	s_waitcnt lgkmcnt(0)
	s_xor_b32 s8, s5, 0x80000000
	s_xor_b32 s7, s7, 0x80000000
	v_dual_mov_b32 v4, 0 :: v_dual_mov_b32 v1, s8
	v_dual_mov_b32 v0, s4 :: v_dual_mov_b32 v3, s7
	v_mov_b32_e32 v2, s6
	s_add_u32 s0, s10, s0
	s_addc_u32 s1, s12, s1
	global_store_b128 v4, v[0:3], s[2:3]
	v_add_f64 v[0:1], -s[4:5], 1.0
	global_store_b128 v4, v[0:3], s[0:1]
	s_nop 0
	s_sendmsg sendmsg(MSG_DEALLOC_VGPRS)
	s_endpgm
	.section	.rodata,"a",@progbits
	.p2align	6, 0x0
	.amdhsa_kernel _ZN9rocsolver6v33100L12subtract_tauI19rocblas_complex_numIdEPS3_EEviiT0_iilPT_l
		.amdhsa_group_segment_fixed_size 0
		.amdhsa_private_segment_fixed_size 0
		.amdhsa_kernarg_size 48
		.amdhsa_user_sgpr_count 15
		.amdhsa_user_sgpr_dispatch_ptr 0
		.amdhsa_user_sgpr_queue_ptr 0
		.amdhsa_user_sgpr_kernarg_segment_ptr 1
		.amdhsa_user_sgpr_dispatch_id 0
		.amdhsa_user_sgpr_private_segment_size 0
		.amdhsa_wavefront_size32 1
		.amdhsa_uses_dynamic_stack 0
		.amdhsa_enable_private_segment 0
		.amdhsa_system_sgpr_workgroup_id_x 1
		.amdhsa_system_sgpr_workgroup_id_y 0
		.amdhsa_system_sgpr_workgroup_id_z 0
		.amdhsa_system_sgpr_workgroup_info 0
		.amdhsa_system_vgpr_workitem_id 0
		.amdhsa_next_free_vgpr 5
		.amdhsa_next_free_sgpr 16
		.amdhsa_reserve_vcc 0
		.amdhsa_float_round_mode_32 0
		.amdhsa_float_round_mode_16_64 0
		.amdhsa_float_denorm_mode_32 3
		.amdhsa_float_denorm_mode_16_64 3
		.amdhsa_dx10_clamp 1
		.amdhsa_ieee_mode 1
		.amdhsa_fp16_overflow 0
		.amdhsa_workgroup_processor_mode 1
		.amdhsa_memory_ordered 1
		.amdhsa_forward_progress 0
		.amdhsa_shared_vgpr_count 0
		.amdhsa_exception_fp_ieee_invalid_op 0
		.amdhsa_exception_fp_denorm_src 0
		.amdhsa_exception_fp_ieee_div_zero 0
		.amdhsa_exception_fp_ieee_overflow 0
		.amdhsa_exception_fp_ieee_underflow 0
		.amdhsa_exception_fp_ieee_inexact 0
		.amdhsa_exception_int_div_zero 0
	.end_amdhsa_kernel
	.section	.text._ZN9rocsolver6v33100L12subtract_tauI19rocblas_complex_numIdEPS3_EEviiT0_iilPT_l,"axG",@progbits,_ZN9rocsolver6v33100L12subtract_tauI19rocblas_complex_numIdEPS3_EEviiT0_iilPT_l,comdat
.Lfunc_end214:
	.size	_ZN9rocsolver6v33100L12subtract_tauI19rocblas_complex_numIdEPS3_EEviiT0_iilPT_l, .Lfunc_end214-_ZN9rocsolver6v33100L12subtract_tauI19rocblas_complex_numIdEPS3_EEviiT0_iilPT_l
                                        ; -- End function
	.section	.AMDGPU.csdata,"",@progbits
; Kernel info:
; codeLenInByte = 228
; NumSgprs: 16
; NumVgprs: 5
; ScratchSize: 0
; MemoryBound: 0
; FloatMode: 240
; IeeeMode: 1
; LDSByteSize: 0 bytes/workgroup (compile time only)
; SGPRBlocks: 1
; VGPRBlocks: 0
; NumSGPRsForWavesPerEU: 16
; NumVGPRsForWavesPerEU: 5
; Occupancy: 16
; WaveLimiterHint : 0
; COMPUTE_PGM_RSRC2:SCRATCH_EN: 0
; COMPUTE_PGM_RSRC2:USER_SGPR: 15
; COMPUTE_PGM_RSRC2:TRAP_HANDLER: 0
; COMPUTE_PGM_RSRC2:TGID_X_EN: 1
; COMPUTE_PGM_RSRC2:TGID_Y_EN: 0
; COMPUTE_PGM_RSRC2:TGID_Z_EN: 0
; COMPUTE_PGM_RSRC2:TIDIG_COMP_CNT: 0
	.section	.text._ZN9rocsolver6v33100L6restauI19rocblas_complex_numIdEEEviPT_l,"axG",@progbits,_ZN9rocsolver6v33100L6restauI19rocblas_complex_numIdEEEviPT_l,comdat
	.globl	_ZN9rocsolver6v33100L6restauI19rocblas_complex_numIdEEEviPT_l ; -- Begin function _ZN9rocsolver6v33100L6restauI19rocblas_complex_numIdEEEviPT_l
	.p2align	8
	.type	_ZN9rocsolver6v33100L6restauI19rocblas_complex_numIdEEEviPT_l,@function
_ZN9rocsolver6v33100L6restauI19rocblas_complex_numIdEEEviPT_l: ; @_ZN9rocsolver6v33100L6restauI19rocblas_complex_numIdEEEviPT_l
; %bb.0:
	s_clause 0x1
	s_load_b32 s2, s[0:1], 0x24
	s_load_b32 s3, s[0:1], 0x0
	s_waitcnt lgkmcnt(0)
	s_and_b32 s2, s2, 0xffff
	s_delay_alu instid0(SALU_CYCLE_1) | instskip(SKIP_1) | instid1(VALU_DEP_1)
	v_mad_u64_u32 v[1:2], null, s14, s2, v[0:1]
	s_mov_b32 s2, exec_lo
	v_cmpx_gt_u32_e64 s3, v1
	s_cbranch_execz .LBB215_2
; %bb.1:
	s_load_b128 s[0:3], s[0:1], 0x8
	v_mov_b32_e32 v2, 0
	s_delay_alu instid0(VALU_DEP_1)
	v_lshlrev_b64 v[0:1], 4, v[1:2]
	s_waitcnt lgkmcnt(0)
	s_mul_i32 s3, s15, s3
	s_mul_hi_u32 s4, s15, s2
	s_mul_i32 s2, s15, s2
	s_add_i32 s3, s4, s3
	s_delay_alu instid0(SALU_CYCLE_1) | instskip(NEXT) | instid1(SALU_CYCLE_1)
	s_lshl_b64 s[2:3], s[2:3], 4
	s_add_u32 s0, s0, s2
	s_addc_u32 s1, s1, s3
	v_add_co_u32 v4, vcc_lo, s0, v0
	v_add_co_ci_u32_e32 v5, vcc_lo, s1, v1, vcc_lo
	global_load_b128 v[0:3], v[4:5], off
	s_waitcnt vmcnt(0)
	v_xor_b32_e32 v1, 0x80000000, v1
	v_xor_b32_e32 v3, 0x80000000, v3
	global_store_b128 v[4:5], v[0:3], off
.LBB215_2:
	s_nop 0
	s_sendmsg sendmsg(MSG_DEALLOC_VGPRS)
	s_endpgm
	.section	.rodata,"a",@progbits
	.p2align	6, 0x0
	.amdhsa_kernel _ZN9rocsolver6v33100L6restauI19rocblas_complex_numIdEEEviPT_l
		.amdhsa_group_segment_fixed_size 0
		.amdhsa_private_segment_fixed_size 0
		.amdhsa_kernarg_size 280
		.amdhsa_user_sgpr_count 14
		.amdhsa_user_sgpr_dispatch_ptr 0
		.amdhsa_user_sgpr_queue_ptr 0
		.amdhsa_user_sgpr_kernarg_segment_ptr 1
		.amdhsa_user_sgpr_dispatch_id 0
		.amdhsa_user_sgpr_private_segment_size 0
		.amdhsa_wavefront_size32 1
		.amdhsa_uses_dynamic_stack 0
		.amdhsa_enable_private_segment 0
		.amdhsa_system_sgpr_workgroup_id_x 1
		.amdhsa_system_sgpr_workgroup_id_y 1
		.amdhsa_system_sgpr_workgroup_id_z 0
		.amdhsa_system_sgpr_workgroup_info 0
		.amdhsa_system_vgpr_workitem_id 0
		.amdhsa_next_free_vgpr 6
		.amdhsa_next_free_sgpr 16
		.amdhsa_reserve_vcc 1
		.amdhsa_float_round_mode_32 0
		.amdhsa_float_round_mode_16_64 0
		.amdhsa_float_denorm_mode_32 3
		.amdhsa_float_denorm_mode_16_64 3
		.amdhsa_dx10_clamp 1
		.amdhsa_ieee_mode 1
		.amdhsa_fp16_overflow 0
		.amdhsa_workgroup_processor_mode 1
		.amdhsa_memory_ordered 1
		.amdhsa_forward_progress 0
		.amdhsa_shared_vgpr_count 0
		.amdhsa_exception_fp_ieee_invalid_op 0
		.amdhsa_exception_fp_denorm_src 0
		.amdhsa_exception_fp_ieee_div_zero 0
		.amdhsa_exception_fp_ieee_overflow 0
		.amdhsa_exception_fp_ieee_underflow 0
		.amdhsa_exception_fp_ieee_inexact 0
		.amdhsa_exception_int_div_zero 0
	.end_amdhsa_kernel
	.section	.text._ZN9rocsolver6v33100L6restauI19rocblas_complex_numIdEEEviPT_l,"axG",@progbits,_ZN9rocsolver6v33100L6restauI19rocblas_complex_numIdEEEviPT_l,comdat
.Lfunc_end215:
	.size	_ZN9rocsolver6v33100L6restauI19rocblas_complex_numIdEEEviPT_l, .Lfunc_end215-_ZN9rocsolver6v33100L6restauI19rocblas_complex_numIdEEEviPT_l
                                        ; -- End function
	.section	.AMDGPU.csdata,"",@progbits
; Kernel info:
; codeLenInByte = 180
; NumSgprs: 18
; NumVgprs: 6
; ScratchSize: 0
; MemoryBound: 0
; FloatMode: 240
; IeeeMode: 1
; LDSByteSize: 0 bytes/workgroup (compile time only)
; SGPRBlocks: 2
; VGPRBlocks: 0
; NumSGPRsForWavesPerEU: 18
; NumVGPRsForWavesPerEU: 6
; Occupancy: 16
; WaveLimiterHint : 0
; COMPUTE_PGM_RSRC2:SCRATCH_EN: 0
; COMPUTE_PGM_RSRC2:USER_SGPR: 14
; COMPUTE_PGM_RSRC2:TRAP_HANDLER: 0
; COMPUTE_PGM_RSRC2:TGID_X_EN: 1
; COMPUTE_PGM_RSRC2:TGID_Y_EN: 1
; COMPUTE_PGM_RSRC2:TGID_Z_EN: 0
; COMPUTE_PGM_RSRC2:TIDIG_COMP_CNT: 0
	.section	.text._ZN9rocsolver6v33100L14copy_trans_matI19rocblas_complex_numIdES3_PS3_S4_NS0_7no_maskEEEv18rocblas_operation_iiT1_iilT2_iilT3_13rocblas_fill_17rocblas_diagonal_,"axG",@progbits,_ZN9rocsolver6v33100L14copy_trans_matI19rocblas_complex_numIdES3_PS3_S4_NS0_7no_maskEEEv18rocblas_operation_iiT1_iilT2_iilT3_13rocblas_fill_17rocblas_diagonal_,comdat
	.globl	_ZN9rocsolver6v33100L14copy_trans_matI19rocblas_complex_numIdES3_PS3_S4_NS0_7no_maskEEEv18rocblas_operation_iiT1_iilT2_iilT3_13rocblas_fill_17rocblas_diagonal_ ; -- Begin function _ZN9rocsolver6v33100L14copy_trans_matI19rocblas_complex_numIdES3_PS3_S4_NS0_7no_maskEEEv18rocblas_operation_iiT1_iilT2_iilT3_13rocblas_fill_17rocblas_diagonal_
	.p2align	8
	.type	_ZN9rocsolver6v33100L14copy_trans_matI19rocblas_complex_numIdES3_PS3_S4_NS0_7no_maskEEEv18rocblas_operation_iiT1_iilT2_iilT3_13rocblas_fill_17rocblas_diagonal_,@function
_ZN9rocsolver6v33100L14copy_trans_matI19rocblas_complex_numIdES3_PS3_S4_NS0_7no_maskEEEv18rocblas_operation_iiT1_iilT2_iilT3_13rocblas_fill_17rocblas_diagonal_: ; @_ZN9rocsolver6v33100L14copy_trans_matI19rocblas_complex_numIdES3_PS3_S4_NS0_7no_maskEEEv18rocblas_operation_iiT1_iilT2_iilT3_13rocblas_fill_17rocblas_diagonal_
; %bb.0:
	s_clause 0x1
	s_load_b32 s2, s[0:1], 0x5c
	s_load_b128 s[16:19], s[0:1], 0x0
	v_and_b32_e32 v2, 0x3ff, v0
	v_bfe_u32 v3, v0, 10, 10
	s_waitcnt lgkmcnt(0)
	s_lshr_b32 s3, s2, 16
	s_and_b32 s2, s2, 0xffff
	s_delay_alu instid0(VALU_DEP_1) | instid1(SALU_CYCLE_1)
	v_mad_u64_u32 v[0:1], null, s13, s2, v[2:3]
	v_mad_u64_u32 v[1:2], null, s14, s3, v[3:4]
	s_delay_alu instid0(VALU_DEP_2) | instskip(NEXT) | instid1(VALU_DEP_2)
	v_cmp_gt_u32_e32 vcc_lo, s17, v0
	v_cmp_gt_u32_e64 s2, s18, v1
	s_delay_alu instid0(VALU_DEP_1) | instskip(NEXT) | instid1(SALU_CYCLE_1)
	s_and_b32 s2, s2, vcc_lo
	s_and_saveexec_b32 s3, s2
	s_cbranch_execz .LBB216_18
; %bb.1:
	s_load_b64 s[4:5], s[0:1], 0x44
	s_waitcnt lgkmcnt(0)
	s_cmpk_lt_i32 s4, 0x7a
	s_cbranch_scc1 .LBB216_4
; %bb.2:
	s_cmpk_gt_i32 s4, 0x7a
	s_cbranch_scc0 .LBB216_5
; %bb.3:
	s_cmpk_lg_i32 s4, 0x7b
	s_mov_b32 s3, -1
	s_cselect_b32 s6, -1, 0
	s_cbranch_execz .LBB216_6
	s_branch .LBB216_7
.LBB216_4:
	s_mov_b32 s6, 0
	s_mov_b32 s3, 0
	s_cbranch_execnz .LBB216_8
	s_branch .LBB216_10
.LBB216_5:
	s_mov_b32 s3, 0
	s_mov_b32 s6, 0
.LBB216_6:
	v_cmp_gt_u32_e32 vcc_lo, v0, v1
	v_cmp_le_u32_e64 s2, v0, v1
	s_and_not1_b32 s3, s3, exec_lo
	s_and_not1_b32 s6, s6, exec_lo
	s_and_b32 s7, vcc_lo, exec_lo
	s_delay_alu instid0(VALU_DEP_1)
	s_and_b32 s2, s2, exec_lo
	s_or_b32 s3, s3, s7
	s_or_b32 s6, s6, s2
.LBB216_7:
	s_branch .LBB216_10
.LBB216_8:
	s_cmpk_eq_i32 s4, 0x79
	s_mov_b32 s6, -1
	s_cbranch_scc0 .LBB216_10
; %bb.9:
	v_cmp_gt_u32_e32 vcc_lo, v1, v0
	v_cmp_le_u32_e64 s2, v1, v0
	s_and_not1_b32 s3, s3, exec_lo
	s_and_b32 s4, vcc_lo, exec_lo
	s_delay_alu instid0(VALU_DEP_1)
	s_or_not1_b32 s6, s2, exec_lo
	s_or_b32 s3, s3, s4
.LBB216_10:
	s_and_saveexec_b32 s2, s6
; %bb.11:
	v_cmp_eq_u32_e32 vcc_lo, v0, v1
	s_cmpk_eq_i32 s5, 0x83
	s_cselect_b32 s4, -1, 0
	s_and_not1_b32 s3, s3, exec_lo
	s_and_b32 s4, s4, vcc_lo
	s_delay_alu instid0(SALU_CYCLE_1) | instskip(NEXT) | instid1(SALU_CYCLE_1)
	s_and_b32 s4, s4, exec_lo
	s_or_b32 s3, s3, s4
; %bb.12:
	s_or_b32 exec_lo, exec_lo, s2
	s_delay_alu instid0(SALU_CYCLE_1)
	s_and_b32 exec_lo, exec_lo, s3
	s_cbranch_execz .LBB216_18
; %bb.13:
	s_clause 0x1
	s_load_b256 s[4:11], s[0:1], 0x10
	s_load_b128 s[0:3], s[0:1], 0x30
	s_mov_b32 s12, 0
	s_waitcnt lgkmcnt(0)
	s_mul_i32 s9, s15, s9
	s_mul_hi_u32 s13, s15, s8
	v_mad_u64_u32 v[2:3], null, v1, s7, v[0:1]
	s_mul_i32 s8, s15, s8
	s_add_i32 s9, s13, s9
	v_mov_b32_e32 v3, 0
	s_lshl_b64 s[8:9], s[8:9], 4
	s_ashr_i32 s19, s6, 31
	s_mov_b32 s18, s6
	s_add_u32 s7, s4, s8
	s_addc_u32 s8, s5, s9
	s_lshl_b64 s[4:5], s[18:19], 4
	s_mul_i32 s3, s15, s3
	s_mul_hi_u32 s14, s15, s2
	v_lshlrev_b64 v[2:3], 4, v[2:3]
	s_add_u32 s4, s7, s4
	s_mul_i32 s2, s15, s2
	s_addc_u32 s5, s8, s5
	s_add_i32 s3, s14, s3
	s_mov_b32 s6, s0
	s_lshl_b64 s[2:3], s[2:3], 4
	s_ashr_i32 s7, s0, 31
	s_add_u32 s0, s10, s2
	v_add_co_u32 v2, vcc_lo, s4, v2
	s_addc_u32 s8, s11, s3
	s_lshl_b64 s[2:3], s[6:7], 4
	v_add_co_ci_u32_e32 v3, vcc_lo, s5, v3, vcc_lo
	s_add_u32 s0, s0, s2
	s_addc_u32 s2, s8, s3
	s_mov_b32 s4, -1
	s_cmpk_lt_i32 s16, 0x71
	s_mov_b32 s3, 0
	s_cbranch_scc0 .LBB216_19
; %bb.14:
	s_and_b32 vcc_lo, exec_lo, s4
	s_cbranch_vccnz .LBB216_22
.LBB216_15:
	s_and_not1_b32 vcc_lo, exec_lo, s3
	s_cbranch_vccz .LBB216_23
.LBB216_16:
	s_and_not1_b32 vcc_lo, exec_lo, s12
	s_cbranch_vccnz .LBB216_18
.LBB216_17:
	global_load_b128 v[2:5], v[2:3], off
	s_waitcnt vmcnt(0)
	v_mad_u64_u32 v[6:7], null, v0, s1, v[1:2]
	v_mov_b32_e32 v7, 0
	s_delay_alu instid0(VALU_DEP_1) | instskip(NEXT) | instid1(VALU_DEP_1)
	v_lshlrev_b64 v[0:1], 4, v[6:7]
	v_add_co_u32 v0, vcc_lo, s0, v0
	s_delay_alu instid0(VALU_DEP_2)
	v_add_co_ci_u32_e32 v1, vcc_lo, s2, v1, vcc_lo
	global_store_b128 v[0:1], v[2:5], off
.LBB216_18:
	s_nop 0
	s_sendmsg sendmsg(MSG_DEALLOC_VGPRS)
	s_endpgm
.LBB216_19:
	s_cmpk_eq_i32 s16, 0x71
	s_mov_b32 s3, -1
	s_cbranch_scc0 .LBB216_21
; %bb.20:
	global_load_b128 v[4:7], v[2:3], off
	v_mad_u64_u32 v[8:9], null, v0, s1, v[1:2]
	v_mov_b32_e32 v9, 0
	s_mov_b32 s3, 0
	s_delay_alu instid0(VALU_DEP_1) | instskip(NEXT) | instid1(VALU_DEP_1)
	v_lshlrev_b64 v[8:9], 4, v[8:9]
	v_add_co_u32 v8, vcc_lo, s0, v8
	s_delay_alu instid0(VALU_DEP_2)
	v_add_co_ci_u32_e32 v9, vcc_lo, s2, v9, vcc_lo
	s_waitcnt vmcnt(0)
	v_xor_b32_e32 v7, 0x80000000, v7
	global_store_b128 v[8:9], v[4:7], off
.LBB216_21:
	s_branch .LBB216_15
.LBB216_22:
	s_cmpk_lg_i32 s16, 0x70
	s_mov_b32 s12, -1
	s_cselect_b32 s3, -1, 0
	s_delay_alu instid0(SALU_CYCLE_1)
	s_and_not1_b32 vcc_lo, exec_lo, s3
	s_cbranch_vccnz .LBB216_16
.LBB216_23:
	global_load_b128 v[4:7], v[2:3], off
	v_mad_u64_u32 v[8:9], null, v1, s1, v[0:1]
	v_mov_b32_e32 v9, 0
	s_delay_alu instid0(VALU_DEP_1) | instskip(NEXT) | instid1(VALU_DEP_1)
	v_lshlrev_b64 v[8:9], 4, v[8:9]
	v_add_co_u32 v8, vcc_lo, s0, v8
	s_delay_alu instid0(VALU_DEP_2)
	v_add_co_ci_u32_e32 v9, vcc_lo, s2, v9, vcc_lo
	s_waitcnt vmcnt(0)
	global_store_b128 v[8:9], v[4:7], off
	s_cbranch_execz .LBB216_17
	s_branch .LBB216_18
	.section	.rodata,"a",@progbits
	.p2align	6, 0x0
	.amdhsa_kernel _ZN9rocsolver6v33100L14copy_trans_matI19rocblas_complex_numIdES3_PS3_S4_NS0_7no_maskEEEv18rocblas_operation_iiT1_iilT2_iilT3_13rocblas_fill_17rocblas_diagonal_
		.amdhsa_group_segment_fixed_size 0
		.amdhsa_private_segment_fixed_size 0
		.amdhsa_kernarg_size 336
		.amdhsa_user_sgpr_count 13
		.amdhsa_user_sgpr_dispatch_ptr 0
		.amdhsa_user_sgpr_queue_ptr 0
		.amdhsa_user_sgpr_kernarg_segment_ptr 1
		.amdhsa_user_sgpr_dispatch_id 0
		.amdhsa_user_sgpr_private_segment_size 0
		.amdhsa_wavefront_size32 1
		.amdhsa_uses_dynamic_stack 0
		.amdhsa_enable_private_segment 0
		.amdhsa_system_sgpr_workgroup_id_x 1
		.amdhsa_system_sgpr_workgroup_id_y 1
		.amdhsa_system_sgpr_workgroup_id_z 1
		.amdhsa_system_sgpr_workgroup_info 0
		.amdhsa_system_vgpr_workitem_id 1
		.amdhsa_next_free_vgpr 10
		.amdhsa_next_free_sgpr 20
		.amdhsa_reserve_vcc 1
		.amdhsa_float_round_mode_32 0
		.amdhsa_float_round_mode_16_64 0
		.amdhsa_float_denorm_mode_32 3
		.amdhsa_float_denorm_mode_16_64 3
		.amdhsa_dx10_clamp 1
		.amdhsa_ieee_mode 1
		.amdhsa_fp16_overflow 0
		.amdhsa_workgroup_processor_mode 1
		.amdhsa_memory_ordered 1
		.amdhsa_forward_progress 0
		.amdhsa_shared_vgpr_count 0
		.amdhsa_exception_fp_ieee_invalid_op 0
		.amdhsa_exception_fp_denorm_src 0
		.amdhsa_exception_fp_ieee_div_zero 0
		.amdhsa_exception_fp_ieee_overflow 0
		.amdhsa_exception_fp_ieee_underflow 0
		.amdhsa_exception_fp_ieee_inexact 0
		.amdhsa_exception_int_div_zero 0
	.end_amdhsa_kernel
	.section	.text._ZN9rocsolver6v33100L14copy_trans_matI19rocblas_complex_numIdES3_PS3_S4_NS0_7no_maskEEEv18rocblas_operation_iiT1_iilT2_iilT3_13rocblas_fill_17rocblas_diagonal_,"axG",@progbits,_ZN9rocsolver6v33100L14copy_trans_matI19rocblas_complex_numIdES3_PS3_S4_NS0_7no_maskEEEv18rocblas_operation_iiT1_iilT2_iilT3_13rocblas_fill_17rocblas_diagonal_,comdat
.Lfunc_end216:
	.size	_ZN9rocsolver6v33100L14copy_trans_matI19rocblas_complex_numIdES3_PS3_S4_NS0_7no_maskEEEv18rocblas_operation_iiT1_iilT2_iilT3_13rocblas_fill_17rocblas_diagonal_, .Lfunc_end216-_ZN9rocsolver6v33100L14copy_trans_matI19rocblas_complex_numIdES3_PS3_S4_NS0_7no_maskEEEv18rocblas_operation_iiT1_iilT2_iilT3_13rocblas_fill_17rocblas_diagonal_
                                        ; -- End function
	.section	.AMDGPU.csdata,"",@progbits
; Kernel info:
; codeLenInByte = 764
; NumSgprs: 22
; NumVgprs: 10
; ScratchSize: 0
; MemoryBound: 0
; FloatMode: 240
; IeeeMode: 1
; LDSByteSize: 0 bytes/workgroup (compile time only)
; SGPRBlocks: 2
; VGPRBlocks: 1
; NumSGPRsForWavesPerEU: 22
; NumVGPRsForWavesPerEU: 10
; Occupancy: 16
; WaveLimiterHint : 0
; COMPUTE_PGM_RSRC2:SCRATCH_EN: 0
; COMPUTE_PGM_RSRC2:USER_SGPR: 13
; COMPUTE_PGM_RSRC2:TRAP_HANDLER: 0
; COMPUTE_PGM_RSRC2:TGID_X_EN: 1
; COMPUTE_PGM_RSRC2:TGID_Y_EN: 1
; COMPUTE_PGM_RSRC2:TGID_Z_EN: 1
; COMPUTE_PGM_RSRC2:TIDIG_COMP_CNT: 1
	.section	.text._ZN9rocsolver6v33100L16orgl2_init_identI19rocblas_complex_numIdEPS3_EEviiiT0_iil,"axG",@progbits,_ZN9rocsolver6v33100L16orgl2_init_identI19rocblas_complex_numIdEPS3_EEviiiT0_iil,comdat
	.globl	_ZN9rocsolver6v33100L16orgl2_init_identI19rocblas_complex_numIdEPS3_EEviiiT0_iil ; -- Begin function _ZN9rocsolver6v33100L16orgl2_init_identI19rocblas_complex_numIdEPS3_EEviiiT0_iil
	.p2align	8
	.type	_ZN9rocsolver6v33100L16orgl2_init_identI19rocblas_complex_numIdEPS3_EEviiiT0_iil,@function
_ZN9rocsolver6v33100L16orgl2_init_identI19rocblas_complex_numIdEPS3_EEviiiT0_iil: ; @_ZN9rocsolver6v33100L16orgl2_init_identI19rocblas_complex_numIdEPS3_EEviiiT0_iil
; %bb.0:
	s_clause 0x1
	s_load_b32 s2, s[0:1], 0x34
	s_load_b128 s[4:7], s[0:1], 0x0
	v_and_b32_e32 v1, 0x3ff, v0
	v_bfe_u32 v0, v0, 10, 10
	s_waitcnt lgkmcnt(0)
	s_lshr_b32 s3, s2, 16
	s_and_b32 s2, s2, 0xffff
	s_delay_alu instid0(SALU_CYCLE_1) | instskip(SKIP_1) | instid1(VALU_DEP_2)
	v_mad_u64_u32 v[4:5], null, s13, s2, v[1:2]
	v_mad_u64_u32 v[2:3], null, s14, s3, v[0:1]
	v_cmp_gt_u32_e32 vcc_lo, s4, v4
	s_delay_alu instid0(VALU_DEP_2) | instskip(NEXT) | instid1(VALU_DEP_1)
	v_cmp_gt_u32_e64 s2, s5, v2
	s_and_b32 s2, vcc_lo, s2
	s_delay_alu instid0(SALU_CYCLE_1)
	s_and_saveexec_b32 s3, s2
	s_cbranch_execz .LBB217_5
; %bb.1:
	s_clause 0x1
	s_load_b64 s[4:5], s[0:1], 0x20
	s_load_b128 s[0:3], s[0:1], 0x10
                                        ; implicit-def: $vgpr0_vgpr1
	s_waitcnt lgkmcnt(0)
	s_mul_i32 s5, s15, s5
	s_mul_hi_u32 s7, s15, s4
	s_mul_i32 s4, s15, s4
	s_add_i32 s5, s7, s5
	s_ashr_i32 s9, s2, 31
	s_lshl_b64 s[4:5], s[4:5], 4
	s_mov_b32 s8, s2
	s_add_u32 s2, s0, s4
	s_addc_u32 s4, s1, s5
	s_lshl_b64 s[0:1], s[8:9], 4
	s_delay_alu instid0(SALU_CYCLE_1)
	s_add_u32 s0, s2, s0
	s_addc_u32 s1, s4, s1
	s_mov_b32 s4, 0
	s_mov_b32 s2, exec_lo
	v_cmpx_ne_u32_e64 v4, v2
	s_xor_b32 s2, exec_lo, s2
	s_cbranch_execnz .LBB217_6
; %bb.2:
	s_and_not1_saveexec_b32 s2, s2
	s_cbranch_execnz .LBB217_13
.LBB217_3:
	s_or_b32 exec_lo, exec_lo, s2
	s_delay_alu instid0(SALU_CYCLE_1)
	s_and_b32 exec_lo, exec_lo, s4
	s_cbranch_execz .LBB217_5
.LBB217_4:
	v_mov_b32_e32 v2, 0
	s_delay_alu instid0(VALU_DEP_1)
	v_mov_b32_e32 v3, v2
	global_store_b64 v[0:1], v[2:3], off
.LBB217_5:
	s_nop 0
	s_sendmsg sendmsg(MSG_DEALLOC_VGPRS)
	s_endpgm
.LBB217_6:
	s_mov_b32 s5, exec_lo
                                        ; implicit-def: $vgpr0_vgpr1
	v_cmpx_ge_u32_e64 v2, v4
	s_xor_b32 s5, exec_lo, s5
	s_cbranch_execz .LBB217_10
; %bb.7:
	v_cmp_le_u32_e32 vcc_lo, s6, v4
                                        ; implicit-def: $vgpr0_vgpr1
	s_and_saveexec_b32 s6, vcc_lo
	s_delay_alu instid0(SALU_CYCLE_1)
	s_xor_b32 s6, exec_lo, s6
	s_cbranch_execz .LBB217_9
; %bb.8:
	v_mad_u64_u32 v[5:6], null, v2, s3, v[4:5]
	v_mov_b32_e32 v6, 0
	s_mov_b32 s4, exec_lo
	s_delay_alu instid0(VALU_DEP_1) | instskip(SKIP_1) | instid1(VALU_DEP_2)
	v_lshlrev_b64 v[0:1], 4, v[5:6]
	v_mov_b32_e32 v5, v6
	v_add_co_u32 v2, vcc_lo, s0, v0
	s_delay_alu instid0(VALU_DEP_3) | instskip(NEXT) | instid1(VALU_DEP_2)
	v_add_co_ci_u32_e32 v3, vcc_lo, s1, v1, vcc_lo
	v_add_co_u32 v0, vcc_lo, v2, 8
	s_delay_alu instid0(VALU_DEP_2)
	v_add_co_ci_u32_e32 v1, vcc_lo, 0, v3, vcc_lo
	global_store_b64 v[2:3], v[5:6], off
.LBB217_9:
	s_or_b32 exec_lo, exec_lo, s6
	s_delay_alu instid0(SALU_CYCLE_1)
	s_and_b32 s4, s4, exec_lo
                                        ; implicit-def: $vgpr4_vgpr5
                                        ; implicit-def: $vgpr2_vgpr3
.LBB217_10:
	s_and_not1_saveexec_b32 s5, s5
	s_cbranch_execz .LBB217_12
; %bb.11:
	v_mad_u64_u32 v[5:6], null, v2, s3, v[4:5]
	v_mov_b32_e32 v6, 0
	s_or_b32 s4, s4, exec_lo
	s_delay_alu instid0(VALU_DEP_1) | instskip(SKIP_1) | instid1(VALU_DEP_2)
	v_lshlrev_b64 v[0:1], 4, v[5:6]
	v_mov_b32_e32 v5, v6
	v_add_co_u32 v2, vcc_lo, s0, v0
	s_delay_alu instid0(VALU_DEP_3) | instskip(NEXT) | instid1(VALU_DEP_2)
	v_add_co_ci_u32_e32 v3, vcc_lo, s1, v1, vcc_lo
	v_add_co_u32 v0, vcc_lo, v2, 8
	s_delay_alu instid0(VALU_DEP_2)
	v_add_co_ci_u32_e32 v1, vcc_lo, 0, v3, vcc_lo
	global_store_b64 v[2:3], v[5:6], off
.LBB217_12:
	s_or_b32 exec_lo, exec_lo, s5
	s_delay_alu instid0(SALU_CYCLE_1)
	s_and_b32 s4, s4, exec_lo
                                        ; implicit-def: $vgpr2_vgpr3
	s_and_not1_saveexec_b32 s2, s2
	s_cbranch_execz .LBB217_3
.LBB217_13:
	v_mad_u64_u32 v[0:1], null, v2, s3, v[2:3]
	v_dual_mov_b32 v1, 0 :: v_dual_mov_b32 v4, 0x3ff00000
	s_or_b32 s4, s4, exec_lo
	s_delay_alu instid0(VALU_DEP_1) | instskip(NEXT) | instid1(VALU_DEP_1)
	v_lshlrev_b64 v[2:3], 4, v[0:1]
	v_add_co_u32 v5, vcc_lo, s0, v2
	s_delay_alu instid0(VALU_DEP_2) | instskip(SKIP_1) | instid1(VALU_DEP_3)
	v_add_co_ci_u32_e32 v6, vcc_lo, s1, v3, vcc_lo
	v_mov_b32_e32 v3, v1
	v_add_co_u32 v0, vcc_lo, v5, 8
	s_delay_alu instid0(VALU_DEP_3) | instskip(SKIP_2) | instid1(SALU_CYCLE_1)
	v_add_co_ci_u32_e32 v1, vcc_lo, 0, v6, vcc_lo
	global_store_b64 v[5:6], v[3:4], off
	s_or_b32 exec_lo, exec_lo, s2
	s_and_b32 exec_lo, exec_lo, s4
	s_cbranch_execnz .LBB217_4
	s_branch .LBB217_5
	.section	.rodata,"a",@progbits
	.p2align	6, 0x0
	.amdhsa_kernel _ZN9rocsolver6v33100L16orgl2_init_identI19rocblas_complex_numIdEPS3_EEviiiT0_iil
		.amdhsa_group_segment_fixed_size 0
		.amdhsa_private_segment_fixed_size 0
		.amdhsa_kernarg_size 296
		.amdhsa_user_sgpr_count 13
		.amdhsa_user_sgpr_dispatch_ptr 0
		.amdhsa_user_sgpr_queue_ptr 0
		.amdhsa_user_sgpr_kernarg_segment_ptr 1
		.amdhsa_user_sgpr_dispatch_id 0
		.amdhsa_user_sgpr_private_segment_size 0
		.amdhsa_wavefront_size32 1
		.amdhsa_uses_dynamic_stack 0
		.amdhsa_enable_private_segment 0
		.amdhsa_system_sgpr_workgroup_id_x 1
		.amdhsa_system_sgpr_workgroup_id_y 1
		.amdhsa_system_sgpr_workgroup_id_z 1
		.amdhsa_system_sgpr_workgroup_info 0
		.amdhsa_system_vgpr_workitem_id 1
		.amdhsa_next_free_vgpr 7
		.amdhsa_next_free_sgpr 16
		.amdhsa_reserve_vcc 1
		.amdhsa_float_round_mode_32 0
		.amdhsa_float_round_mode_16_64 0
		.amdhsa_float_denorm_mode_32 3
		.amdhsa_float_denorm_mode_16_64 3
		.amdhsa_dx10_clamp 1
		.amdhsa_ieee_mode 1
		.amdhsa_fp16_overflow 0
		.amdhsa_workgroup_processor_mode 1
		.amdhsa_memory_ordered 1
		.amdhsa_forward_progress 0
		.amdhsa_shared_vgpr_count 0
		.amdhsa_exception_fp_ieee_invalid_op 0
		.amdhsa_exception_fp_denorm_src 0
		.amdhsa_exception_fp_ieee_div_zero 0
		.amdhsa_exception_fp_ieee_overflow 0
		.amdhsa_exception_fp_ieee_underflow 0
		.amdhsa_exception_fp_ieee_inexact 0
		.amdhsa_exception_int_div_zero 0
	.end_amdhsa_kernel
	.section	.text._ZN9rocsolver6v33100L16orgl2_init_identI19rocblas_complex_numIdEPS3_EEviiiT0_iil,"axG",@progbits,_ZN9rocsolver6v33100L16orgl2_init_identI19rocblas_complex_numIdEPS3_EEviiiT0_iil,comdat
.Lfunc_end217:
	.size	_ZN9rocsolver6v33100L16orgl2_init_identI19rocblas_complex_numIdEPS3_EEviiiT0_iil, .Lfunc_end217-_ZN9rocsolver6v33100L16orgl2_init_identI19rocblas_complex_numIdEPS3_EEviiiT0_iil
                                        ; -- End function
	.section	.AMDGPU.csdata,"",@progbits
; Kernel info:
; codeLenInByte = 580
; NumSgprs: 18
; NumVgprs: 7
; ScratchSize: 0
; MemoryBound: 0
; FloatMode: 240
; IeeeMode: 1
; LDSByteSize: 0 bytes/workgroup (compile time only)
; SGPRBlocks: 2
; VGPRBlocks: 0
; NumSGPRsForWavesPerEU: 18
; NumVGPRsForWavesPerEU: 7
; Occupancy: 16
; WaveLimiterHint : 0
; COMPUTE_PGM_RSRC2:SCRATCH_EN: 0
; COMPUTE_PGM_RSRC2:USER_SGPR: 13
; COMPUTE_PGM_RSRC2:TRAP_HANDLER: 0
; COMPUTE_PGM_RSRC2:TGID_X_EN: 1
; COMPUTE_PGM_RSRC2:TGID_Y_EN: 1
; COMPUTE_PGM_RSRC2:TGID_Z_EN: 1
; COMPUTE_PGM_RSRC2:TIDIG_COMP_CNT: 1
	.text
	.p2alignl 7, 3214868480
	.fill 96, 4, 3214868480
	.type	__hip_cuid_c61b9c3fb748df95,@object ; @__hip_cuid_c61b9c3fb748df95
	.section	.bss,"aw",@nobits
	.globl	__hip_cuid_c61b9c3fb748df95
__hip_cuid_c61b9c3fb748df95:
	.byte	0                               ; 0x0
	.size	__hip_cuid_c61b9c3fb748df95, 1

	.type	llvm.amdgcn.lds.offset.table,@object ; @llvm.amdgcn.lds.offset.table
	.section	.data.rel.ro,"aw",@progbits
	.p2align	4, 0x0
llvm.amdgcn.lds.offset.table:
	.long	0+16
	.long	0+20
	.long	0
	.long	0+24
	.long	0+28
	;; [unrolled: 1-line block ×8, first 2 shown]
	.long	0
	.long	0+24
	.long	0+28
	;; [unrolled: 1-line block ×6, first 2 shown]
	.size	llvm.amdgcn.lds.offset.table, 72

	.ident	"AMD clang version 19.0.0git (https://github.com/RadeonOpenCompute/llvm-project roc-6.4.0 25133 c7fe45cf4b819c5991fe208aaa96edf142730f1d)"
	.section	".note.GNU-stack","",@progbits
	.addrsig
	.addrsig_sym __hip_cuid_c61b9c3fb748df95
	.amdgpu_metadata
---
amdhsa.kernels:
  - .args:
      - .offset:         0
        .size:           4
        .value_kind:     by_value
      - .offset:         4
        .size:           4
        .value_kind:     by_value
      - .offset:         8
        .size:           4
        .value_kind:     by_value
      - .address_space:  global
        .offset:         16
        .size:           8
        .value_kind:     global_buffer
      - .offset:         24
        .size:           4
        .value_kind:     hidden_block_count_x
      - .offset:         28
        .size:           4
        .value_kind:     hidden_block_count_y
      - .offset:         32
        .size:           4
        .value_kind:     hidden_block_count_z
      - .offset:         36
        .size:           2
        .value_kind:     hidden_group_size_x
      - .offset:         38
        .size:           2
        .value_kind:     hidden_group_size_y
      - .offset:         40
        .size:           2
        .value_kind:     hidden_group_size_z
      - .offset:         42
        .size:           2
        .value_kind:     hidden_remainder_x
      - .offset:         44
        .size:           2
        .value_kind:     hidden_remainder_y
      - .offset:         46
        .size:           2
        .value_kind:     hidden_remainder_z
      - .offset:         64
        .size:           8
        .value_kind:     hidden_global_offset_x
      - .offset:         72
        .size:           8
        .value_kind:     hidden_global_offset_y
      - .offset:         80
        .size:           8
        .value_kind:     hidden_global_offset_z
      - .offset:         88
        .size:           2
        .value_kind:     hidden_grid_dims
    .group_segment_fixed_size: 0
    .kernarg_segment_align: 8
    .kernarg_segment_size: 280
    .language:       OpenCL C
    .language_version:
      - 2
      - 0
    .max_flat_workgroup_size: 512
    .name:           _ZN9rocsolver6v33100L19stedc_update_splitsEiiiPi
    .private_segment_fixed_size: 0
    .sgpr_count:     27
    .sgpr_spill_count: 0
    .symbol:         _ZN9rocsolver6v33100L19stedc_update_splitsEiiiPi.kd
    .uniform_work_group_size: 1
    .uses_dynamic_stack: false
    .vgpr_count:     10
    .vgpr_spill_count: 0
    .wavefront_size: 32
    .workgroup_processor_mode: 1
  - .args:
      - .address_space:  global
        .offset:         0
        .size:           8
        .value_kind:     global_buffer
      - .offset:         8
        .size:           4
        .value_kind:     by_value
      - .offset:         12
        .size:           4
        .value_kind:     by_value
    .group_segment_fixed_size: 0
    .kernarg_segment_align: 8
    .kernarg_segment_size: 16
    .language:       OpenCL C
    .language_version:
      - 2
      - 0
    .max_flat_workgroup_size: 32
    .name:           _ZN9rocsolver6v33100L6iota_nIfEEvPT_jS2_
    .private_segment_fixed_size: 0
    .sgpr_count:     6
    .sgpr_spill_count: 0
    .symbol:         _ZN9rocsolver6v33100L6iota_nIfEEvPT_jS2_.kd
    .uniform_work_group_size: 1
    .uses_dynamic_stack: false
    .vgpr_count:     2
    .vgpr_spill_count: 0
    .wavefront_size: 32
    .workgroup_processor_mode: 1
  - .args:
      - .address_space:  global
        .offset:         0
        .size:           8
        .value_kind:     global_buffer
      - .offset:         8
        .size:           4
        .value_kind:     by_value
      - .offset:         12
        .size:           4
        .value_kind:     by_value
      - .offset:         16
        .size:           4
        .value_kind:     by_value
      - .offset:         24
        .size:           4
        .value_kind:     hidden_block_count_x
      - .offset:         28
        .size:           4
        .value_kind:     hidden_block_count_y
      - .offset:         32
        .size:           4
        .value_kind:     hidden_block_count_z
      - .offset:         36
        .size:           2
        .value_kind:     hidden_group_size_x
      - .offset:         38
        .size:           2
        .value_kind:     hidden_group_size_y
      - .offset:         40
        .size:           2
        .value_kind:     hidden_group_size_z
      - .offset:         42
        .size:           2
        .value_kind:     hidden_remainder_x
      - .offset:         44
        .size:           2
        .value_kind:     hidden_remainder_y
      - .offset:         46
        .size:           2
        .value_kind:     hidden_remainder_z
      - .offset:         64
        .size:           8
        .value_kind:     hidden_global_offset_x
      - .offset:         72
        .size:           8
        .value_kind:     hidden_global_offset_y
      - .offset:         80
        .size:           8
        .value_kind:     hidden_global_offset_z
      - .offset:         88
        .size:           2
        .value_kind:     hidden_grid_dims
    .group_segment_fixed_size: 0
    .kernarg_segment_align: 8
    .kernarg_segment_size: 280
    .language:       OpenCL C
    .language_version:
      - 2
      - 0
    .max_flat_workgroup_size: 1024
    .name:           _ZN9rocsolver6v33100L10reset_infoIiiiEEvPT_T0_T1_S4_
    .private_segment_fixed_size: 0
    .sgpr_count:     18
    .sgpr_spill_count: 0
    .symbol:         _ZN9rocsolver6v33100L10reset_infoIiiiEEvPT_T0_T1_S4_.kd
    .uniform_work_group_size: 1
    .uses_dynamic_stack: false
    .vgpr_count:     6
    .vgpr_spill_count: 0
    .wavefront_size: 32
    .workgroup_processor_mode: 1
  - .args:
      - .offset:         0
        .size:           4
        .value_kind:     by_value
      - .address_space:  global
        .offset:         8
        .size:           8
        .value_kind:     global_buffer
      - .offset:         16
        .size:           8
        .value_kind:     by_value
      - .address_space:  global
        .offset:         24
        .size:           8
        .value_kind:     global_buffer
      - .offset:         32
        .size:           8
        .value_kind:     by_value
      - .offset:         40
        .size:           4
        .value_kind:     by_value
      - .offset:         48
        .size:           4
        .value_kind:     hidden_block_count_x
      - .offset:         52
        .size:           4
        .value_kind:     hidden_block_count_y
      - .offset:         56
        .size:           4
        .value_kind:     hidden_block_count_z
      - .offset:         60
        .size:           2
        .value_kind:     hidden_group_size_x
      - .offset:         62
        .size:           2
        .value_kind:     hidden_group_size_y
      - .offset:         64
        .size:           2
        .value_kind:     hidden_group_size_z
      - .offset:         66
        .size:           2
        .value_kind:     hidden_remainder_x
      - .offset:         68
        .size:           2
        .value_kind:     hidden_remainder_y
      - .offset:         70
        .size:           2
        .value_kind:     hidden_remainder_z
      - .offset:         88
        .size:           8
        .value_kind:     hidden_global_offset_x
      - .offset:         96
        .size:           8
        .value_kind:     hidden_global_offset_y
      - .offset:         104
        .size:           8
        .value_kind:     hidden_global_offset_z
      - .offset:         112
        .size:           2
        .value_kind:     hidden_grid_dims
    .group_segment_fixed_size: 0
    .kernarg_segment_align: 8
    .kernarg_segment_size: 304
    .language:       OpenCL C
    .language_version:
      - 2
      - 0
    .max_flat_workgroup_size: 1024
    .name:           _ZN9rocsolver6v33100L16syev_scalar_caseIfPfTnNSt9enable_ifIXnt18rocblas_is_complexIT_EEiE4typeELi0EEEv14rocblas_evect_T0_lPS4_li
    .private_segment_fixed_size: 0
    .sgpr_count:     18
    .sgpr_spill_count: 0
    .symbol:         _ZN9rocsolver6v33100L16syev_scalar_caseIfPfTnNSt9enable_ifIXnt18rocblas_is_complexIT_EEiE4typeELi0EEEv14rocblas_evect_T0_lPS4_li.kd
    .uniform_work_group_size: 1
    .uses_dynamic_stack: false
    .vgpr_count:     8
    .vgpr_spill_count: 0
    .wavefront_size: 32
    .workgroup_processor_mode: 1
  - .args:
      - .offset:         0
        .size:           4
        .value_kind:     by_value
      - .address_space:  global
        .offset:         8
        .size:           8
        .value_kind:     global_buffer
      - .offset:         16
        .size:           8
        .value_kind:     by_value
      - .offset:         24
        .size:           4
        .value_kind:     by_value
      - .offset:         32
        .size:           8
        .value_kind:     by_value
      - .address_space:  global
        .offset:         40
        .size:           8
        .value_kind:     global_buffer
      - .offset:         48
        .size:           8
        .value_kind:     by_value
      - .address_space:  global
        .offset:         56
        .size:           8
        .value_kind:     global_buffer
      - .offset:         64
        .size:           8
        .value_kind:     by_value
      - .address_space:  global
        .offset:         72
        .size:           8
        .value_kind:     global_buffer
      - .offset:         80
        .size:           8
        .value_kind:     by_value
    .group_segment_fixed_size: 0
    .kernarg_segment_align: 8
    .kernarg_segment_size: 88
    .language:       OpenCL C
    .language_version:
      - 2
      - 0
    .max_flat_workgroup_size: 256
    .name:           _ZN9rocsolver6v33100L24sytd2_lower_kernel_smallILi256EfifPfEEvT1_T3_lS3_lPT2_lS6_lPT0_l
    .private_segment_fixed_size: 0
    .sgpr_count:     38
    .sgpr_spill_count: 0
    .symbol:         _ZN9rocsolver6v33100L24sytd2_lower_kernel_smallILi256EfifPfEEvT1_T3_lS3_lPT2_lS6_lPT0_l.kd
    .uniform_work_group_size: 1
    .uses_dynamic_stack: false
    .vgpr_count:     29
    .vgpr_spill_count: 0
    .wavefront_size: 32
    .workgroup_processor_mode: 1
  - .args:
      - .address_space:  global
        .offset:         0
        .size:           8
        .value_kind:     global_buffer
      - .offset:         8
        .size:           8
        .value_kind:     by_value
      - .offset:         16
        .size:           4
        .value_kind:     by_value
      - .offset:         20
        .size:           4
        .value_kind:     by_value
      - .offset:         24
        .size:           4
        .value_kind:     hidden_block_count_x
      - .offset:         28
        .size:           4
        .value_kind:     hidden_block_count_y
      - .offset:         32
        .size:           4
        .value_kind:     hidden_block_count_z
      - .offset:         36
        .size:           2
        .value_kind:     hidden_group_size_x
      - .offset:         38
        .size:           2
        .value_kind:     hidden_group_size_y
      - .offset:         40
        .size:           2
        .value_kind:     hidden_group_size_z
      - .offset:         42
        .size:           2
        .value_kind:     hidden_remainder_x
      - .offset:         44
        .size:           2
        .value_kind:     hidden_remainder_y
      - .offset:         46
        .size:           2
        .value_kind:     hidden_remainder_z
      - .offset:         64
        .size:           8
        .value_kind:     hidden_global_offset_x
      - .offset:         72
        .size:           8
        .value_kind:     hidden_global_offset_y
      - .offset:         80
        .size:           8
        .value_kind:     hidden_global_offset_z
      - .offset:         88
        .size:           2
        .value_kind:     hidden_grid_dims
    .group_segment_fixed_size: 0
    .kernarg_segment_align: 8
    .kernarg_segment_size: 280
    .language:       OpenCL C
    .language_version:
      - 2
      - 0
    .max_flat_workgroup_size: 1024
    .name:           _ZN9rocsolver6v33100L16reset_batch_infoIfiiPfEEvT2_lT0_T1_
    .private_segment_fixed_size: 0
    .sgpr_count:     18
    .sgpr_spill_count: 0
    .symbol:         _ZN9rocsolver6v33100L16reset_batch_infoIfiiPfEEvT2_lT0_T1_.kd
    .uniform_work_group_size: 1
    .uses_dynamic_stack: false
    .vgpr_count:     3
    .vgpr_spill_count: 0
    .wavefront_size: 32
    .workgroup_processor_mode: 1
  - .args:
      - .address_space:  global
        .offset:         0
        .size:           8
        .value_kind:     global_buffer
      - .offset:         8
        .size:           8
        .value_kind:     by_value
      - .offset:         16
        .size:           8
        .value_kind:     by_value
      - .address_space:  global
        .offset:         24
        .size:           8
        .value_kind:     global_buffer
      - .offset:         32
        .size:           8
        .value_kind:     by_value
      - .offset:         40
        .size:           4
        .value_kind:     by_value
      - .offset:         48
        .size:           8
        .value_kind:     by_value
      - .offset:         56
        .size:           4
        .value_kind:     by_value
      - .offset:         60
        .size:           1
        .value_kind:     by_value
      - .offset:         64
        .size:           4
        .value_kind:     hidden_block_count_x
      - .offset:         68
        .size:           4
        .value_kind:     hidden_block_count_y
      - .offset:         72
        .size:           4
        .value_kind:     hidden_block_count_z
      - .offset:         76
        .size:           2
        .value_kind:     hidden_group_size_x
      - .offset:         78
        .size:           2
        .value_kind:     hidden_group_size_y
      - .offset:         80
        .size:           2
        .value_kind:     hidden_group_size_z
      - .offset:         82
        .size:           2
        .value_kind:     hidden_remainder_x
      - .offset:         84
        .size:           2
        .value_kind:     hidden_remainder_y
      - .offset:         86
        .size:           2
        .value_kind:     hidden_remainder_z
      - .offset:         104
        .size:           8
        .value_kind:     hidden_global_offset_x
      - .offset:         112
        .size:           8
        .value_kind:     hidden_global_offset_y
      - .offset:         120
        .size:           8
        .value_kind:     hidden_global_offset_z
      - .offset:         128
        .size:           2
        .value_kind:     hidden_grid_dims
    .group_segment_fixed_size: 0
    .kernarg_segment_align: 8
    .kernarg_segment_size: 320
    .language:       OpenCL C
    .language_version:
      - 2
      - 0
    .max_flat_workgroup_size: 1024
    .name:           _ZN9rocsolver6v33100L8set_diagIfifPfTnNSt9enable_ifIXoont18rocblas_is_complexIT_E18rocblas_is_complexIT1_EEiE4typeELi0EEEvPS5_llT2_lT0_lSA_b
    .private_segment_fixed_size: 0
    .sgpr_count:     19
    .sgpr_spill_count: 0
    .symbol:         _ZN9rocsolver6v33100L8set_diagIfifPfTnNSt9enable_ifIXoont18rocblas_is_complexIT_E18rocblas_is_complexIT1_EEiE4typeELi0EEEvPS5_llT2_lT0_lSA_b.kd
    .uniform_work_group_size: 1
    .uses_dynamic_stack: false
    .vgpr_count:     6
    .vgpr_spill_count: 0
    .wavefront_size: 32
    .workgroup_processor_mode: 1
  - .args:
      - .address_space:  global
        .offset:         0
        .size:           8
        .value_kind:     global_buffer
      - .offset:         8
        .size:           8
        .value_kind:     by_value
      - .address_space:  global
        .offset:         16
        .size:           8
        .value_kind:     global_buffer
      - .address_space:  global
        .offset:         24
        .size:           8
        .value_kind:     global_buffer
      - .offset:         32
        .size:           8
        .value_kind:     by_value
      - .offset:         40
        .size:           8
        .value_kind:     by_value
      - .address_space:  global
        .offset:         48
        .size:           8
        .value_kind:     global_buffer
      - .offset:         56
        .size:           8
        .value_kind:     by_value
      - .offset:         64
        .size:           8
        .value_kind:     by_value
    .group_segment_fixed_size: 0
    .kernarg_segment_align: 8
    .kernarg_segment_size: 72
    .language:       OpenCL C
    .language_version:
      - 2
      - 0
    .max_flat_workgroup_size: 1024
    .name:           _ZN9rocsolver6v33100L11set_taubetaIfifPfEEvPT_lS4_T2_llPT1_ll
    .private_segment_fixed_size: 0
    .sgpr_count:     24
    .sgpr_spill_count: 0
    .symbol:         _ZN9rocsolver6v33100L11set_taubetaIfifPfEEvPT_lS4_T2_llPT1_ll.kd
    .uniform_work_group_size: 1
    .uses_dynamic_stack: false
    .vgpr_count:     8
    .vgpr_spill_count: 0
    .wavefront_size: 32
    .workgroup_processor_mode: 1
  - .args:
      - .offset:         0
        .size:           4
        .value_kind:     by_value
      - .address_space:  global
        .offset:         8
        .size:           8
        .value_kind:     global_buffer
      - .offset:         16
        .size:           8
        .value_kind:     by_value
      - .offset:         24
        .size:           8
        .value_kind:     by_value
      - .address_space:  global
        .offset:         32
        .size:           8
        .value_kind:     global_buffer
      - .offset:         40
        .size:           8
        .value_kind:     by_value
      - .offset:         48
        .size:           8
        .value_kind:     by_value
      - .address_space:  global
        .offset:         56
        .size:           8
        .value_kind:     global_buffer
      - .offset:         64
        .size:           8
        .value_kind:     by_value
    .group_segment_fixed_size: 520
    .kernarg_segment_align: 8
    .kernarg_segment_size: 72
    .language:       OpenCL C
    .language_version:
      - 2
      - 0
    .max_flat_workgroup_size: 64
    .name:           _ZN9rocsolver6v33100L20latrd_dot_scale_axpyILi64EfiPfEEvT1_T2_llPT0_llS6_l
    .private_segment_fixed_size: 0
    .sgpr_count:     34
    .sgpr_spill_count: 0
    .symbol:         _ZN9rocsolver6v33100L20latrd_dot_scale_axpyILi64EfiPfEEvT1_T2_llPT0_llS6_l.kd
    .uniform_work_group_size: 1
    .uses_dynamic_stack: false
    .vgpr_count:     11
    .vgpr_spill_count: 0
    .wavefront_size: 32
    .workgroup_processor_mode: 1
  - .args:
      - .offset:         0
        .size:           4
        .value_kind:     by_value
      - .address_space:  global
        .offset:         8
        .size:           8
        .value_kind:     global_buffer
      - .address_space:  global
        .offset:         16
        .size:           8
        .value_kind:     global_buffer
      - .offset:         24
        .size:           8
        .value_kind:     by_value
      - .offset:         32
        .size:           4
        .value_kind:     hidden_block_count_x
      - .offset:         36
        .size:           4
        .value_kind:     hidden_block_count_y
      - .offset:         40
        .size:           4
        .value_kind:     hidden_block_count_z
      - .offset:         44
        .size:           2
        .value_kind:     hidden_group_size_x
      - .offset:         46
        .size:           2
        .value_kind:     hidden_group_size_y
      - .offset:         48
        .size:           2
        .value_kind:     hidden_group_size_z
      - .offset:         50
        .size:           2
        .value_kind:     hidden_remainder_x
      - .offset:         52
        .size:           2
        .value_kind:     hidden_remainder_y
      - .offset:         54
        .size:           2
        .value_kind:     hidden_remainder_z
      - .offset:         72
        .size:           8
        .value_kind:     hidden_global_offset_x
      - .offset:         80
        .size:           8
        .value_kind:     hidden_global_offset_y
      - .offset:         88
        .size:           8
        .value_kind:     hidden_global_offset_z
      - .offset:         96
        .size:           2
        .value_kind:     hidden_grid_dims
    .group_segment_fixed_size: 0
    .kernarg_segment_align: 8
    .kernarg_segment_size: 288
    .language:       OpenCL C
    .language_version:
      - 2
      - 0
    .max_flat_workgroup_size: 1024
    .name:           _ZN9rocsolver6v33100L7set_tauIfEEviPT_S3_l
    .private_segment_fixed_size: 0
    .sgpr_count:     18
    .sgpr_spill_count: 0
    .symbol:         _ZN9rocsolver6v33100L7set_tauIfEEviPT_S3_l.kd
    .uniform_work_group_size: 1
    .uses_dynamic_stack: false
    .vgpr_count:     6
    .vgpr_spill_count: 0
    .wavefront_size: 32
    .workgroup_processor_mode: 1
  - .args:
      - .offset:         0
        .size:           4
        .value_kind:     by_value
      - .address_space:  global
        .offset:         8
        .size:           8
        .value_kind:     global_buffer
      - .offset:         16
        .size:           8
        .value_kind:     by_value
      - .offset:         24
        .size:           4
        .value_kind:     by_value
      - .offset:         32
        .size:           8
        .value_kind:     by_value
      - .address_space:  global
        .offset:         40
        .size:           8
        .value_kind:     global_buffer
      - .offset:         48
        .size:           8
        .value_kind:     by_value
      - .address_space:  global
        .offset:         56
        .size:           8
        .value_kind:     global_buffer
      - .offset:         64
        .size:           8
        .value_kind:     by_value
      - .address_space:  global
        .offset:         72
        .size:           8
        .value_kind:     global_buffer
      - .offset:         80
        .size:           8
        .value_kind:     by_value
    .group_segment_fixed_size: 0
    .kernarg_segment_align: 8
    .kernarg_segment_size: 88
    .language:       OpenCL C
    .language_version:
      - 2
      - 0
    .max_flat_workgroup_size: 256
    .name:           _ZN9rocsolver6v33100L24sytd2_upper_kernel_smallILi256EfifPfEEvT1_T3_lS3_lPT2_lS6_lPT0_l
    .private_segment_fixed_size: 0
    .sgpr_count:     38
    .sgpr_spill_count: 0
    .symbol:         _ZN9rocsolver6v33100L24sytd2_upper_kernel_smallILi256EfifPfEEvT1_T3_lS3_lPT2_lS6_lPT0_l.kd
    .uniform_work_group_size: 1
    .uses_dynamic_stack: false
    .vgpr_count:     28
    .vgpr_spill_count: 0
    .wavefront_size: 32
    .workgroup_processor_mode: 1
  - .args:
      - .offset:         0
        .size:           4
        .value_kind:     by_value
      - .offset:         4
        .size:           4
        .value_kind:     by_value
      - .offset:         8
        .size:           4
        .value_kind:     by_value
      - .address_space:  global
        .offset:         16
        .size:           8
        .value_kind:     global_buffer
      - .offset:         24
        .size:           4
        .value_kind:     by_value
      - .offset:         28
        .size:           4
        .value_kind:     by_value
      - .offset:         32
        .size:           8
        .value_kind:     by_value
      - .address_space:  global
        .offset:         40
        .size:           8
        .value_kind:     global_buffer
      - .offset:         48
        .size:           1
        .value_kind:     by_value
      - .offset:         52
        .size:           4
        .value_kind:     by_value
      - .offset:         56
        .size:           4
        .value_kind:     by_value
      - .offset:         64
        .size:           4
        .value_kind:     hidden_block_count_x
      - .offset:         68
        .size:           4
        .value_kind:     hidden_block_count_y
      - .offset:         72
        .size:           4
        .value_kind:     hidden_block_count_z
      - .offset:         76
        .size:           2
        .value_kind:     hidden_group_size_x
      - .offset:         78
        .size:           2
        .value_kind:     hidden_group_size_y
      - .offset:         80
        .size:           2
        .value_kind:     hidden_group_size_z
      - .offset:         82
        .size:           2
        .value_kind:     hidden_remainder_x
      - .offset:         84
        .size:           2
        .value_kind:     hidden_remainder_y
      - .offset:         86
        .size:           2
        .value_kind:     hidden_remainder_z
      - .offset:         104
        .size:           8
        .value_kind:     hidden_global_offset_x
      - .offset:         112
        .size:           8
        .value_kind:     hidden_global_offset_y
      - .offset:         120
        .size:           8
        .value_kind:     hidden_global_offset_z
      - .offset:         128
        .size:           2
        .value_kind:     hidden_grid_dims
    .group_segment_fixed_size: 0
    .kernarg_segment_align: 8
    .kernarg_segment_size: 320
    .language:       OpenCL C
    .language_version:
      - 2
      - 0
    .max_flat_workgroup_size: 1024
    .name:           _ZN9rocsolver6v33100L8copy_matIfPfNS0_7no_maskEEEvNS0_17copymat_directionEiiT0_iilPT_T1_13rocblas_fill_17rocblas_diagonal_
    .private_segment_fixed_size: 0
    .sgpr_count:     20
    .sgpr_spill_count: 0
    .symbol:         _ZN9rocsolver6v33100L8copy_matIfPfNS0_7no_maskEEEvNS0_17copymat_directionEiiT0_iilPT_T1_13rocblas_fill_17rocblas_diagonal_.kd
    .uniform_work_group_size: 1
    .uses_dynamic_stack: false
    .vgpr_count:     6
    .vgpr_spill_count: 0
    .wavefront_size: 32
    .workgroup_processor_mode: 1
  - .args:
      - .offset:         0
        .size:           4
        .value_kind:     by_value
      - .offset:         4
        .size:           4
        .value_kind:     by_value
      - .address_space:  global
        .offset:         8
        .size:           8
        .value_kind:     global_buffer
      - .offset:         16
        .size:           4
        .value_kind:     by_value
      - .offset:         20
        .size:           4
        .value_kind:     by_value
      - .offset:         24
        .size:           8
        .value_kind:     by_value
      - .address_space:  global
        .offset:         32
        .size:           8
        .value_kind:     global_buffer
      - .offset:         40
        .size:           4
        .value_kind:     by_value
      - .offset:         44
        .size:           4
        .value_kind:     by_value
      - .offset:         48
        .size:           8
        .value_kind:     by_value
      - .offset:         56
        .size:           4
        .value_kind:     hidden_block_count_x
      - .offset:         60
        .size:           4
        .value_kind:     hidden_block_count_y
      - .offset:         64
        .size:           4
        .value_kind:     hidden_block_count_z
      - .offset:         68
        .size:           2
        .value_kind:     hidden_group_size_x
      - .offset:         70
        .size:           2
        .value_kind:     hidden_group_size_y
      - .offset:         72
        .size:           2
        .value_kind:     hidden_group_size_z
      - .offset:         74
        .size:           2
        .value_kind:     hidden_remainder_x
      - .offset:         76
        .size:           2
        .value_kind:     hidden_remainder_y
      - .offset:         78
        .size:           2
        .value_kind:     hidden_remainder_z
      - .offset:         96
        .size:           8
        .value_kind:     hidden_global_offset_x
      - .offset:         104
        .size:           8
        .value_kind:     hidden_global_offset_y
      - .offset:         112
        .size:           8
        .value_kind:     hidden_global_offset_z
      - .offset:         120
        .size:           2
        .value_kind:     hidden_grid_dims
      - .offset:         176
        .size:           4
        .value_kind:     hidden_dynamic_lds_size
    .group_segment_fixed_size: 0
    .kernarg_segment_align: 8
    .kernarg_segment_size: 312
    .language:       OpenCL C
    .language_version:
      - 2
      - 0
    .max_flat_workgroup_size: 1024
    .name:           _ZN9rocsolver6v33100L26latrd_lower_updateA_kernelIfPfEEviiT0_iilPT_iil
    .private_segment_fixed_size: 0
    .sgpr_count:     30
    .sgpr_spill_count: 0
    .symbol:         _ZN9rocsolver6v33100L26latrd_lower_updateA_kernelIfPfEEviiT0_iilPT_iil.kd
    .uniform_work_group_size: 1
    .uses_dynamic_stack: false
    .vgpr_count:     20
    .vgpr_spill_count: 0
    .wavefront_size: 32
    .workgroup_processor_mode: 1
  - .args:
      - .offset:         0
        .size:           4
        .value_kind:     by_value
      - .offset:         4
        .size:           4
        .value_kind:     by_value
      - .address_space:  global
        .offset:         8
        .size:           8
        .value_kind:     global_buffer
      - .offset:         16
        .size:           4
        .value_kind:     by_value
      - .offset:         20
        .size:           4
        .value_kind:     by_value
      - .offset:         24
        .size:           8
        .value_kind:     by_value
      - .address_space:  global
        .offset:         32
        .size:           8
        .value_kind:     global_buffer
      - .offset:         40
        .size:           4
        .value_kind:     by_value
      - .offset:         44
        .size:           4
        .value_kind:     by_value
      - .offset:         48
        .size:           8
        .value_kind:     by_value
      - .address_space:  global
        .offset:         56
        .size:           8
        .value_kind:     global_buffer
      - .offset:         64
        .size:           4
        .value_kind:     by_value
      - .offset:         68
        .size:           4
        .value_kind:     by_value
      - .offset:         72
        .size:           8
        .value_kind:     by_value
      - .address_space:  global
        .offset:         80
        .size:           8
        .value_kind:     global_buffer
      - .offset:         88
        .size:           8
        .value_kind:     by_value
    .group_segment_fixed_size: 1024
    .kernarg_segment_align: 8
    .kernarg_segment_size: 96
    .language:       OpenCL C
    .language_version:
      - 2
      - 0
    .max_flat_workgroup_size: 1024
    .name:           _ZN9rocsolver6v33100L33latrd_lower_computeW_gemvt_kernelILi256EfPfEEviiT1_iilPT0_iilS5_iilS5_l
    .private_segment_fixed_size: 0
    .sgpr_count:     34
    .sgpr_spill_count: 0
    .symbol:         _ZN9rocsolver6v33100L33latrd_lower_computeW_gemvt_kernelILi256EfPfEEviiT1_iilPT0_iilS5_iilS5_l.kd
    .uniform_work_group_size: 1
    .uses_dynamic_stack: false
    .vgpr_count:     10
    .vgpr_spill_count: 0
    .wavefront_size: 32
    .workgroup_processor_mode: 1
  - .args:
      - .offset:         0
        .size:           4
        .value_kind:     by_value
      - .offset:         4
        .size:           4
        .value_kind:     by_value
      - .address_space:  global
        .offset:         8
        .size:           8
        .value_kind:     global_buffer
      - .offset:         16
        .size:           4
        .value_kind:     by_value
      - .offset:         20
        .size:           4
        .value_kind:     by_value
      - .offset:         24
        .size:           8
        .value_kind:     by_value
      - .address_space:  global
        .offset:         32
        .size:           8
        .value_kind:     global_buffer
      - .offset:         40
        .size:           4
        .value_kind:     by_value
      - .offset:         44
        .size:           4
        .value_kind:     by_value
      - .offset:         48
        .size:           8
        .value_kind:     by_value
      - .address_space:  global
        .offset:         56
        .size:           8
        .value_kind:     global_buffer
      - .offset:         64
        .size:           8
        .value_kind:     by_value
      - .address_space:  global
        .offset:         72
        .size:           8
        .value_kind:     global_buffer
      - .offset:         80
        .size:           8
        .value_kind:     by_value
      - .offset:         88
        .size:           4
        .value_kind:     hidden_block_count_x
      - .offset:         92
        .size:           4
        .value_kind:     hidden_block_count_y
      - .offset:         96
        .size:           4
        .value_kind:     hidden_block_count_z
      - .offset:         100
        .size:           2
        .value_kind:     hidden_group_size_x
      - .offset:         102
        .size:           2
        .value_kind:     hidden_group_size_y
      - .offset:         104
        .size:           2
        .value_kind:     hidden_group_size_z
      - .offset:         106
        .size:           2
        .value_kind:     hidden_remainder_x
      - .offset:         108
        .size:           2
        .value_kind:     hidden_remainder_y
      - .offset:         110
        .size:           2
        .value_kind:     hidden_remainder_z
      - .offset:         128
        .size:           8
        .value_kind:     hidden_global_offset_x
      - .offset:         136
        .size:           8
        .value_kind:     hidden_global_offset_y
      - .offset:         144
        .size:           8
        .value_kind:     hidden_global_offset_z
      - .offset:         152
        .size:           2
        .value_kind:     hidden_grid_dims
      - .offset:         208
        .size:           4
        .value_kind:     hidden_dynamic_lds_size
    .group_segment_fixed_size: 0
    .kernarg_segment_align: 8
    .kernarg_segment_size: 344
    .language:       OpenCL C
    .language_version:
      - 2
      - 0
    .max_flat_workgroup_size: 1024
    .name:           _ZN9rocsolver6v33100L26latrd_lower_updateW_kernelIfPfEEviiT0_iilPT_iilS5_lS5_l
    .private_segment_fixed_size: 0
    .sgpr_count:     40
    .sgpr_spill_count: 0
    .symbol:         _ZN9rocsolver6v33100L26latrd_lower_updateW_kernelIfPfEEviiT0_iilPT_iilS5_lS5_l.kd
    .uniform_work_group_size: 1
    .uses_dynamic_stack: false
    .vgpr_count:     23
    .vgpr_spill_count: 0
    .wavefront_size: 32
    .workgroup_processor_mode: 1
  - .args:
      - .offset:         0
        .size:           4
        .value_kind:     by_value
      - .address_space:  global
        .offset:         8
        .size:           8
        .value_kind:     global_buffer
      - .offset:         16
        .size:           8
        .value_kind:     by_value
      - .offset:         24
        .size:           8
        .value_kind:     by_value
      - .address_space:  global
        .offset:         32
        .size:           8
        .value_kind:     global_buffer
      - .offset:         40
        .size:           8
        .value_kind:     by_value
      - .offset:         48
        .size:           8
        .value_kind:     by_value
      - .address_space:  global
        .offset:         56
        .size:           8
        .value_kind:     global_buffer
      - .offset:         64
        .size:           8
        .value_kind:     by_value
    .group_segment_fixed_size: 8320
    .kernarg_segment_align: 8
    .kernarg_segment_size: 72
    .language:       OpenCL C
    .language_version:
      - 2
      - 0
    .max_flat_workgroup_size: 1024
    .name:           _ZN9rocsolver6v33100L20latrd_dot_scale_axpyILi1024EfiPfEEvT1_T2_llPT0_llS6_l
    .private_segment_fixed_size: 0
    .sgpr_count:     36
    .sgpr_spill_count: 0
    .symbol:         _ZN9rocsolver6v33100L20latrd_dot_scale_axpyILi1024EfiPfEEvT1_T2_llPT0_llS6_l.kd
    .uniform_work_group_size: 1
    .uses_dynamic_stack: false
    .vgpr_count:     13
    .vgpr_spill_count: 0
    .wavefront_size: 32
    .workgroup_processor_mode: 1
  - .args:
      - .offset:         0
        .size:           4
        .value_kind:     by_value
      - .offset:         4
        .size:           4
        .value_kind:     by_value
      - .offset:         8
        .size:           4
        .value_kind:     by_value
      - .address_space:  global
        .offset:         16
        .size:           8
        .value_kind:     global_buffer
      - .offset:         24
        .size:           4
        .value_kind:     by_value
      - .offset:         28
        .size:           4
        .value_kind:     by_value
      - .offset:         32
        .size:           8
        .value_kind:     by_value
      - .address_space:  global
        .offset:         40
        .size:           8
        .value_kind:     global_buffer
      - .offset:         48
        .size:           4
        .value_kind:     by_value
      - .offset:         52
        .size:           4
        .value_kind:     by_value
      - .offset:         56
        .size:           8
        .value_kind:     by_value
      - .offset:         64
        .size:           4
        .value_kind:     hidden_block_count_x
      - .offset:         68
        .size:           4
        .value_kind:     hidden_block_count_y
      - .offset:         72
        .size:           4
        .value_kind:     hidden_block_count_z
      - .offset:         76
        .size:           2
        .value_kind:     hidden_group_size_x
      - .offset:         78
        .size:           2
        .value_kind:     hidden_group_size_y
      - .offset:         80
        .size:           2
        .value_kind:     hidden_group_size_z
      - .offset:         82
        .size:           2
        .value_kind:     hidden_remainder_x
      - .offset:         84
        .size:           2
        .value_kind:     hidden_remainder_y
      - .offset:         86
        .size:           2
        .value_kind:     hidden_remainder_z
      - .offset:         104
        .size:           8
        .value_kind:     hidden_global_offset_x
      - .offset:         112
        .size:           8
        .value_kind:     hidden_global_offset_y
      - .offset:         120
        .size:           8
        .value_kind:     hidden_global_offset_z
      - .offset:         128
        .size:           2
        .value_kind:     hidden_grid_dims
      - .offset:         184
        .size:           4
        .value_kind:     hidden_dynamic_lds_size
    .group_segment_fixed_size: 0
    .kernarg_segment_align: 8
    .kernarg_segment_size: 320
    .language:       OpenCL C
    .language_version:
      - 2
      - 0
    .max_flat_workgroup_size: 1024
    .name:           _ZN9rocsolver6v33100L26latrd_upper_updateA_kernelIfPfEEviiiT0_iilPT_iil
    .private_segment_fixed_size: 0
    .sgpr_count:     34
    .sgpr_spill_count: 0
    .symbol:         _ZN9rocsolver6v33100L26latrd_upper_updateA_kernelIfPfEEviiiT0_iilPT_iil.kd
    .uniform_work_group_size: 1
    .uses_dynamic_stack: false
    .vgpr_count:     20
    .vgpr_spill_count: 0
    .wavefront_size: 32
    .workgroup_processor_mode: 1
  - .args:
      - .offset:         0
        .size:           4
        .value_kind:     by_value
      - .offset:         4
        .size:           4
        .value_kind:     by_value
      - .offset:         8
        .size:           4
        .value_kind:     by_value
      - .address_space:  global
        .offset:         16
        .size:           8
        .value_kind:     global_buffer
      - .offset:         24
        .size:           4
        .value_kind:     by_value
      - .offset:         28
        .size:           4
        .value_kind:     by_value
      - .offset:         32
        .size:           8
        .value_kind:     by_value
      - .address_space:  global
        .offset:         40
        .size:           8
        .value_kind:     global_buffer
      - .offset:         48
        .size:           4
        .value_kind:     by_value
      - .offset:         52
        .size:           4
        .value_kind:     by_value
      - .offset:         56
        .size:           8
        .value_kind:     by_value
      - .address_space:  global
        .offset:         64
        .size:           8
        .value_kind:     global_buffer
      - .offset:         72
        .size:           4
        .value_kind:     by_value
      - .offset:         76
        .size:           4
        .value_kind:     by_value
      - .offset:         80
        .size:           8
        .value_kind:     by_value
      - .address_space:  global
        .offset:         88
        .size:           8
        .value_kind:     global_buffer
      - .offset:         96
        .size:           8
        .value_kind:     by_value
    .group_segment_fixed_size: 1024
    .kernarg_segment_align: 8
    .kernarg_segment_size: 104
    .language:       OpenCL C
    .language_version:
      - 2
      - 0
    .max_flat_workgroup_size: 1024
    .name:           _ZN9rocsolver6v33100L33latrd_upper_computeW_gemvt_kernelILi256EfPfEEviiiT1_iilPT0_iilS5_iilS5_l
    .private_segment_fixed_size: 0
    .sgpr_count:     34
    .sgpr_spill_count: 0
    .symbol:         _ZN9rocsolver6v33100L33latrd_upper_computeW_gemvt_kernelILi256EfPfEEviiiT1_iilPT0_iilS5_iilS5_l.kd
    .uniform_work_group_size: 1
    .uses_dynamic_stack: false
    .vgpr_count:     10
    .vgpr_spill_count: 0
    .wavefront_size: 32
    .workgroup_processor_mode: 1
  - .args:
      - .offset:         0
        .size:           4
        .value_kind:     by_value
      - .offset:         4
        .size:           4
        .value_kind:     by_value
      - .offset:         8
        .size:           4
        .value_kind:     by_value
      - .address_space:  global
        .offset:         16
        .size:           8
        .value_kind:     global_buffer
      - .offset:         24
        .size:           4
        .value_kind:     by_value
      - .offset:         28
        .size:           4
        .value_kind:     by_value
      - .offset:         32
        .size:           8
        .value_kind:     by_value
      - .address_space:  global
        .offset:         40
        .size:           8
        .value_kind:     global_buffer
      - .offset:         48
        .size:           4
        .value_kind:     by_value
      - .offset:         52
        .size:           4
        .value_kind:     by_value
      - .offset:         56
        .size:           8
        .value_kind:     by_value
      - .address_space:  global
        .offset:         64
        .size:           8
        .value_kind:     global_buffer
      - .offset:         72
        .size:           8
        .value_kind:     by_value
      - .address_space:  global
        .offset:         80
        .size:           8
        .value_kind:     global_buffer
      - .offset:         88
        .size:           8
        .value_kind:     by_value
      - .offset:         96
        .size:           4
        .value_kind:     hidden_block_count_x
      - .offset:         100
        .size:           4
        .value_kind:     hidden_block_count_y
      - .offset:         104
        .size:           4
        .value_kind:     hidden_block_count_z
      - .offset:         108
        .size:           2
        .value_kind:     hidden_group_size_x
      - .offset:         110
        .size:           2
        .value_kind:     hidden_group_size_y
      - .offset:         112
        .size:           2
        .value_kind:     hidden_group_size_z
      - .offset:         114
        .size:           2
        .value_kind:     hidden_remainder_x
      - .offset:         116
        .size:           2
        .value_kind:     hidden_remainder_y
      - .offset:         118
        .size:           2
        .value_kind:     hidden_remainder_z
      - .offset:         136
        .size:           8
        .value_kind:     hidden_global_offset_x
      - .offset:         144
        .size:           8
        .value_kind:     hidden_global_offset_y
      - .offset:         152
        .size:           8
        .value_kind:     hidden_global_offset_z
      - .offset:         160
        .size:           2
        .value_kind:     hidden_grid_dims
      - .offset:         216
        .size:           4
        .value_kind:     hidden_dynamic_lds_size
    .group_segment_fixed_size: 0
    .kernarg_segment_align: 8
    .kernarg_segment_size: 352
    .language:       OpenCL C
    .language_version:
      - 2
      - 0
    .max_flat_workgroup_size: 1024
    .name:           _ZN9rocsolver6v33100L26latrd_upper_updateW_kernelIfPfEEviiiT0_iilPT_iilS5_lS5_l
    .private_segment_fixed_size: 0
    .sgpr_count:     41
    .sgpr_spill_count: 0
    .symbol:         _ZN9rocsolver6v33100L26latrd_upper_updateW_kernelIfPfEEviiiT0_iilPT_iilS5_lS5_l.kd
    .uniform_work_group_size: 1
    .uses_dynamic_stack: false
    .vgpr_count:     23
    .vgpr_spill_count: 0
    .wavefront_size: 32
    .workgroup_processor_mode: 1
  - .args:
      - .offset:         0
        .size:           4
        .value_kind:     by_value
      - .offset:         4
        .size:           4
        .value_kind:     by_value
      - .address_space:  global
        .offset:         8
        .size:           8
        .value_kind:     global_buffer
      - .offset:         16
        .size:           4
        .value_kind:     by_value
      - .offset:         20
        .size:           4
        .value_kind:     by_value
      - .offset:         24
        .size:           8
        .value_kind:     by_value
      - .address_space:  global
        .offset:         32
        .size:           8
        .value_kind:     global_buffer
      - .offset:         40
        .size:           8
        .value_kind:     by_value
      - .address_space:  global
        .offset:         48
        .size:           8
        .value_kind:     global_buffer
      - .offset:         56
        .size:           8
        .value_kind:     by_value
      - .offset:         64
        .size:           4
        .value_kind:     hidden_block_count_x
      - .offset:         68
        .size:           4
        .value_kind:     hidden_block_count_y
      - .offset:         72
        .size:           4
        .value_kind:     hidden_block_count_z
      - .offset:         76
        .size:           2
        .value_kind:     hidden_group_size_x
      - .offset:         78
        .size:           2
        .value_kind:     hidden_group_size_y
      - .offset:         80
        .size:           2
        .value_kind:     hidden_group_size_z
      - .offset:         82
        .size:           2
        .value_kind:     hidden_remainder_x
      - .offset:         84
        .size:           2
        .value_kind:     hidden_remainder_y
      - .offset:         86
        .size:           2
        .value_kind:     hidden_remainder_z
      - .offset:         104
        .size:           8
        .value_kind:     hidden_global_offset_x
      - .offset:         112
        .size:           8
        .value_kind:     hidden_global_offset_y
      - .offset:         120
        .size:           8
        .value_kind:     hidden_global_offset_z
      - .offset:         128
        .size:           2
        .value_kind:     hidden_grid_dims
    .group_segment_fixed_size: 0
    .kernarg_segment_align: 8
    .kernarg_segment_size: 320
    .language:       OpenCL C
    .language_version:
      - 2
      - 0
    .max_flat_workgroup_size: 1024
    .name:           _ZN9rocsolver6v33100L11set_tridiagIffPfTnNSt9enable_ifIXnt18rocblas_is_complexIT_EEiE4typeELi0EEEv13rocblas_fill_iT1_iilPT0_lSA_l
    .private_segment_fixed_size: 0
    .sgpr_count:     24
    .sgpr_spill_count: 0
    .symbol:         _ZN9rocsolver6v33100L11set_tridiagIffPfTnNSt9enable_ifIXnt18rocblas_is_complexIT_EEiE4typeELi0EEEv13rocblas_fill_iT1_iilPT0_lSA_l.kd
    .uniform_work_group_size: 1
    .uses_dynamic_stack: false
    .vgpr_count:     7
    .vgpr_spill_count: 0
    .wavefront_size: 32
    .workgroup_processor_mode: 1
  - .args:
      - .offset:         0
        .size:           4
        .value_kind:     by_value
      - .address_space:  global
        .offset:         8
        .size:           8
        .value_kind:     global_buffer
      - .offset:         16
        .size:           8
        .value_kind:     by_value
      - .address_space:  global
        .offset:         24
        .size:           8
        .value_kind:     global_buffer
      - .offset:         32
        .size:           8
        .value_kind:     by_value
      - .address_space:  global
        .offset:         40
        .size:           8
        .value_kind:     global_buffer
      - .address_space:  global
        .offset:         48
        .size:           8
        .value_kind:     global_buffer
      - .offset:         56
        .size:           4
        .value_kind:     by_value
      - .offset:         60
        .size:           4
        .value_kind:     by_value
      - .offset:         64
        .size:           4
        .value_kind:     by_value
      - .offset:         68
        .size:           4
        .value_kind:     by_value
    .group_segment_fixed_size: 0
    .kernarg_segment_align: 8
    .kernarg_segment_size: 72
    .language:       OpenCL C
    .language_version:
      - 2
      - 0
    .max_flat_workgroup_size: 1024
    .name:           _ZN9rocsolver6v33100L12sterf_kernelIfEEviPT_lS3_lPiS4_iS2_S2_S2_
    .private_segment_fixed_size: 0
    .sgpr_count:     70
    .sgpr_spill_count: 0
    .symbol:         _ZN9rocsolver6v33100L12sterf_kernelIfEEviPT_lS3_lPiS4_iS2_S2_S2_.kd
    .uniform_work_group_size: 1
    .uses_dynamic_stack: false
    .vgpr_count:     31
    .vgpr_spill_count: 0
    .wavefront_size: 32
    .workgroup_processor_mode: 1
  - .args:
      - .offset:         0
        .size:           4
        .value_kind:     by_value
      - .offset:         4
        .size:           4
        .value_kind:     by_value
      - .offset:         8
        .size:           4
        .value_kind:     by_value
      - .offset:         12
        .size:           4
        .value_kind:     by_value
      - .offset:         16
        .size:           4
        .value_kind:     by_value
      - .address_space:  global
        .offset:         24
        .size:           8
        .value_kind:     global_buffer
      - .offset:         32
        .size:           8
        .value_kind:     by_value
      - .address_space:  global
        .offset:         40
        .size:           8
        .value_kind:     global_buffer
      - .offset:         48
        .size:           8
        .value_kind:     by_value
      - .address_space:  global
        .offset:         56
        .size:           8
        .value_kind:     global_buffer
      - .offset:         64
        .size:           8
        .value_kind:     by_value
      - .offset:         72
        .size:           4
        .value_kind:     by_value
      - .offset:         80
        .size:           8
        .value_kind:     by_value
      - .offset:         88
        .size:           4
        .value_kind:     by_value
      - .offset:         96
        .size:           4
        .value_kind:     hidden_block_count_x
      - .offset:         100
        .size:           4
        .value_kind:     hidden_block_count_y
      - .offset:         104
        .size:           4
        .value_kind:     hidden_block_count_z
      - .offset:         108
        .size:           2
        .value_kind:     hidden_group_size_x
      - .offset:         110
        .size:           2
        .value_kind:     hidden_group_size_y
      - .offset:         112
        .size:           2
        .value_kind:     hidden_group_size_z
      - .offset:         114
        .size:           2
        .value_kind:     hidden_remainder_x
      - .offset:         116
        .size:           2
        .value_kind:     hidden_remainder_y
      - .offset:         118
        .size:           2
        .value_kind:     hidden_remainder_z
      - .offset:         136
        .size:           8
        .value_kind:     hidden_global_offset_x
      - .offset:         144
        .size:           8
        .value_kind:     hidden_global_offset_y
      - .offset:         152
        .size:           8
        .value_kind:     hidden_global_offset_z
      - .offset:         160
        .size:           2
        .value_kind:     hidden_grid_dims
    .group_segment_fixed_size: 0
    .kernarg_segment_align: 8
    .kernarg_segment_size: 352
    .language:       OpenCL C
    .language_version:
      - 2
      - 0
    .max_flat_workgroup_size: 64
    .name:           _ZN9rocsolver6v33100L11lasr_kernelIffPfiEEv13rocblas_side_14rocblas_pivot_15rocblas_direct_T2_S6_PT0_lS8_lT1_lS6_lS6_
    .private_segment_fixed_size: 0
    .sgpr_count:     89
    .sgpr_spill_count: 0
    .symbol:         _ZN9rocsolver6v33100L11lasr_kernelIffPfiEEv13rocblas_side_14rocblas_pivot_15rocblas_direct_T2_S6_PT0_lS8_lT1_lS6_lS6_.kd
    .uniform_work_group_size: 1
    .uses_dynamic_stack: false
    .vgpr_count:     41
    .vgpr_spill_count: 0
    .wavefront_size: 32
    .workgroup_processor_mode: 1
  - .args:
      - .offset:         0
        .size:           4
        .value_kind:     by_value
      - .address_space:  global
        .offset:         8
        .size:           8
        .value_kind:     global_buffer
      - .offset:         16
        .size:           4
        .value_kind:     by_value
      - .address_space:  global
        .offset:         24
        .size:           8
        .value_kind:     global_buffer
      - .offset:         32
        .size:           4
        .value_kind:     by_value
      - .offset:         40
        .size:           4
        .value_kind:     hidden_block_count_x
      - .offset:         44
        .size:           4
        .value_kind:     hidden_block_count_y
      - .offset:         48
        .size:           4
        .value_kind:     hidden_block_count_z
      - .offset:         52
        .size:           2
        .value_kind:     hidden_group_size_x
      - .offset:         54
        .size:           2
        .value_kind:     hidden_group_size_y
      - .offset:         56
        .size:           2
        .value_kind:     hidden_group_size_z
      - .offset:         58
        .size:           2
        .value_kind:     hidden_remainder_x
      - .offset:         60
        .size:           2
        .value_kind:     hidden_remainder_y
      - .offset:         62
        .size:           2
        .value_kind:     hidden_remainder_z
      - .offset:         80
        .size:           8
        .value_kind:     hidden_global_offset_x
      - .offset:         88
        .size:           8
        .value_kind:     hidden_global_offset_y
      - .offset:         96
        .size:           8
        .value_kind:     hidden_global_offset_z
      - .offset:         104
        .size:           2
        .value_kind:     hidden_grid_dims
    .group_segment_fixed_size: 0
    .kernarg_segment_align: 8
    .kernarg_segment_size: 296
    .language:       OpenCL C
    .language_version:
      - 2
      - 0
    .max_flat_workgroup_size: 1024
    .name:           _ZN9rocsolver6v33100L11swap_kernelIfiEEvT0_PT_S2_S4_S2_
    .private_segment_fixed_size: 0
    .sgpr_count:     18
    .sgpr_spill_count: 0
    .symbol:         _ZN9rocsolver6v33100L11swap_kernelIfiEEvT0_PT_S2_S4_S2_.kd
    .uniform_work_group_size: 1
    .uses_dynamic_stack: false
    .vgpr_count:     9
    .vgpr_spill_count: 0
    .wavefront_size: 32
    .workgroup_processor_mode: 1
  - .args:
      - .offset:         0
        .size:           4
        .value_kind:     by_value
      - .address_space:  global
        .offset:         8
        .size:           8
        .value_kind:     global_buffer
      - .offset:         16
        .size:           8
        .value_kind:     by_value
      - .address_space:  global
        .offset:         24
        .size:           8
        .value_kind:     global_buffer
      - .offset:         32
        .size:           8
        .value_kind:     by_value
      - .address_space:  global
        .offset:         40
        .size:           8
        .value_kind:     global_buffer
      - .offset:         48
        .size:           4
        .value_kind:     by_value
      - .offset:         52
        .size:           4
        .value_kind:     by_value
      - .offset:         56
        .size:           8
        .value_kind:     by_value
      - .address_space:  global
        .offset:         64
        .size:           8
        .value_kind:     global_buffer
      - .address_space:  global
        .offset:         72
        .size:           8
        .value_kind:     global_buffer
      - .offset:         80
        .size:           4
        .value_kind:     by_value
      - .offset:         84
        .size:           4
        .value_kind:     by_value
      - .offset:         88
        .size:           4
        .value_kind:     by_value
      - .offset:         92
        .size:           4
        .value_kind:     by_value
      - .offset:         96
        .size:           4
        .value_kind:     hidden_block_count_x
      - .offset:         100
        .size:           4
        .value_kind:     hidden_block_count_y
      - .offset:         104
        .size:           4
        .value_kind:     hidden_block_count_z
      - .offset:         108
        .size:           2
        .value_kind:     hidden_group_size_x
      - .offset:         110
        .size:           2
        .value_kind:     hidden_group_size_y
      - .offset:         112
        .size:           2
        .value_kind:     hidden_group_size_z
      - .offset:         114
        .size:           2
        .value_kind:     hidden_remainder_x
      - .offset:         116
        .size:           2
        .value_kind:     hidden_remainder_y
      - .offset:         118
        .size:           2
        .value_kind:     hidden_remainder_z
      - .offset:         136
        .size:           8
        .value_kind:     hidden_global_offset_x
      - .offset:         144
        .size:           8
        .value_kind:     hidden_global_offset_y
      - .offset:         152
        .size:           8
        .value_kind:     hidden_global_offset_z
      - .offset:         160
        .size:           2
        .value_kind:     hidden_grid_dims
    .group_segment_fixed_size: 36
    .kernarg_segment_align: 8
    .kernarg_segment_size: 352
    .language:       OpenCL C
    .language_version:
      - 2
      - 0
    .max_flat_workgroup_size: 1024
    .name:           _ZN9rocsolver6v33100L12steqr_kernelIffPfEEviPT0_lS4_lT1_iilPiS4_iS3_S3_S3_
    .private_segment_fixed_size: 0
    .sgpr_count:     38
    .sgpr_spill_count: 0
    .symbol:         _ZN9rocsolver6v33100L12steqr_kernelIffPfEEviPT0_lS4_lT1_iilPiS4_iS3_S3_S3_.kd
    .uniform_work_group_size: 1
    .uses_dynamic_stack: false
    .vgpr_count:     150
    .vgpr_spill_count: 0
    .wavefront_size: 32
    .workgroup_processor_mode: 1
  - .args:
      - .offset:         0
        .size:           4
        .value_kind:     by_value
      - .offset:         4
        .size:           4
        .value_kind:     by_value
      - .address_space:  global
        .offset:         8
        .size:           8
        .value_kind:     global_buffer
      - .offset:         16
        .size:           4
        .value_kind:     by_value
      - .offset:         20
        .size:           4
        .value_kind:     by_value
      - .offset:         24
        .size:           8
        .value_kind:     by_value
      - .offset:         32
        .size:           4
        .value_kind:     hidden_block_count_x
      - .offset:         36
        .size:           4
        .value_kind:     hidden_block_count_y
      - .offset:         40
        .size:           4
        .value_kind:     hidden_block_count_z
      - .offset:         44
        .size:           2
        .value_kind:     hidden_group_size_x
      - .offset:         46
        .size:           2
        .value_kind:     hidden_group_size_y
      - .offset:         48
        .size:           2
        .value_kind:     hidden_group_size_z
      - .offset:         50
        .size:           2
        .value_kind:     hidden_remainder_x
      - .offset:         52
        .size:           2
        .value_kind:     hidden_remainder_y
      - .offset:         54
        .size:           2
        .value_kind:     hidden_remainder_z
      - .offset:         72
        .size:           8
        .value_kind:     hidden_global_offset_x
      - .offset:         80
        .size:           8
        .value_kind:     hidden_global_offset_y
      - .offset:         88
        .size:           8
        .value_kind:     hidden_global_offset_z
      - .offset:         96
        .size:           2
        .value_kind:     hidden_grid_dims
    .group_segment_fixed_size: 0
    .kernarg_segment_align: 8
    .kernarg_segment_size: 288
    .language:       OpenCL C
    .language_version:
      - 2
      - 0
    .max_flat_workgroup_size: 1024
    .name:           _ZN9rocsolver6v33100L10init_identIfPfEEviiT0_iil
    .private_segment_fixed_size: 0
    .sgpr_count:     18
    .sgpr_spill_count: 0
    .symbol:         _ZN9rocsolver6v33100L10init_identIfPfEEviiT0_iil.kd
    .uniform_work_group_size: 1
    .uses_dynamic_stack: false
    .vgpr_count:     5
    .vgpr_spill_count: 0
    .wavefront_size: 32
    .workgroup_processor_mode: 1
  - .args:
      - .offset:         0
        .size:           4
        .value_kind:     by_value
      - .offset:         4
        .size:           4
        .value_kind:     by_value
      - .offset:         8
        .size:           4
        .value_kind:     by_value
      - .address_space:  global
        .offset:         16
        .size:           8
        .value_kind:     global_buffer
      - .offset:         24
        .size:           8
        .value_kind:     by_value
      - .address_space:  global
        .offset:         32
        .size:           8
        .value_kind:     global_buffer
      - .offset:         40
        .size:           8
        .value_kind:     by_value
      - .offset:         48
        .size:           4
        .value_kind:     by_value
      - .address_space:  global
        .offset:         56
        .size:           8
        .value_kind:     global_buffer
      - .offset:         64
        .size:           4
        .value_kind:     hidden_block_count_x
      - .offset:         68
        .size:           4
        .value_kind:     hidden_block_count_y
      - .offset:         72
        .size:           4
        .value_kind:     hidden_block_count_z
      - .offset:         76
        .size:           2
        .value_kind:     hidden_group_size_x
      - .offset:         78
        .size:           2
        .value_kind:     hidden_group_size_y
      - .offset:         80
        .size:           2
        .value_kind:     hidden_group_size_z
      - .offset:         82
        .size:           2
        .value_kind:     hidden_remainder_x
      - .offset:         84
        .size:           2
        .value_kind:     hidden_remainder_y
      - .offset:         86
        .size:           2
        .value_kind:     hidden_remainder_z
      - .offset:         104
        .size:           8
        .value_kind:     hidden_global_offset_x
      - .offset:         112
        .size:           8
        .value_kind:     hidden_global_offset_y
      - .offset:         120
        .size:           8
        .value_kind:     hidden_global_offset_z
      - .offset:         128
        .size:           2
        .value_kind:     hidden_grid_dims
    .group_segment_fixed_size: 0
    .kernarg_segment_align: 8
    .kernarg_segment_size: 320
    .language:       OpenCL C
    .language_version:
      - 2
      - 0
    .max_flat_workgroup_size: 512
    .name:           _ZN9rocsolver6v33100L19stedc_divide_kernelIfEEviiiPT_lS3_liPi
    .private_segment_fixed_size: 0
    .sgpr_count:     18
    .sgpr_spill_count: 0
    .symbol:         _ZN9rocsolver6v33100L19stedc_divide_kernelIfEEviiiPT_lS3_liPi.kd
    .uniform_work_group_size: 1
    .uses_dynamic_stack: false
    .vgpr_count:     14
    .vgpr_spill_count: 0
    .wavefront_size: 32
    .workgroup_processor_mode: 1
  - .args:
      - .offset:         0
        .size:           4
        .value_kind:     by_value
      - .offset:         4
        .size:           4
        .value_kind:     by_value
      - .address_space:  global
        .offset:         8
        .size:           8
        .value_kind:     global_buffer
      - .offset:         16
        .size:           8
        .value_kind:     by_value
      - .address_space:  global
        .offset:         24
        .size:           8
        .value_kind:     global_buffer
      - .offset:         32
        .size:           8
        .value_kind:     by_value
      - .address_space:  global
        .offset:         40
        .size:           8
        .value_kind:     global_buffer
      - .offset:         48
        .size:           4
        .value_kind:     by_value
      - .offset:         52
        .size:           4
        .value_kind:     by_value
      - .offset:         56
        .size:           8
        .value_kind:     by_value
      - .address_space:  global
        .offset:         64
        .size:           8
        .value_kind:     global_buffer
      - .address_space:  global
        .offset:         72
        .size:           8
        .value_kind:     global_buffer
      - .address_space:  global
        .offset:         80
        .size:           8
        .value_kind:     global_buffer
      - .offset:         88
        .size:           4
        .value_kind:     by_value
      - .offset:         92
        .size:           4
        .value_kind:     by_value
      - .offset:         96
        .size:           4
        .value_kind:     by_value
      - .offset:         104
        .size:           4
        .value_kind:     hidden_block_count_x
      - .offset:         108
        .size:           4
        .value_kind:     hidden_block_count_y
      - .offset:         112
        .size:           4
        .value_kind:     hidden_block_count_z
      - .offset:         116
        .size:           2
        .value_kind:     hidden_group_size_x
      - .offset:         118
        .size:           2
        .value_kind:     hidden_group_size_y
      - .offset:         120
        .size:           2
        .value_kind:     hidden_group_size_z
      - .offset:         122
        .size:           2
        .value_kind:     hidden_remainder_x
      - .offset:         124
        .size:           2
        .value_kind:     hidden_remainder_y
      - .offset:         126
        .size:           2
        .value_kind:     hidden_remainder_z
      - .offset:         144
        .size:           8
        .value_kind:     hidden_global_offset_x
      - .offset:         152
        .size:           8
        .value_kind:     hidden_global_offset_y
      - .offset:         160
        .size:           8
        .value_kind:     hidden_global_offset_z
      - .offset:         168
        .size:           2
        .value_kind:     hidden_grid_dims
    .group_segment_fixed_size: 36
    .kernarg_segment_align: 8
    .kernarg_segment_size: 360
    .language:       OpenCL C
    .language_version:
      - 2
      - 0
    .max_flat_workgroup_size: 512
    .name:           _ZN9rocsolver6v33100L18stedc_solve_kernelIfEEviiPT_lS3_lS3_iilPiS3_S4_S2_S2_S2_
    .private_segment_fixed_size: 0
    .sgpr_count:     35
    .sgpr_spill_count: 0
    .symbol:         _ZN9rocsolver6v33100L18stedc_solve_kernelIfEEviiPT_lS3_lS3_iilPiS3_S4_S2_S2_S2_.kd
    .uniform_work_group_size: 1
    .uses_dynamic_stack: false
    .vgpr_count:     150
    .vgpr_spill_count: 0
    .wavefront_size: 32
    .workgroup_processor_mode: 1
  - .args:
      - .offset:         0
        .size:           4
        .value_kind:     by_value
      - .offset:         4
        .size:           4
        .value_kind:     by_value
      - .address_space:  global
        .offset:         8
        .size:           8
        .value_kind:     global_buffer
      - .offset:         16
        .size:           8
        .value_kind:     by_value
      - .address_space:  global
        .offset:         24
        .size:           8
        .value_kind:     global_buffer
      - .offset:         32
        .size:           8
        .value_kind:     by_value
      - .address_space:  global
        .offset:         40
        .size:           8
        .value_kind:     global_buffer
      - .offset:         48
        .size:           4
        .value_kind:     by_value
      - .offset:         52
        .size:           4
        .value_kind:     by_value
      - .offset:         56
        .size:           8
        .value_kind:     by_value
      - .address_space:  global
        .offset:         64
        .size:           8
        .value_kind:     global_buffer
      - .address_space:  global
        .offset:         72
        .size:           8
        .value_kind:     global_buffer
      - .offset:         80
        .size:           4
        .value_kind:     by_value
      - .offset:         88
        .size:           4
        .value_kind:     hidden_block_count_x
      - .offset:         92
        .size:           4
        .value_kind:     hidden_block_count_y
      - .offset:         96
        .size:           4
        .value_kind:     hidden_block_count_z
      - .offset:         100
        .size:           2
        .value_kind:     hidden_group_size_x
      - .offset:         102
        .size:           2
        .value_kind:     hidden_group_size_y
      - .offset:         104
        .size:           2
        .value_kind:     hidden_group_size_z
      - .offset:         106
        .size:           2
        .value_kind:     hidden_remainder_x
      - .offset:         108
        .size:           2
        .value_kind:     hidden_remainder_y
      - .offset:         110
        .size:           2
        .value_kind:     hidden_remainder_z
      - .offset:         128
        .size:           8
        .value_kind:     hidden_global_offset_x
      - .offset:         136
        .size:           8
        .value_kind:     hidden_global_offset_y
      - .offset:         144
        .size:           8
        .value_kind:     hidden_global_offset_z
      - .offset:         152
        .size:           2
        .value_kind:     hidden_grid_dims
    .group_segment_fixed_size: 4096
    .kernarg_segment_align: 8
    .kernarg_segment_size: 344
    .language:       OpenCL C
    .language_version:
      - 2
      - 0
    .max_flat_workgroup_size: 512
    .name:           _ZN9rocsolver6v33100L37stedc_mergePrepare_DeflateZero_kernelIfEEviiPT_lS3_lS3_iilS3_PiS2_
    .private_segment_fixed_size: 0
    .sgpr_count:     40
    .sgpr_spill_count: 0
    .symbol:         _ZN9rocsolver6v33100L37stedc_mergePrepare_DeflateZero_kernelIfEEviiPT_lS3_lS3_iilS3_PiS2_.kd
    .uniform_work_group_size: 1
    .uses_dynamic_stack: false
    .vgpr_count:     15
    .vgpr_spill_count: 0
    .wavefront_size: 32
    .workgroup_processor_mode: 1
  - .args:
      - .offset:         0
        .size:           4
        .value_kind:     by_value
      - .offset:         4
        .size:           4
        .value_kind:     by_value
      - .address_space:  global
        .offset:         8
        .size:           8
        .value_kind:     global_buffer
      - .offset:         16
        .size:           8
        .value_kind:     by_value
      - .address_space:  global
        .offset:         24
        .size:           8
        .value_kind:     global_buffer
      - .address_space:  global
        .offset:         32
        .size:           8
        .value_kind:     global_buffer
      - .offset:         40
        .size:           4
        .value_kind:     hidden_block_count_x
      - .offset:         44
        .size:           4
        .value_kind:     hidden_block_count_y
      - .offset:         48
        .size:           4
        .value_kind:     hidden_block_count_z
      - .offset:         52
        .size:           2
        .value_kind:     hidden_group_size_x
      - .offset:         54
        .size:           2
        .value_kind:     hidden_group_size_y
      - .offset:         56
        .size:           2
        .value_kind:     hidden_group_size_z
      - .offset:         58
        .size:           2
        .value_kind:     hidden_remainder_x
      - .offset:         60
        .size:           2
        .value_kind:     hidden_remainder_y
      - .offset:         62
        .size:           2
        .value_kind:     hidden_remainder_z
      - .offset:         80
        .size:           8
        .value_kind:     hidden_global_offset_x
      - .offset:         88
        .size:           8
        .value_kind:     hidden_global_offset_y
      - .offset:         96
        .size:           8
        .value_kind:     hidden_global_offset_z
      - .offset:         104
        .size:           2
        .value_kind:     hidden_grid_dims
    .group_segment_fixed_size: 4096
    .kernarg_segment_align: 8
    .kernarg_segment_size: 296
    .language:       OpenCL C
    .language_version:
      - 2
      - 0
    .max_flat_workgroup_size: 512
    .name:           _ZN9rocsolver6v33100L31stedc_mergePrepare_SortD_kernelIfEEviiPT_lS3_Pi
    .private_segment_fixed_size: 0
    .sgpr_count:     43
    .sgpr_spill_count: 0
    .symbol:         _ZN9rocsolver6v33100L31stedc_mergePrepare_SortD_kernelIfEEviiPT_lS3_Pi.kd
    .uniform_work_group_size: 1
    .uses_dynamic_stack: false
    .vgpr_count:     27
    .vgpr_spill_count: 0
    .wavefront_size: 32
    .workgroup_processor_mode: 1
  - .args:
      - .offset:         0
        .size:           4
        .value_kind:     by_value
      - .offset:         4
        .size:           4
        .value_kind:     by_value
      - .address_space:  global
        .offset:         8
        .size:           8
        .value_kind:     global_buffer
      - .offset:         16
        .size:           8
        .value_kind:     by_value
      - .address_space:  global
        .offset:         24
        .size:           8
        .value_kind:     global_buffer
      - .address_space:  global
        .offset:         32
        .size:           8
        .value_kind:     global_buffer
      - .offset:         40
        .size:           4
        .value_kind:     hidden_block_count_x
      - .offset:         44
        .size:           4
        .value_kind:     hidden_block_count_y
      - .offset:         48
        .size:           4
        .value_kind:     hidden_block_count_z
      - .offset:         52
        .size:           2
        .value_kind:     hidden_group_size_x
      - .offset:         54
        .size:           2
        .value_kind:     hidden_group_size_y
      - .offset:         56
        .size:           2
        .value_kind:     hidden_group_size_z
      - .offset:         58
        .size:           2
        .value_kind:     hidden_remainder_x
      - .offset:         60
        .size:           2
        .value_kind:     hidden_remainder_y
      - .offset:         62
        .size:           2
        .value_kind:     hidden_remainder_z
      - .offset:         80
        .size:           8
        .value_kind:     hidden_global_offset_x
      - .offset:         88
        .size:           8
        .value_kind:     hidden_global_offset_y
      - .offset:         96
        .size:           8
        .value_kind:     hidden_global_offset_z
      - .offset:         104
        .size:           2
        .value_kind:     hidden_grid_dims
    .group_segment_fixed_size: 0
    .kernarg_segment_align: 8
    .kernarg_segment_size: 296
    .language:       OpenCL C
    .language_version:
      - 2
      - 0
    .max_flat_workgroup_size: 512
    .name:           _ZN9rocsolver6v33100L38stedc_mergePrepare_SetCandFlags_kernelIfEEviiPT_lS3_Pi
    .private_segment_fixed_size: 0
    .sgpr_count:     18
    .sgpr_spill_count: 0
    .symbol:         _ZN9rocsolver6v33100L38stedc_mergePrepare_SetCandFlags_kernelIfEEviiPT_lS3_Pi.kd
    .uniform_work_group_size: 1
    .uses_dynamic_stack: false
    .vgpr_count:     15
    .vgpr_spill_count: 0
    .wavefront_size: 32
    .workgroup_processor_mode: 1
  - .args:
      - .offset:         0
        .size:           4
        .value_kind:     by_value
      - .offset:         4
        .size:           4
        .value_kind:     by_value
      - .address_space:  global
        .offset:         8
        .size:           8
        .value_kind:     global_buffer
      - .offset:         16
        .size:           8
        .value_kind:     by_value
      - .address_space:  global
        .offset:         24
        .size:           8
        .value_kind:     global_buffer
      - .address_space:  global
        .offset:         32
        .size:           8
        .value_kind:     global_buffer
      - .offset:         40
        .size:           4
        .value_kind:     hidden_block_count_x
      - .offset:         44
        .size:           4
        .value_kind:     hidden_block_count_y
      - .offset:         48
        .size:           4
        .value_kind:     hidden_block_count_z
      - .offset:         52
        .size:           2
        .value_kind:     hidden_group_size_x
      - .offset:         54
        .size:           2
        .value_kind:     hidden_group_size_y
      - .offset:         56
        .size:           2
        .value_kind:     hidden_group_size_z
      - .offset:         58
        .size:           2
        .value_kind:     hidden_remainder_x
      - .offset:         60
        .size:           2
        .value_kind:     hidden_remainder_y
      - .offset:         62
        .size:           2
        .value_kind:     hidden_remainder_z
      - .offset:         80
        .size:           8
        .value_kind:     hidden_global_offset_x
      - .offset:         88
        .size:           8
        .value_kind:     hidden_global_offset_y
      - .offset:         96
        .size:           8
        .value_kind:     hidden_global_offset_z
      - .offset:         104
        .size:           2
        .value_kind:     hidden_grid_dims
    .group_segment_fixed_size: 32768
    .kernarg_segment_align: 8
    .kernarg_segment_size: 296
    .language:       OpenCL C
    .language_version:
      - 2
      - 0
    .max_flat_workgroup_size: 512
    .name:           _ZN9rocsolver6v33100L38stedc_mergePrepare_DeflateCount_kernelIfEEviiPT_lS3_Pi
    .private_segment_fixed_size: 0
    .sgpr_count:     27
    .sgpr_spill_count: 0
    .symbol:         _ZN9rocsolver6v33100L38stedc_mergePrepare_DeflateCount_kernelIfEEviiPT_lS3_Pi.kd
    .uniform_work_group_size: 1
    .uses_dynamic_stack: false
    .vgpr_count:     16
    .vgpr_spill_count: 0
    .wavefront_size: 32
    .workgroup_processor_mode: 1
  - .args:
      - .offset:         0
        .size:           4
        .value_kind:     by_value
      - .offset:         4
        .size:           4
        .value_kind:     by_value
      - .address_space:  global
        .offset:         8
        .size:           8
        .value_kind:     global_buffer
      - .offset:         16
        .size:           8
        .value_kind:     by_value
      - .address_space:  global
        .offset:         24
        .size:           8
        .value_kind:     global_buffer
      - .address_space:  global
        .offset:         32
        .size:           8
        .value_kind:     global_buffer
      - .offset:         40
        .size:           4
        .value_kind:     hidden_block_count_x
      - .offset:         44
        .size:           4
        .value_kind:     hidden_block_count_y
      - .offset:         48
        .size:           4
        .value_kind:     hidden_block_count_z
      - .offset:         52
        .size:           2
        .value_kind:     hidden_group_size_x
      - .offset:         54
        .size:           2
        .value_kind:     hidden_group_size_y
      - .offset:         56
        .size:           2
        .value_kind:     hidden_group_size_z
      - .offset:         58
        .size:           2
        .value_kind:     hidden_remainder_x
      - .offset:         60
        .size:           2
        .value_kind:     hidden_remainder_y
      - .offset:         62
        .size:           2
        .value_kind:     hidden_remainder_z
      - .offset:         80
        .size:           8
        .value_kind:     hidden_global_offset_x
      - .offset:         88
        .size:           8
        .value_kind:     hidden_global_offset_y
      - .offset:         96
        .size:           8
        .value_kind:     hidden_global_offset_z
      - .offset:         104
        .size:           2
        .value_kind:     hidden_grid_dims
    .group_segment_fixed_size: 32768
    .kernarg_segment_align: 8
    .kernarg_segment_size: 296
    .language:       OpenCL C
    .language_version:
      - 2
      - 0
    .max_flat_workgroup_size: 512
    .name:           _ZN9rocsolver6v33100L38stedc_mergePrepare_DeflateApply_kernelIfEEviiPT_lS3_Pi
    .private_segment_fixed_size: 0
    .sgpr_count:     25
    .sgpr_spill_count: 0
    .symbol:         _ZN9rocsolver6v33100L38stedc_mergePrepare_DeflateApply_kernelIfEEviiPT_lS3_Pi.kd
    .uniform_work_group_size: 1
    .uses_dynamic_stack: false
    .vgpr_count:     18
    .vgpr_spill_count: 0
    .wavefront_size: 32
    .workgroup_processor_mode: 1
  - .args:
      - .offset:         0
        .size:           4
        .value_kind:     by_value
      - .offset:         4
        .size:           4
        .value_kind:     by_value
      - .address_space:  global
        .offset:         8
        .size:           8
        .value_kind:     global_buffer
      - .offset:         16
        .size:           4
        .value_kind:     by_value
      - .offset:         20
        .size:           4
        .value_kind:     by_value
      - .offset:         24
        .size:           8
        .value_kind:     by_value
      - .address_space:  global
        .offset:         32
        .size:           8
        .value_kind:     global_buffer
      - .address_space:  global
        .offset:         40
        .size:           8
        .value_kind:     global_buffer
      - .offset:         48
        .size:           4
        .value_kind:     hidden_block_count_x
      - .offset:         52
        .size:           4
        .value_kind:     hidden_block_count_y
      - .offset:         56
        .size:           4
        .value_kind:     hidden_block_count_z
      - .offset:         60
        .size:           2
        .value_kind:     hidden_group_size_x
      - .offset:         62
        .size:           2
        .value_kind:     hidden_group_size_y
      - .offset:         64
        .size:           2
        .value_kind:     hidden_group_size_z
      - .offset:         66
        .size:           2
        .value_kind:     hidden_remainder_x
      - .offset:         68
        .size:           2
        .value_kind:     hidden_remainder_y
      - .offset:         70
        .size:           2
        .value_kind:     hidden_remainder_z
      - .offset:         88
        .size:           8
        .value_kind:     hidden_global_offset_x
      - .offset:         96
        .size:           8
        .value_kind:     hidden_global_offset_y
      - .offset:         104
        .size:           8
        .value_kind:     hidden_global_offset_z
      - .offset:         112
        .size:           2
        .value_kind:     hidden_grid_dims
    .group_segment_fixed_size: 0
    .kernarg_segment_align: 8
    .kernarg_segment_size: 304
    .language:       OpenCL C
    .language_version:
      - 2
      - 0
    .max_flat_workgroup_size: 512
    .name:           _ZN9rocsolver6v33100L24stedc_mergeRotate_kernelIfEEviiPT_iilS3_Pi
    .private_segment_fixed_size: 0
    .sgpr_count:     43
    .sgpr_spill_count: 0
    .symbol:         _ZN9rocsolver6v33100L24stedc_mergeRotate_kernelIfEEviiPT_iilS3_Pi.kd
    .uniform_work_group_size: 1
    .uses_dynamic_stack: false
    .vgpr_count:     118
    .vgpr_spill_count: 0
    .wavefront_size: 32
    .workgroup_processor_mode: 1
  - .args:
      - .offset:         0
        .size:           4
        .value_kind:     by_value
      - .offset:         4
        .size:           4
        .value_kind:     by_value
      - .address_space:  global
        .offset:         8
        .size:           8
        .value_kind:     global_buffer
      - .offset:         16
        .size:           8
        .value_kind:     by_value
      - .address_space:  global
        .offset:         24
        .size:           8
        .value_kind:     global_buffer
      - .address_space:  global
        .offset:         32
        .size:           8
        .value_kind:     global_buffer
      - .offset:         40
        .size:           4
        .value_kind:     hidden_block_count_x
      - .offset:         44
        .size:           4
        .value_kind:     hidden_block_count_y
      - .offset:         48
        .size:           4
        .value_kind:     hidden_block_count_z
      - .offset:         52
        .size:           2
        .value_kind:     hidden_group_size_x
      - .offset:         54
        .size:           2
        .value_kind:     hidden_group_size_y
      - .offset:         56
        .size:           2
        .value_kind:     hidden_group_size_z
      - .offset:         58
        .size:           2
        .value_kind:     hidden_remainder_x
      - .offset:         60
        .size:           2
        .value_kind:     hidden_remainder_y
      - .offset:         62
        .size:           2
        .value_kind:     hidden_remainder_z
      - .offset:         80
        .size:           8
        .value_kind:     hidden_global_offset_x
      - .offset:         88
        .size:           8
        .value_kind:     hidden_global_offset_y
      - .offset:         96
        .size:           8
        .value_kind:     hidden_global_offset_z
      - .offset:         104
        .size:           2
        .value_kind:     hidden_grid_dims
    .group_segment_fixed_size: 4096
    .kernarg_segment_align: 8
    .kernarg_segment_size: 296
    .language:       OpenCL C
    .language_version:
      - 2
      - 0
    .max_flat_workgroup_size: 512
    .name:           _ZN9rocsolver6v33100L31stedc_mergeValues_SortDZ_kernelIfEEviiPT_lS3_Pi
    .private_segment_fixed_size: 0
    .sgpr_count:     50
    .sgpr_spill_count: 0
    .symbol:         _ZN9rocsolver6v33100L31stedc_mergeValues_SortDZ_kernelIfEEviiPT_lS3_Pi.kd
    .uniform_work_group_size: 1
    .uses_dynamic_stack: false
    .vgpr_count:     29
    .vgpr_spill_count: 0
    .wavefront_size: 32
    .workgroup_processor_mode: 1
  - .args:
      - .offset:         0
        .size:           4
        .value_kind:     by_value
      - .offset:         4
        .size:           4
        .value_kind:     by_value
      - .address_space:  global
        .offset:         8
        .size:           8
        .value_kind:     global_buffer
      - .offset:         16
        .size:           8
        .value_kind:     by_value
      - .address_space:  global
        .offset:         24
        .size:           8
        .value_kind:     global_buffer
      - .address_space:  global
        .offset:         32
        .size:           8
        .value_kind:     global_buffer
      - .address_space:  global
        .offset:         40
        .size:           8
        .value_kind:     global_buffer
      - .offset:         48
        .size:           4
        .value_kind:     hidden_block_count_x
      - .offset:         52
        .size:           4
        .value_kind:     hidden_block_count_y
      - .offset:         56
        .size:           4
        .value_kind:     hidden_block_count_z
      - .offset:         60
        .size:           2
        .value_kind:     hidden_group_size_x
      - .offset:         62
        .size:           2
        .value_kind:     hidden_group_size_y
      - .offset:         64
        .size:           2
        .value_kind:     hidden_group_size_z
      - .offset:         66
        .size:           2
        .value_kind:     hidden_remainder_x
      - .offset:         68
        .size:           2
        .value_kind:     hidden_remainder_y
      - .offset:         70
        .size:           2
        .value_kind:     hidden_remainder_z
      - .offset:         88
        .size:           8
        .value_kind:     hidden_global_offset_x
      - .offset:         96
        .size:           8
        .value_kind:     hidden_global_offset_y
      - .offset:         104
        .size:           8
        .value_kind:     hidden_global_offset_z
      - .offset:         112
        .size:           2
        .value_kind:     hidden_grid_dims
    .group_segment_fixed_size: 0
    .kernarg_segment_align: 8
    .kernarg_segment_size: 304
    .language:       OpenCL C
    .language_version:
      - 2
      - 0
    .max_flat_workgroup_size: 512
    .name:           _ZN9rocsolver6v33100L30stedc_mergeValues_copyD_kernelIfEEviiPT_lS3_S3_Pi
    .private_segment_fixed_size: 0
    .sgpr_count:     26
    .sgpr_spill_count: 0
    .symbol:         _ZN9rocsolver6v33100L30stedc_mergeValues_copyD_kernelIfEEviiPT_lS3_S3_Pi.kd
    .uniform_work_group_size: 1
    .uses_dynamic_stack: false
    .vgpr_count:     5
    .vgpr_spill_count: 0
    .wavefront_size: 32
    .workgroup_processor_mode: 1
  - .args:
      - .offset:         0
        .size:           4
        .value_kind:     by_value
      - .address_space:  global
        .offset:         8
        .size:           8
        .value_kind:     global_buffer
      - .offset:         16
        .size:           4
        .value_kind:     by_value
      - .offset:         20
        .size:           4
        .value_kind:     by_value
      - .offset:         24
        .size:           8
        .value_kind:     by_value
      - .address_space:  global
        .offset:         32
        .size:           8
        .value_kind:     global_buffer
      - .offset:         40
        .size:           4
        .value_kind:     by_value
      - .offset:         44
        .size:           4
        .value_kind:     by_value
      - .offset:         48
        .size:           8
        .value_kind:     by_value
      - .offset:         56
        .size:           4
        .value_kind:     hidden_block_count_x
      - .offset:         60
        .size:           4
        .value_kind:     hidden_block_count_y
      - .offset:         64
        .size:           4
        .value_kind:     hidden_block_count_z
      - .offset:         68
        .size:           2
        .value_kind:     hidden_group_size_x
      - .offset:         70
        .size:           2
        .value_kind:     hidden_group_size_y
      - .offset:         72
        .size:           2
        .value_kind:     hidden_group_size_z
      - .offset:         74
        .size:           2
        .value_kind:     hidden_remainder_x
      - .offset:         76
        .size:           2
        .value_kind:     hidden_remainder_y
      - .offset:         78
        .size:           2
        .value_kind:     hidden_remainder_z
      - .offset:         96
        .size:           8
        .value_kind:     hidden_global_offset_x
      - .offset:         104
        .size:           8
        .value_kind:     hidden_global_offset_y
      - .offset:         112
        .size:           8
        .value_kind:     hidden_global_offset_z
      - .offset:         120
        .size:           2
        .value_kind:     hidden_grid_dims
    .group_segment_fixed_size: 0
    .kernarg_segment_align: 8
    .kernarg_segment_size: 312
    .language:       OpenCL C
    .language_version:
      - 2
      - 0
    .max_flat_workgroup_size: 512
    .name:           _ZN9rocsolver6v33100L11stedc_copyCIfPfS2_EEviT0_iilT1_iil
    .private_segment_fixed_size: 0
    .sgpr_count:     42
    .sgpr_spill_count: 0
    .symbol:         _ZN9rocsolver6v33100L11stedc_copyCIfPfS2_EEviT0_iilT1_iil.kd
    .uniform_work_group_size: 1
    .uses_dynamic_stack: false
    .vgpr_count:     50
    .vgpr_spill_count: 0
    .wavefront_size: 32
    .workgroup_processor_mode: 1
  - .args:
      - .offset:         0
        .size:           4
        .value_kind:     by_value
      - .address_space:  global
        .offset:         8
        .size:           8
        .value_kind:     global_buffer
      - .offset:         16
        .size:           4
        .value_kind:     by_value
      - .offset:         20
        .size:           4
        .value_kind:     by_value
      - .offset:         24
        .size:           8
        .value_kind:     by_value
      - .address_space:  global
        .offset:         32
        .size:           8
        .value_kind:     global_buffer
      - .offset:         40
        .size:           4
        .value_kind:     by_value
      - .offset:         44
        .size:           4
        .value_kind:     by_value
      - .offset:         48
        .size:           8
        .value_kind:     by_value
      - .address_space:  global
        .offset:         56
        .size:           8
        .value_kind:     global_buffer
      - .offset:         64
        .size:           4
        .value_kind:     hidden_block_count_x
      - .offset:         68
        .size:           4
        .value_kind:     hidden_block_count_y
      - .offset:         72
        .size:           4
        .value_kind:     hidden_block_count_z
      - .offset:         76
        .size:           2
        .value_kind:     hidden_group_size_x
      - .offset:         78
        .size:           2
        .value_kind:     hidden_group_size_y
      - .offset:         80
        .size:           2
        .value_kind:     hidden_group_size_z
      - .offset:         82
        .size:           2
        .value_kind:     hidden_remainder_x
      - .offset:         84
        .size:           2
        .value_kind:     hidden_remainder_y
      - .offset:         86
        .size:           2
        .value_kind:     hidden_remainder_z
      - .offset:         104
        .size:           8
        .value_kind:     hidden_global_offset_x
      - .offset:         112
        .size:           8
        .value_kind:     hidden_global_offset_y
      - .offset:         120
        .size:           8
        .value_kind:     hidden_global_offset_z
      - .offset:         128
        .size:           2
        .value_kind:     hidden_grid_dims
    .group_segment_fixed_size: 0
    .kernarg_segment_align: 8
    .kernarg_segment_size: 320
    .language:       OpenCL C
    .language_version:
      - 2
      - 0
    .max_flat_workgroup_size: 512
    .name:           _ZN9rocsolver6v33100L16stedc_reshuffleCIfPfS2_EEviT0_iilT1_iilPi
    .private_segment_fixed_size: 0
    .sgpr_count:     42
    .sgpr_spill_count: 0
    .symbol:         _ZN9rocsolver6v33100L16stedc_reshuffleCIfPfS2_EEviT0_iilT1_iilPi.kd
    .uniform_work_group_size: 1
    .uses_dynamic_stack: false
    .vgpr_count:     50
    .vgpr_spill_count: 0
    .wavefront_size: 32
    .workgroup_processor_mode: 1
  - .args:
      - .offset:         0
        .size:           4
        .value_kind:     by_value
      - .offset:         4
        .size:           4
        .value_kind:     by_value
      - .address_space:  global
        .offset:         8
        .size:           8
        .value_kind:     global_buffer
      - .offset:         16
        .size:           8
        .value_kind:     by_value
      - .address_space:  global
        .offset:         24
        .size:           8
        .value_kind:     global_buffer
      - .offset:         32
        .size:           8
        .value_kind:     by_value
      - .address_space:  global
        .offset:         40
        .size:           8
        .value_kind:     global_buffer
      - .address_space:  global
        .offset:         48
        .size:           8
        .value_kind:     global_buffer
      - .address_space:  global
        .offset:         56
        .size:           8
        .value_kind:     global_buffer
      - .offset:         64
        .size:           4
        .value_kind:     by_value
      - .offset:         68
        .size:           4
        .value_kind:     by_value
      - .offset:         72
        .size:           4
        .value_kind:     by_value
      - .offset:         80
        .size:           4
        .value_kind:     hidden_block_count_x
      - .offset:         84
        .size:           4
        .value_kind:     hidden_block_count_y
      - .offset:         88
        .size:           4
        .value_kind:     hidden_block_count_z
      - .offset:         92
        .size:           2
        .value_kind:     hidden_group_size_x
      - .offset:         94
        .size:           2
        .value_kind:     hidden_group_size_y
      - .offset:         96
        .size:           2
        .value_kind:     hidden_group_size_z
      - .offset:         98
        .size:           2
        .value_kind:     hidden_remainder_x
      - .offset:         100
        .size:           2
        .value_kind:     hidden_remainder_y
      - .offset:         102
        .size:           2
        .value_kind:     hidden_remainder_z
      - .offset:         120
        .size:           8
        .value_kind:     hidden_global_offset_x
      - .offset:         128
        .size:           8
        .value_kind:     hidden_global_offset_y
      - .offset:         136
        .size:           8
        .value_kind:     hidden_global_offset_z
      - .offset:         144
        .size:           2
        .value_kind:     hidden_grid_dims
    .group_segment_fixed_size: 0
    .kernarg_segment_align: 8
    .kernarg_segment_size: 336
    .language:       OpenCL C
    .language_version:
      - 2
      - 0
    .max_flat_workgroup_size: 4
    .name:           _ZN9rocsolver6v33100L30stedc_mergeValues_Solve_kernelIfEEviiPT_lS3_lS3_S3_PiS2_S2_S2_
    .private_segment_fixed_size: 0
    .sgpr_count:     28
    .sgpr_spill_count: 0
    .symbol:         _ZN9rocsolver6v33100L30stedc_mergeValues_Solve_kernelIfEEviiPT_lS3_lS3_S3_PiS2_S2_S2_.kd
    .uniform_work_group_size: 1
    .uses_dynamic_stack: false
    .vgpr_count:     48
    .vgpr_spill_count: 0
    .wavefront_size: 32
    .workgroup_processor_mode: 1
  - .args:
      - .offset:         0
        .size:           4
        .value_kind:     by_value
      - .offset:         4
        .size:           4
        .value_kind:     by_value
      - .address_space:  global
        .offset:         8
        .size:           8
        .value_kind:     global_buffer
      - .offset:         16
        .size:           8
        .value_kind:     by_value
      - .address_space:  global
        .offset:         24
        .size:           8
        .value_kind:     global_buffer
      - .offset:         32
        .size:           8
        .value_kind:     by_value
      - .address_space:  global
        .offset:         40
        .size:           8
        .value_kind:     global_buffer
      - .address_space:  global
        .offset:         48
        .size:           8
        .value_kind:     global_buffer
      - .address_space:  global
        .offset:         56
        .size:           8
        .value_kind:     global_buffer
      - .offset:         64
        .size:           4
        .value_kind:     by_value
      - .offset:         68
        .size:           4
        .value_kind:     by_value
      - .offset:         72
        .size:           4
        .value_kind:     by_value
      - .offset:         80
        .size:           4
        .value_kind:     hidden_block_count_x
      - .offset:         84
        .size:           4
        .value_kind:     hidden_block_count_y
      - .offset:         88
        .size:           4
        .value_kind:     hidden_block_count_z
      - .offset:         92
        .size:           2
        .value_kind:     hidden_group_size_x
      - .offset:         94
        .size:           2
        .value_kind:     hidden_group_size_y
      - .offset:         96
        .size:           2
        .value_kind:     hidden_group_size_z
      - .offset:         98
        .size:           2
        .value_kind:     hidden_remainder_x
      - .offset:         100
        .size:           2
        .value_kind:     hidden_remainder_y
      - .offset:         102
        .size:           2
        .value_kind:     hidden_remainder_z
      - .offset:         120
        .size:           8
        .value_kind:     hidden_global_offset_x
      - .offset:         128
        .size:           8
        .value_kind:     hidden_global_offset_y
      - .offset:         136
        .size:           8
        .value_kind:     hidden_global_offset_z
      - .offset:         144
        .size:           2
        .value_kind:     hidden_grid_dims
    .group_segment_fixed_size: 2048
    .kernarg_segment_align: 8
    .kernarg_segment_size: 336
    .language:       OpenCL C
    .language_version:
      - 2
      - 0
    .max_flat_workgroup_size: 512
    .name:           _ZN9rocsolver6v33100L32stedc_mergeValues_Rescale_kernelIfEEviiPT_lS3_lS3_S3_PiS2_S2_S2_
    .private_segment_fixed_size: 0
    .sgpr_count:     26
    .sgpr_spill_count: 0
    .symbol:         _ZN9rocsolver6v33100L32stedc_mergeValues_Rescale_kernelIfEEviiPT_lS3_lS3_S3_PiS2_S2_S2_.kd
    .uniform_work_group_size: 1
    .uses_dynamic_stack: false
    .vgpr_count:     11
    .vgpr_spill_count: 0
    .wavefront_size: 32
    .workgroup_processor_mode: 1
  - .args:
      - .offset:         0
        .size:           4
        .value_kind:     by_value
      - .offset:         4
        .size:           4
        .value_kind:     by_value
      - .address_space:  global
        .offset:         8
        .size:           8
        .value_kind:     global_buffer
      - .offset:         16
        .size:           4
        .value_kind:     by_value
      - .offset:         20
        .size:           4
        .value_kind:     by_value
      - .offset:         24
        .size:           8
        .value_kind:     by_value
      - .address_space:  global
        .offset:         32
        .size:           8
        .value_kind:     global_buffer
      - .address_space:  global
        .offset:         40
        .size:           8
        .value_kind:     global_buffer
      - .address_space:  global
        .offset:         48
        .size:           8
        .value_kind:     global_buffer
      - .offset:         56
        .size:           4
        .value_kind:     hidden_block_count_x
      - .offset:         60
        .size:           4
        .value_kind:     hidden_block_count_y
      - .offset:         64
        .size:           4
        .value_kind:     hidden_block_count_z
      - .offset:         68
        .size:           2
        .value_kind:     hidden_group_size_x
      - .offset:         70
        .size:           2
        .value_kind:     hidden_group_size_y
      - .offset:         72
        .size:           2
        .value_kind:     hidden_group_size_z
      - .offset:         74
        .size:           2
        .value_kind:     hidden_remainder_x
      - .offset:         76
        .size:           2
        .value_kind:     hidden_remainder_y
      - .offset:         78
        .size:           2
        .value_kind:     hidden_remainder_z
      - .offset:         96
        .size:           8
        .value_kind:     hidden_global_offset_x
      - .offset:         104
        .size:           8
        .value_kind:     hidden_global_offset_y
      - .offset:         112
        .size:           8
        .value_kind:     hidden_global_offset_z
      - .offset:         120
        .size:           2
        .value_kind:     hidden_grid_dims
    .group_segment_fixed_size: 2048
    .kernarg_segment_align: 8
    .kernarg_segment_size: 312
    .language:       OpenCL C
    .language_version:
      - 2
      - 0
    .max_flat_workgroup_size: 512
    .name:           _ZN9rocsolver6v33100L25stedc_mergeVectors_kernelILb1EfEEviiPT0_iilS3_S3_Pi
    .private_segment_fixed_size: 0
    .sgpr_count:     27
    .sgpr_spill_count: 0
    .symbol:         _ZN9rocsolver6v33100L25stedc_mergeVectors_kernelILb1EfEEviiPT0_iilS3_S3_Pi.kd
    .uniform_work_group_size: 1
    .uses_dynamic_stack: false
    .vgpr_count:     16
    .vgpr_spill_count: 0
    .wavefront_size: 32
    .workgroup_processor_mode: 1
  - .args:
      - .offset:         0
        .size:           4
        .value_kind:     by_value
      - .offset:         4
        .size:           4
        .value_kind:     by_value
      - .address_space:  global
        .offset:         8
        .size:           8
        .value_kind:     global_buffer
      - .offset:         16
        .size:           8
        .value_kind:     by_value
      - .address_space:  global
        .offset:         24
        .size:           8
        .value_kind:     global_buffer
      - .offset:         32
        .size:           4
        .value_kind:     by_value
      - .offset:         36
        .size:           4
        .value_kind:     by_value
      - .offset:         40
        .size:           8
        .value_kind:     by_value
      - .address_space:  global
        .offset:         48
        .size:           8
        .value_kind:     global_buffer
      - .address_space:  global
        .offset:         56
        .size:           8
        .value_kind:     global_buffer
      - .address_space:  global
        .offset:         64
        .size:           8
        .value_kind:     global_buffer
      - .offset:         72
        .size:           4
        .value_kind:     hidden_block_count_x
      - .offset:         76
        .size:           4
        .value_kind:     hidden_block_count_y
      - .offset:         80
        .size:           4
        .value_kind:     hidden_block_count_z
      - .offset:         84
        .size:           2
        .value_kind:     hidden_group_size_x
      - .offset:         86
        .size:           2
        .value_kind:     hidden_group_size_y
      - .offset:         88
        .size:           2
        .value_kind:     hidden_group_size_z
      - .offset:         90
        .size:           2
        .value_kind:     hidden_remainder_x
      - .offset:         92
        .size:           2
        .value_kind:     hidden_remainder_y
      - .offset:         94
        .size:           2
        .value_kind:     hidden_remainder_z
      - .offset:         112
        .size:           8
        .value_kind:     hidden_global_offset_x
      - .offset:         120
        .size:           8
        .value_kind:     hidden_global_offset_y
      - .offset:         128
        .size:           8
        .value_kind:     hidden_global_offset_z
      - .offset:         136
        .size:           2
        .value_kind:     hidden_grid_dims
    .group_segment_fixed_size: 0
    .kernarg_segment_align: 8
    .kernarg_segment_size: 328
    .language:       OpenCL C
    .language_version:
      - 2
      - 0
    .max_flat_workgroup_size: 512
    .name:           _ZN9rocsolver6v33100L24stedc_mergeUpdate_kernelIfEEviiPT_lS3_iilS3_S3_Pi
    .private_segment_fixed_size: 0
    .sgpr_count:     30
    .sgpr_spill_count: 0
    .symbol:         _ZN9rocsolver6v33100L24stedc_mergeUpdate_kernelIfEEviiPT_lS3_iilS3_S3_Pi.kd
    .uniform_work_group_size: 1
    .uses_dynamic_stack: false
    .vgpr_count:     4
    .vgpr_spill_count: 0
    .wavefront_size: 32
    .workgroup_processor_mode: 1
  - .args:
      - .offset:         0
        .size:           4
        .value_kind:     by_value
      - .address_space:  global
        .offset:         8
        .size:           8
        .value_kind:     global_buffer
      - .offset:         16
        .size:           8
        .value_kind:     by_value
      - .address_space:  global
        .offset:         24
        .size:           8
        .value_kind:     global_buffer
      - .offset:         32
        .size:           8
        .value_kind:     by_value
      - .offset:         40
        .size:           4
        .value_kind:     hidden_block_count_x
      - .offset:         44
        .size:           4
        .value_kind:     hidden_block_count_y
      - .offset:         48
        .size:           4
        .value_kind:     hidden_block_count_z
      - .offset:         52
        .size:           2
        .value_kind:     hidden_group_size_x
      - .offset:         54
        .size:           2
        .value_kind:     hidden_group_size_y
      - .offset:         56
        .size:           2
        .value_kind:     hidden_group_size_z
      - .offset:         58
        .size:           2
        .value_kind:     hidden_remainder_x
      - .offset:         60
        .size:           2
        .value_kind:     hidden_remainder_y
      - .offset:         62
        .size:           2
        .value_kind:     hidden_remainder_z
      - .offset:         80
        .size:           8
        .value_kind:     hidden_global_offset_x
      - .offset:         88
        .size:           8
        .value_kind:     hidden_global_offset_y
      - .offset:         96
        .size:           8
        .value_kind:     hidden_global_offset_z
      - .offset:         104
        .size:           2
        .value_kind:     hidden_grid_dims
    .group_segment_fixed_size: 0
    .kernarg_segment_align: 8
    .kernarg_segment_size: 296
    .language:       OpenCL C
    .language_version:
      - 2
      - 0
    .max_flat_workgroup_size: 512
    .name:           _ZN9rocsolver6v33100L11stedc_copyDIfEEviPT_lS3_l
    .private_segment_fixed_size: 0
    .sgpr_count:     42
    .sgpr_spill_count: 0
    .symbol:         _ZN9rocsolver6v33100L11stedc_copyDIfEEviPT_lS3_l.kd
    .uniform_work_group_size: 1
    .uses_dynamic_stack: false
    .vgpr_count:     50
    .vgpr_spill_count: 0
    .wavefront_size: 32
    .workgroup_processor_mode: 1
  - .args:
      - .offset:         0
        .size:           4
        .value_kind:     by_value
      - .address_space:  global
        .offset:         8
        .size:           8
        .value_kind:     global_buffer
      - .offset:         16
        .size:           8
        .value_kind:     by_value
      - .address_space:  global
        .offset:         24
        .size:           8
        .value_kind:     global_buffer
      - .offset:         32
        .size:           8
        .value_kind:     by_value
      - .address_space:  global
        .offset:         40
        .size:           8
        .value_kind:     global_buffer
      - .offset:         48
        .size:           4
        .value_kind:     by_value
      - .offset:         52
        .size:           4
        .value_kind:     by_value
      - .offset:         56
        .size:           8
        .value_kind:     by_value
      - .address_space:  global
        .offset:         64
        .size:           8
        .value_kind:     global_buffer
      - .offset:         72
        .size:           4
        .value_kind:     by_value
      - .offset:         76
        .size:           4
        .value_kind:     by_value
      - .offset:         80
        .size:           8
        .value_kind:     by_value
      - .offset:         88
        .size:           4
        .value_kind:     hidden_block_count_x
      - .offset:         92
        .size:           4
        .value_kind:     hidden_block_count_y
      - .offset:         96
        .size:           4
        .value_kind:     hidden_block_count_z
      - .offset:         100
        .size:           2
        .value_kind:     hidden_group_size_x
      - .offset:         102
        .size:           2
        .value_kind:     hidden_group_size_y
      - .offset:         104
        .size:           2
        .value_kind:     hidden_group_size_z
      - .offset:         106
        .size:           2
        .value_kind:     hidden_remainder_x
      - .offset:         108
        .size:           2
        .value_kind:     hidden_remainder_y
      - .offset:         110
        .size:           2
        .value_kind:     hidden_remainder_z
      - .offset:         128
        .size:           8
        .value_kind:     hidden_global_offset_x
      - .offset:         136
        .size:           8
        .value_kind:     hidden_global_offset_y
      - .offset:         144
        .size:           8
        .value_kind:     hidden_global_offset_z
      - .offset:         152
        .size:           2
        .value_kind:     hidden_grid_dims
    .group_segment_fixed_size: 2048
    .kernarg_segment_align: 8
    .kernarg_segment_size: 344
    .language:       OpenCL C
    .language_version:
      - 2
      - 0
    .max_flat_workgroup_size: 512
    .name:           _ZN9rocsolver6v33100L10stedc_sortIffPfS2_EEviPT0_lS4_lT1_iilT2_iil
    .private_segment_fixed_size: 0
    .sgpr_count:     57
    .sgpr_spill_count: 0
    .symbol:         _ZN9rocsolver6v33100L10stedc_sortIffPfS2_EEviPT0_lS4_lT1_iilT2_iil.kd
    .uniform_work_group_size: 1
    .uses_dynamic_stack: false
    .vgpr_count:     53
    .vgpr_spill_count: 0
    .wavefront_size: 32
    .workgroup_processor_mode: 1
  - .args:
      - .offset:         0
        .size:           4
        .value_kind:     by_value
      - .offset:         4
        .size:           4
        .value_kind:     by_value
      - .address_space:  global
        .offset:         8
        .size:           8
        .value_kind:     global_buffer
      - .offset:         16
        .size:           8
        .value_kind:     by_value
      - .offset:         24
        .size:           4
        .value_kind:     by_value
      - .offset:         32
        .size:           8
        .value_kind:     by_value
    .group_segment_fixed_size: 0
    .kernarg_segment_align: 8
    .kernarg_segment_size: 40
    .language:       OpenCL C
    .language_version:
      - 2
      - 0
    .max_flat_workgroup_size: 1024
    .name:           _ZN9rocsolver6v33100L13conj_in_placeIfiPfTnNSt9enable_ifIXnt18rocblas_is_complexIT_EEiE4typeELi0EEEvT0_S7_T1_lS7_l
    .private_segment_fixed_size: 0
    .sgpr_count:     0
    .sgpr_spill_count: 0
    .symbol:         _ZN9rocsolver6v33100L13conj_in_placeIfiPfTnNSt9enable_ifIXnt18rocblas_is_complexIT_EEiE4typeELi0EEEvT0_S7_T1_lS7_l.kd
    .uniform_work_group_size: 1
    .uses_dynamic_stack: false
    .vgpr_count:     0
    .vgpr_spill_count: 0
    .wavefront_size: 32
    .workgroup_processor_mode: 1
  - .args:
      - .offset:         0
        .size:           4
        .value_kind:     by_value
      - .offset:         4
        .size:           4
        .value_kind:     by_value
      - .address_space:  global
        .offset:         8
        .size:           8
        .value_kind:     global_buffer
      - .offset:         16
        .size:           8
        .value_kind:     by_value
      - .offset:         24
        .size:           4
        .value_kind:     by_value
      - .offset:         32
        .size:           8
        .value_kind:     by_value
      - .address_space:  global
        .offset:         40
        .size:           8
        .value_kind:     global_buffer
      - .offset:         48
        .size:           8
        .value_kind:     by_value
      - .address_space:  global
        .offset:         56
        .size:           8
        .value_kind:     global_buffer
      - .offset:         64
        .size:           8
        .value_kind:     by_value
      - .offset:         72
        .size:           4
        .value_kind:     by_value
      - .offset:         80
        .size:           8
        .value_kind:     by_value
    .group_segment_fixed_size: 0
    .kernarg_segment_align: 8
    .kernarg_segment_size: 88
    .language:       OpenCL C
    .language_version:
      - 2
      - 0
    .max_flat_workgroup_size: 1024
    .name:           _ZN9rocsolver6v33100L16larf_left_kernelILi1024EfiPfEEvT1_S3_T2_lS3_lPKT0_lS4_lS3_l
    .private_segment_fixed_size: 0
    .sgpr_count:     32
    .sgpr_spill_count: 0
    .symbol:         _ZN9rocsolver6v33100L16larf_left_kernelILi1024EfiPfEEvT1_S3_T2_lS3_lPKT0_lS4_lS3_l.kd
    .uniform_work_group_size: 1
    .uses_dynamic_stack: false
    .vgpr_count:     13
    .vgpr_spill_count: 0
    .wavefront_size: 32
    .workgroup_processor_mode: 1
  - .args:
      - .offset:         0
        .size:           4
        .value_kind:     by_value
      - .offset:         4
        .size:           4
        .value_kind:     by_value
      - .address_space:  global
        .offset:         8
        .size:           8
        .value_kind:     global_buffer
      - .offset:         16
        .size:           8
        .value_kind:     by_value
      - .offset:         24
        .size:           4
        .value_kind:     by_value
      - .offset:         32
        .size:           8
        .value_kind:     by_value
      - .address_space:  global
        .offset:         40
        .size:           8
        .value_kind:     global_buffer
      - .offset:         48
        .size:           8
        .value_kind:     by_value
      - .address_space:  global
        .offset:         56
        .size:           8
        .value_kind:     global_buffer
      - .offset:         64
        .size:           8
        .value_kind:     by_value
      - .offset:         72
        .size:           4
        .value_kind:     by_value
      - .offset:         80
        .size:           8
        .value_kind:     by_value
    .group_segment_fixed_size: 0
    .kernarg_segment_align: 8
    .kernarg_segment_size: 88
    .language:       OpenCL C
    .language_version:
      - 2
      - 0
    .max_flat_workgroup_size: 1024
    .name:           _ZN9rocsolver6v33100L17larf_right_kernelILi1024EfiPfEEvT1_S3_T2_lS3_lPKT0_lS4_lS3_l
    .private_segment_fixed_size: 0
    .sgpr_count:     36
    .sgpr_spill_count: 0
    .symbol:         _ZN9rocsolver6v33100L17larf_right_kernelILi1024EfiPfEEvT1_S3_T2_lS3_lPKT0_lS4_lS3_l.kd
    .uniform_work_group_size: 1
    .uses_dynamic_stack: false
    .vgpr_count:     13
    .vgpr_spill_count: 0
    .wavefront_size: 32
    .workgroup_processor_mode: 1
  - .args:
      - .address_space:  global
        .offset:         0
        .size:           8
        .value_kind:     global_buffer
      - .offset:         8
        .size:           8
        .value_kind:     by_value
      - .offset:         16
        .size:           8
        .value_kind:     by_value
      - .address_space:  global
        .offset:         24
        .size:           8
        .value_kind:     global_buffer
      - .offset:         32
        .size:           8
        .value_kind:     by_value
      - .offset:         40
        .size:           4
        .value_kind:     by_value
      - .offset:         48
        .size:           8
        .value_kind:     by_value
      - .offset:         56
        .size:           4
        .value_kind:     by_value
      - .offset:         64
        .size:           4
        .value_kind:     hidden_block_count_x
      - .offset:         68
        .size:           4
        .value_kind:     hidden_block_count_y
      - .offset:         72
        .size:           4
        .value_kind:     hidden_block_count_z
      - .offset:         76
        .size:           2
        .value_kind:     hidden_group_size_x
      - .offset:         78
        .size:           2
        .value_kind:     hidden_group_size_y
      - .offset:         80
        .size:           2
        .value_kind:     hidden_group_size_z
      - .offset:         82
        .size:           2
        .value_kind:     hidden_remainder_x
      - .offset:         84
        .size:           2
        .value_kind:     hidden_remainder_y
      - .offset:         86
        .size:           2
        .value_kind:     hidden_remainder_z
      - .offset:         104
        .size:           8
        .value_kind:     hidden_global_offset_x
      - .offset:         112
        .size:           8
        .value_kind:     hidden_global_offset_y
      - .offset:         120
        .size:           8
        .value_kind:     hidden_global_offset_z
      - .offset:         128
        .size:           2
        .value_kind:     hidden_grid_dims
    .group_segment_fixed_size: 0
    .kernarg_segment_align: 8
    .kernarg_segment_size: 320
    .language:       OpenCL C
    .language_version:
      - 2
      - 0
    .max_flat_workgroup_size: 1024
    .name:           _ZN9rocsolver6v33100L12restore_diagIfifPfEEvPT1_llT2_lT0_lS6_
    .private_segment_fixed_size: 0
    .sgpr_count:     19
    .sgpr_spill_count: 0
    .symbol:         _ZN9rocsolver6v33100L12restore_diagIfifPfEEvPT1_llT2_lT0_lS6_.kd
    .uniform_work_group_size: 1
    .uses_dynamic_stack: false
    .vgpr_count:     5
    .vgpr_spill_count: 0
    .wavefront_size: 32
    .workgroup_processor_mode: 1
  - .args:
      - .offset:         0
        .size:           4
        .value_kind:     by_value
      - .offset:         4
        .size:           4
        .value_kind:     by_value
      - .address_space:  global
        .offset:         8
        .size:           8
        .value_kind:     global_buffer
      - .offset:         16
        .size:           4
        .value_kind:     by_value
      - .offset:         20
        .size:           4
        .value_kind:     by_value
      - .offset:         24
        .size:           8
        .value_kind:     by_value
      - .address_space:  global
        .offset:         32
        .size:           8
        .value_kind:     global_buffer
      - .offset:         40
        .size:           8
        .value_kind:     by_value
      - .address_space:  global
        .offset:         48
        .size:           8
        .value_kind:     global_buffer
      - .offset:         56
        .size:           4
        .value_kind:     by_value
      - .offset:         64
        .size:           8
        .value_kind:     by_value
      - .offset:         72
        .size:           4
        .value_kind:     by_value
      - .offset:         76
        .size:           4
        .value_kind:     by_value
      - .offset:         80
        .size:           1
        .value_kind:     by_value
      - .offset:         88
        .size:           4
        .value_kind:     hidden_block_count_x
      - .offset:         92
        .size:           4
        .value_kind:     hidden_block_count_y
      - .offset:         96
        .size:           4
        .value_kind:     hidden_block_count_z
      - .offset:         100
        .size:           2
        .value_kind:     hidden_group_size_x
      - .offset:         102
        .size:           2
        .value_kind:     hidden_group_size_y
      - .offset:         104
        .size:           2
        .value_kind:     hidden_group_size_z
      - .offset:         106
        .size:           2
        .value_kind:     hidden_remainder_x
      - .offset:         108
        .size:           2
        .value_kind:     hidden_remainder_y
      - .offset:         110
        .size:           2
        .value_kind:     hidden_remainder_z
      - .offset:         128
        .size:           8
        .value_kind:     hidden_global_offset_x
      - .offset:         136
        .size:           8
        .value_kind:     hidden_global_offset_y
      - .offset:         144
        .size:           8
        .value_kind:     hidden_global_offset_z
      - .offset:         152
        .size:           2
        .value_kind:     hidden_grid_dims
    .group_segment_fixed_size: 0
    .kernarg_segment_align: 8
    .kernarg_segment_size: 344
    .language:       OpenCL C
    .language_version:
      - 2
      - 0
    .max_flat_workgroup_size: 1024
    .name:           _ZN9rocsolver6v33100L14set_triangularIfPfTnNSt9enable_ifIXnt18rocblas_is_complexIT_EEiE4typeELi0EEEviiT0_iilPS4_lS8_il15rocblas_direct_15rocblas_storev_b
    .private_segment_fixed_size: 0
    .sgpr_count:     24
    .sgpr_spill_count: 0
    .symbol:         _ZN9rocsolver6v33100L14set_triangularIfPfTnNSt9enable_ifIXnt18rocblas_is_complexIT_EEiE4typeELi0EEEviiT0_iilPS4_lS8_il15rocblas_direct_15rocblas_storev_b.kd
    .uniform_work_group_size: 1
    .uses_dynamic_stack: false
    .vgpr_count:     14
    .vgpr_spill_count: 0
    .wavefront_size: 32
    .workgroup_processor_mode: 1
  - .args:
      - .offset:         0
        .size:           4
        .value_kind:     by_value
      - .address_space:  global
        .offset:         8
        .size:           8
        .value_kind:     global_buffer
      - .offset:         16
        .size:           8
        .value_kind:     by_value
      - .offset:         24
        .size:           4
        .value_kind:     hidden_block_count_x
      - .offset:         28
        .size:           4
        .value_kind:     hidden_block_count_y
      - .offset:         32
        .size:           4
        .value_kind:     hidden_block_count_z
      - .offset:         36
        .size:           2
        .value_kind:     hidden_group_size_x
      - .offset:         38
        .size:           2
        .value_kind:     hidden_group_size_y
      - .offset:         40
        .size:           2
        .value_kind:     hidden_group_size_z
      - .offset:         42
        .size:           2
        .value_kind:     hidden_remainder_x
      - .offset:         44
        .size:           2
        .value_kind:     hidden_remainder_y
      - .offset:         46
        .size:           2
        .value_kind:     hidden_remainder_z
      - .offset:         64
        .size:           8
        .value_kind:     hidden_global_offset_x
      - .offset:         72
        .size:           8
        .value_kind:     hidden_global_offset_y
      - .offset:         80
        .size:           8
        .value_kind:     hidden_global_offset_z
      - .offset:         88
        .size:           2
        .value_kind:     hidden_grid_dims
    .group_segment_fixed_size: 0
    .kernarg_segment_align: 8
    .kernarg_segment_size: 280
    .language:       OpenCL C
    .language_version:
      - 2
      - 0
    .max_flat_workgroup_size: 1024
    .name:           _ZN9rocsolver6v33100L7set_tauIfEEviPT_l
    .private_segment_fixed_size: 0
    .sgpr_count:     18
    .sgpr_spill_count: 0
    .symbol:         _ZN9rocsolver6v33100L7set_tauIfEEviPT_l.kd
    .uniform_work_group_size: 1
    .uses_dynamic_stack: false
    .vgpr_count:     3
    .vgpr_spill_count: 0
    .wavefront_size: 32
    .workgroup_processor_mode: 1
  - .args:
      - .offset:         0
        .size:           4
        .value_kind:     by_value
      - .offset:         4
        .size:           4
        .value_kind:     by_value
      - .offset:         8
        .size:           4
        .value_kind:     by_value
      - .address_space:  global
        .offset:         16
        .size:           8
        .value_kind:     global_buffer
      - .offset:         24
        .size:           4
        .value_kind:     by_value
      - .offset:         28
        .size:           4
        .value_kind:     by_value
      - .offset:         32
        .size:           8
        .value_kind:     by_value
      - .address_space:  global
        .offset:         40
        .size:           8
        .value_kind:     global_buffer
      - .offset:         48
        .size:           8
        .value_kind:     by_value
      - .address_space:  global
        .offset:         56
        .size:           8
        .value_kind:     global_buffer
      - .offset:         64
        .size:           4
        .value_kind:     by_value
      - .offset:         72
        .size:           8
        .value_kind:     by_value
      - .offset:         80
        .size:           4
        .value_kind:     hidden_block_count_x
      - .offset:         84
        .size:           4
        .value_kind:     hidden_block_count_y
      - .offset:         88
        .size:           4
        .value_kind:     hidden_block_count_z
      - .offset:         92
        .size:           2
        .value_kind:     hidden_group_size_x
      - .offset:         94
        .size:           2
        .value_kind:     hidden_group_size_y
      - .offset:         96
        .size:           2
        .value_kind:     hidden_group_size_z
      - .offset:         98
        .size:           2
        .value_kind:     hidden_remainder_x
      - .offset:         100
        .size:           2
        .value_kind:     hidden_remainder_y
      - .offset:         102
        .size:           2
        .value_kind:     hidden_remainder_z
      - .offset:         120
        .size:           8
        .value_kind:     hidden_global_offset_x
      - .offset:         128
        .size:           8
        .value_kind:     hidden_global_offset_y
      - .offset:         136
        .size:           8
        .value_kind:     hidden_global_offset_z
      - .offset:         144
        .size:           2
        .value_kind:     hidden_grid_dims
      - .offset:         200
        .size:           4
        .value_kind:     hidden_dynamic_lds_size
    .group_segment_fixed_size: 0
    .kernarg_segment_align: 8
    .kernarg_segment_size: 336
    .language:       OpenCL C
    .language_version:
      - 2
      - 0
    .max_flat_workgroup_size: 1024
    .name:           _ZN9rocsolver6v33100L20larft_kernel_forwardIfPfEEv15rocblas_storev_iiT0_iilPT_lS6_il
    .private_segment_fixed_size: 0
    .sgpr_count:     44
    .sgpr_spill_count: 0
    .symbol:         _ZN9rocsolver6v33100L20larft_kernel_forwardIfPfEEv15rocblas_storev_iiT0_iilPT_lS6_il.kd
    .uniform_work_group_size: 1
    .uses_dynamic_stack: false
    .vgpr_count:     16
    .vgpr_spill_count: 0
    .wavefront_size: 32
    .workgroup_processor_mode: 1
  - .args:
      - .offset:         0
        .size:           4
        .value_kind:     by_value
      - .offset:         4
        .size:           4
        .value_kind:     by_value
      - .offset:         8
        .size:           4
        .value_kind:     by_value
      - .address_space:  global
        .offset:         16
        .size:           8
        .value_kind:     global_buffer
      - .offset:         24
        .size:           4
        .value_kind:     by_value
      - .offset:         28
        .size:           4
        .value_kind:     by_value
      - .offset:         32
        .size:           8
        .value_kind:     by_value
      - .address_space:  global
        .offset:         40
        .size:           8
        .value_kind:     global_buffer
      - .offset:         48
        .size:           8
        .value_kind:     by_value
      - .address_space:  global
        .offset:         56
        .size:           8
        .value_kind:     global_buffer
      - .offset:         64
        .size:           4
        .value_kind:     by_value
      - .offset:         72
        .size:           8
        .value_kind:     by_value
      - .offset:         80
        .size:           4
        .value_kind:     hidden_block_count_x
      - .offset:         84
        .size:           4
        .value_kind:     hidden_block_count_y
      - .offset:         88
        .size:           4
        .value_kind:     hidden_block_count_z
      - .offset:         92
        .size:           2
        .value_kind:     hidden_group_size_x
      - .offset:         94
        .size:           2
        .value_kind:     hidden_group_size_y
      - .offset:         96
        .size:           2
        .value_kind:     hidden_group_size_z
      - .offset:         98
        .size:           2
        .value_kind:     hidden_remainder_x
      - .offset:         100
        .size:           2
        .value_kind:     hidden_remainder_y
      - .offset:         102
        .size:           2
        .value_kind:     hidden_remainder_z
      - .offset:         120
        .size:           8
        .value_kind:     hidden_global_offset_x
      - .offset:         128
        .size:           8
        .value_kind:     hidden_global_offset_y
      - .offset:         136
        .size:           8
        .value_kind:     hidden_global_offset_z
      - .offset:         144
        .size:           2
        .value_kind:     hidden_grid_dims
      - .offset:         200
        .size:           4
        .value_kind:     hidden_dynamic_lds_size
    .group_segment_fixed_size: 0
    .kernarg_segment_align: 8
    .kernarg_segment_size: 336
    .language:       OpenCL C
    .language_version:
      - 2
      - 0
    .max_flat_workgroup_size: 1024
    .name:           _ZN9rocsolver6v33100L21larft_kernel_backwardIfPfEEv15rocblas_storev_iiT0_iilPT_lS6_il
    .private_segment_fixed_size: 0
    .sgpr_count:     45
    .sgpr_spill_count: 0
    .symbol:         _ZN9rocsolver6v33100L21larft_kernel_backwardIfPfEEv15rocblas_storev_iiT0_iilPT_lS6_il.kd
    .uniform_work_group_size: 1
    .uses_dynamic_stack: false
    .vgpr_count:     13
    .vgpr_spill_count: 0
    .wavefront_size: 32
    .workgroup_processor_mode: 1
  - .args:
      - .offset:         0
        .size:           4
        .value_kind:     by_value
      - .offset:         4
        .size:           4
        .value_kind:     by_value
      - .address_space:  global
        .offset:         8
        .size:           8
        .value_kind:     global_buffer
      - .offset:         16
        .size:           4
        .value_kind:     by_value
      - .offset:         20
        .size:           4
        .value_kind:     by_value
      - .offset:         24
        .size:           8
        .value_kind:     by_value
      - .address_space:  global
        .offset:         32
        .size:           8
        .value_kind:     global_buffer
      - .offset:         40
        .size:           4
        .value_kind:     hidden_block_count_x
      - .offset:         44
        .size:           4
        .value_kind:     hidden_block_count_y
      - .offset:         48
        .size:           4
        .value_kind:     hidden_block_count_z
      - .offset:         52
        .size:           2
        .value_kind:     hidden_group_size_x
      - .offset:         54
        .size:           2
        .value_kind:     hidden_group_size_y
      - .offset:         56
        .size:           2
        .value_kind:     hidden_group_size_z
      - .offset:         58
        .size:           2
        .value_kind:     hidden_remainder_x
      - .offset:         60
        .size:           2
        .value_kind:     hidden_remainder_y
      - .offset:         62
        .size:           2
        .value_kind:     hidden_remainder_z
      - .offset:         80
        .size:           8
        .value_kind:     hidden_global_offset_x
      - .offset:         88
        .size:           8
        .value_kind:     hidden_global_offset_y
      - .offset:         96
        .size:           8
        .value_kind:     hidden_global_offset_z
      - .offset:         104
        .size:           2
        .value_kind:     hidden_grid_dims
    .group_segment_fixed_size: 0
    .kernarg_segment_align: 8
    .kernarg_segment_size: 296
    .language:       OpenCL C
    .language_version:
      - 2
      - 0
    .max_flat_workgroup_size: 1024
    .name:           _ZN9rocsolver6v33100L9copymatA1IfPfEEviiT0_iilPT_
    .private_segment_fixed_size: 0
    .sgpr_count:     18
    .sgpr_spill_count: 0
    .symbol:         _ZN9rocsolver6v33100L9copymatA1IfPfEEviiT0_iilPT_.kd
    .uniform_work_group_size: 1
    .uses_dynamic_stack: false
    .vgpr_count:     6
    .vgpr_spill_count: 0
    .wavefront_size: 32
    .workgroup_processor_mode: 1
  - .args:
      - .offset:         0
        .size:           4
        .value_kind:     by_value
      - .offset:         4
        .size:           4
        .value_kind:     by_value
      - .address_space:  global
        .offset:         8
        .size:           8
        .value_kind:     global_buffer
      - .offset:         16
        .size:           4
        .value_kind:     by_value
      - .offset:         20
        .size:           4
        .value_kind:     by_value
      - .offset:         24
        .size:           8
        .value_kind:     by_value
      - .address_space:  global
        .offset:         32
        .size:           8
        .value_kind:     global_buffer
      - .offset:         40
        .size:           4
        .value_kind:     hidden_block_count_x
      - .offset:         44
        .size:           4
        .value_kind:     hidden_block_count_y
      - .offset:         48
        .size:           4
        .value_kind:     hidden_block_count_z
      - .offset:         52
        .size:           2
        .value_kind:     hidden_group_size_x
      - .offset:         54
        .size:           2
        .value_kind:     hidden_group_size_y
      - .offset:         56
        .size:           2
        .value_kind:     hidden_group_size_z
      - .offset:         58
        .size:           2
        .value_kind:     hidden_remainder_x
      - .offset:         60
        .size:           2
        .value_kind:     hidden_remainder_y
      - .offset:         62
        .size:           2
        .value_kind:     hidden_remainder_z
      - .offset:         80
        .size:           8
        .value_kind:     hidden_global_offset_x
      - .offset:         88
        .size:           8
        .value_kind:     hidden_global_offset_y
      - .offset:         96
        .size:           8
        .value_kind:     hidden_global_offset_z
      - .offset:         104
        .size:           2
        .value_kind:     hidden_grid_dims
    .group_segment_fixed_size: 0
    .kernarg_segment_align: 8
    .kernarg_segment_size: 296
    .language:       OpenCL C
    .language_version:
      - 2
      - 0
    .max_flat_workgroup_size: 1024
    .name:           _ZN9rocsolver6v33100L8addmatA1IfPfEEviiT0_iilPT_
    .private_segment_fixed_size: 0
    .sgpr_count:     18
    .sgpr_spill_count: 0
    .symbol:         _ZN9rocsolver6v33100L8addmatA1IfPfEEviiT0_iilPT_.kd
    .uniform_work_group_size: 1
    .uses_dynamic_stack: false
    .vgpr_count:     6
    .vgpr_spill_count: 0
    .wavefront_size: 32
    .workgroup_processor_mode: 1
  - .args:
      - .offset:         0
        .size:           4
        .value_kind:     by_value
      - .offset:         4
        .size:           4
        .value_kind:     by_value
      - .address_space:  global
        .offset:         8
        .size:           8
        .value_kind:     global_buffer
      - .offset:         16
        .size:           4
        .value_kind:     by_value
      - .offset:         20
        .size:           4
        .value_kind:     by_value
      - .offset:         24
        .size:           8
        .value_kind:     by_value
      - .address_space:  global
        .offset:         32
        .size:           8
        .value_kind:     global_buffer
      - .offset:         40
        .size:           4
        .value_kind:     by_value
      - .offset:         44
        .size:           4
        .value_kind:     by_value
      - .offset:         48
        .size:           8
        .value_kind:     by_value
      - .offset:         56
        .size:           1
        .value_kind:     by_value
      - .offset:         60
        .size:           4
        .value_kind:     by_value
      - .offset:         64
        .size:           4
        .value_kind:     by_value
      - .offset:         72
        .size:           4
        .value_kind:     hidden_block_count_x
      - .offset:         76
        .size:           4
        .value_kind:     hidden_block_count_y
      - .offset:         80
        .size:           4
        .value_kind:     hidden_block_count_z
      - .offset:         84
        .size:           2
        .value_kind:     hidden_group_size_x
      - .offset:         86
        .size:           2
        .value_kind:     hidden_group_size_y
      - .offset:         88
        .size:           2
        .value_kind:     hidden_group_size_z
      - .offset:         90
        .size:           2
        .value_kind:     hidden_remainder_x
      - .offset:         92
        .size:           2
        .value_kind:     hidden_remainder_y
      - .offset:         94
        .size:           2
        .value_kind:     hidden_remainder_z
      - .offset:         112
        .size:           8
        .value_kind:     hidden_global_offset_x
      - .offset:         120
        .size:           8
        .value_kind:     hidden_global_offset_y
      - .offset:         128
        .size:           8
        .value_kind:     hidden_global_offset_z
      - .offset:         136
        .size:           2
        .value_kind:     hidden_grid_dims
    .group_segment_fixed_size: 0
    .kernarg_segment_align: 8
    .kernarg_segment_size: 328
    .language:       OpenCL C
    .language_version:
      - 2
      - 0
    .max_flat_workgroup_size: 1024
    .name:           _ZN9rocsolver6v33100L8copy_matIfPfS2_NS0_7no_maskEEEviiT0_iilT1_iilT2_13rocblas_fill_17rocblas_diagonal_
    .private_segment_fixed_size: 0
    .sgpr_count:     18
    .sgpr_spill_count: 0
    .symbol:         _ZN9rocsolver6v33100L8copy_matIfPfS2_NS0_7no_maskEEEviiT0_iilT1_iilT2_13rocblas_fill_17rocblas_diagonal_.kd
    .uniform_work_group_size: 1
    .uses_dynamic_stack: false
    .vgpr_count:     6
    .vgpr_spill_count: 0
    .wavefront_size: 32
    .workgroup_processor_mode: 1
  - .args:
      - .offset:         0
        .size:           4
        .value_kind:     by_value
      - .offset:         4
        .size:           4
        .value_kind:     by_value
      - .address_space:  global
        .offset:         8
        .size:           8
        .value_kind:     global_buffer
      - .offset:         16
        .size:           8
        .value_kind:     by_value
      - .offset:         24
        .size:           4
        .value_kind:     by_value
      - .offset:         32
        .size:           8
        .value_kind:     by_value
      - .address_space:  global
        .offset:         40
        .size:           8
        .value_kind:     global_buffer
      - .offset:         48
        .size:           8
        .value_kind:     by_value
      - .address_space:  global
        .offset:         56
        .size:           8
        .value_kind:     global_buffer
      - .offset:         64
        .size:           8
        .value_kind:     by_value
    .group_segment_fixed_size: 0
    .kernarg_segment_align: 8
    .kernarg_segment_size: 72
    .language:       OpenCL C
    .language_version:
      - 2
      - 0
    .max_flat_workgroup_size: 256
    .name:           _ZN9rocsolver6v33100L18geqr2_kernel_smallILi256EfifPfEEvT1_S3_T3_lS3_lPT2_lPT0_l
    .private_segment_fixed_size: 0
    .sgpr_count:     38
    .sgpr_spill_count: 0
    .symbol:         _ZN9rocsolver6v33100L18geqr2_kernel_smallILi256EfifPfEEvT1_S3_T3_lS3_lPT2_lPT0_l.kd
    .uniform_work_group_size: 1
    .uses_dynamic_stack: false
    .vgpr_count:     27
    .vgpr_spill_count: 0
    .wavefront_size: 32
    .workgroup_processor_mode: 1
  - .args:
      - .offset:         0
        .size:           4
        .value_kind:     by_value
      - .address_space:  global
        .offset:         8
        .size:           8
        .value_kind:     global_buffer
      - .offset:         16
        .size:           8
        .value_kind:     by_value
      - .address_space:  global
        .offset:         24
        .size:           8
        .value_kind:     global_buffer
      - .offset:         32
        .size:           4
        .value_kind:     by_value
      - .offset:         40
        .size:           8
        .value_kind:     by_value
      - .address_space:  global
        .offset:         48
        .size:           8
        .value_kind:     global_buffer
      - .offset:         56
        .size:           4
        .value_kind:     by_value
      - .offset:         64
        .size:           8
        .value_kind:     by_value
      - .offset:         72
        .size:           4
        .value_kind:     by_value
      - .offset:         80
        .size:           4
        .value_kind:     hidden_block_count_x
      - .offset:         84
        .size:           4
        .value_kind:     hidden_block_count_y
      - .offset:         88
        .size:           4
        .value_kind:     hidden_block_count_z
      - .offset:         92
        .size:           2
        .value_kind:     hidden_group_size_x
      - .offset:         94
        .size:           2
        .value_kind:     hidden_group_size_y
      - .offset:         96
        .size:           2
        .value_kind:     hidden_group_size_z
      - .offset:         98
        .size:           2
        .value_kind:     hidden_remainder_x
      - .offset:         100
        .size:           2
        .value_kind:     hidden_remainder_y
      - .offset:         102
        .size:           2
        .value_kind:     hidden_remainder_z
      - .offset:         120
        .size:           8
        .value_kind:     hidden_global_offset_x
      - .offset:         128
        .size:           8
        .value_kind:     hidden_global_offset_y
      - .offset:         136
        .size:           8
        .value_kind:     hidden_global_offset_z
      - .offset:         144
        .size:           2
        .value_kind:     hidden_grid_dims
    .group_segment_fixed_size: 0
    .kernarg_segment_align: 8
    .kernarg_segment_size: 336
    .language:       OpenCL C
    .language_version:
      - 2
      - 0
    .max_flat_workgroup_size: 1024
    .name:           _ZN9rocsolver6v33100L16gesdd_flip_signsIffEEviPT0_lPT_ilS5_ili
    .private_segment_fixed_size: 0
    .sgpr_count:     40
    .sgpr_spill_count: 0
    .symbol:         _ZN9rocsolver6v33100L16gesdd_flip_signsIffEEviPT0_lPT_ilS5_ili.kd
    .uniform_work_group_size: 1
    .uses_dynamic_stack: false
    .vgpr_count:     8
    .vgpr_spill_count: 0
    .wavefront_size: 32
    .workgroup_processor_mode: 1
  - .args:
      - .offset:         0
        .size:           4
        .value_kind:     by_value
      - .offset:         4
        .size:           4
        .value_kind:     by_value
      - .offset:         8
        .size:           4
        .value_kind:     by_value
      - .address_space:  global
        .offset:         16
        .size:           8
        .value_kind:     global_buffer
      - .offset:         24
        .size:           4
        .value_kind:     by_value
      - .offset:         28
        .size:           4
        .value_kind:     by_value
      - .offset:         32
        .size:           8
        .value_kind:     by_value
      - .offset:         40
        .size:           4
        .value_kind:     hidden_block_count_x
      - .offset:         44
        .size:           4
        .value_kind:     hidden_block_count_y
      - .offset:         48
        .size:           4
        .value_kind:     hidden_block_count_z
      - .offset:         52
        .size:           2
        .value_kind:     hidden_group_size_x
      - .offset:         54
        .size:           2
        .value_kind:     hidden_group_size_y
      - .offset:         56
        .size:           2
        .value_kind:     hidden_group_size_z
      - .offset:         58
        .size:           2
        .value_kind:     hidden_remainder_x
      - .offset:         60
        .size:           2
        .value_kind:     hidden_remainder_y
      - .offset:         62
        .size:           2
        .value_kind:     hidden_remainder_z
      - .offset:         80
        .size:           8
        .value_kind:     hidden_global_offset_x
      - .offset:         88
        .size:           8
        .value_kind:     hidden_global_offset_y
      - .offset:         96
        .size:           8
        .value_kind:     hidden_global_offset_z
      - .offset:         104
        .size:           2
        .value_kind:     hidden_grid_dims
    .group_segment_fixed_size: 0
    .kernarg_segment_align: 8
    .kernarg_segment_size: 296
    .language:       OpenCL C
    .language_version:
      - 2
      - 0
    .max_flat_workgroup_size: 1024
    .name:           _ZN9rocsolver6v33100L16org2r_init_identIfPfEEviiiT0_iil
    .private_segment_fixed_size: 0
    .sgpr_count:     18
    .sgpr_spill_count: 0
    .symbol:         _ZN9rocsolver6v33100L16org2r_init_identIfPfEEviiiT0_iil.kd
    .uniform_work_group_size: 1
    .uses_dynamic_stack: false
    .vgpr_count:     6
    .vgpr_spill_count: 0
    .wavefront_size: 32
    .workgroup_processor_mode: 1
  - .args:
      - .offset:         0
        .size:           4
        .value_kind:     by_value
      - .offset:         4
        .size:           4
        .value_kind:     by_value
      - .address_space:  global
        .offset:         8
        .size:           8
        .value_kind:     global_buffer
      - .offset:         16
        .size:           4
        .value_kind:     by_value
      - .offset:         20
        .size:           4
        .value_kind:     by_value
      - .offset:         24
        .size:           8
        .value_kind:     by_value
      - .address_space:  global
        .offset:         32
        .size:           8
        .value_kind:     global_buffer
      - .offset:         40
        .size:           8
        .value_kind:     by_value
    .group_segment_fixed_size: 0
    .kernarg_segment_align: 8
    .kernarg_segment_size: 48
    .language:       OpenCL C
    .language_version:
      - 2
      - 0
    .max_flat_workgroup_size: 1024
    .name:           _ZN9rocsolver6v33100L12subtract_tauIfPfEEviiT0_iilPT_l
    .private_segment_fixed_size: 0
    .sgpr_count:     16
    .sgpr_spill_count: 0
    .symbol:         _ZN9rocsolver6v33100L12subtract_tauIfPfEEviiT0_iilPT_l.kd
    .uniform_work_group_size: 1
    .uses_dynamic_stack: false
    .vgpr_count:     3
    .vgpr_spill_count: 0
    .wavefront_size: 32
    .workgroup_processor_mode: 1
  - .args:
      - .offset:         0
        .size:           4
        .value_kind:     by_value
      - .address_space:  global
        .offset:         8
        .size:           8
        .value_kind:     global_buffer
      - .offset:         16
        .size:           8
        .value_kind:     by_value
      - .offset:         24
        .size:           4
        .value_kind:     hidden_block_count_x
      - .offset:         28
        .size:           4
        .value_kind:     hidden_block_count_y
      - .offset:         32
        .size:           4
        .value_kind:     hidden_block_count_z
      - .offset:         36
        .size:           2
        .value_kind:     hidden_group_size_x
      - .offset:         38
        .size:           2
        .value_kind:     hidden_group_size_y
      - .offset:         40
        .size:           2
        .value_kind:     hidden_group_size_z
      - .offset:         42
        .size:           2
        .value_kind:     hidden_remainder_x
      - .offset:         44
        .size:           2
        .value_kind:     hidden_remainder_y
      - .offset:         46
        .size:           2
        .value_kind:     hidden_remainder_z
      - .offset:         64
        .size:           8
        .value_kind:     hidden_global_offset_x
      - .offset:         72
        .size:           8
        .value_kind:     hidden_global_offset_y
      - .offset:         80
        .size:           8
        .value_kind:     hidden_global_offset_z
      - .offset:         88
        .size:           2
        .value_kind:     hidden_grid_dims
    .group_segment_fixed_size: 0
    .kernarg_segment_align: 8
    .kernarg_segment_size: 280
    .language:       OpenCL C
    .language_version:
      - 2
      - 0
    .max_flat_workgroup_size: 1024
    .name:           _ZN9rocsolver6v33100L6restauIfEEviPT_l
    .private_segment_fixed_size: 0
    .sgpr_count:     18
    .sgpr_spill_count: 0
    .symbol:         _ZN9rocsolver6v33100L6restauIfEEviPT_l.kd
    .uniform_work_group_size: 1
    .uses_dynamic_stack: false
    .vgpr_count:     3
    .vgpr_spill_count: 0
    .wavefront_size: 32
    .workgroup_processor_mode: 1
  - .args:
      - .offset:         0
        .size:           4
        .value_kind:     by_value
      - .offset:         4
        .size:           4
        .value_kind:     by_value
      - .address_space:  global
        .offset:         8
        .size:           8
        .value_kind:     global_buffer
      - .offset:         16
        .size:           4
        .value_kind:     by_value
      - .offset:         20
        .size:           4
        .value_kind:     by_value
      - .offset:         24
        .size:           8
        .value_kind:     by_value
      - .offset:         32
        .size:           4
        .value_kind:     by_value
      - .offset:         40
        .size:           4
        .value_kind:     hidden_block_count_x
      - .offset:         44
        .size:           4
        .value_kind:     hidden_block_count_y
      - .offset:         48
        .size:           4
        .value_kind:     hidden_block_count_z
      - .offset:         52
        .size:           2
        .value_kind:     hidden_group_size_x
      - .offset:         54
        .size:           2
        .value_kind:     hidden_group_size_y
      - .offset:         56
        .size:           2
        .value_kind:     hidden_group_size_z
      - .offset:         58
        .size:           2
        .value_kind:     hidden_remainder_x
      - .offset:         60
        .size:           2
        .value_kind:     hidden_remainder_y
      - .offset:         62
        .size:           2
        .value_kind:     hidden_remainder_z
      - .offset:         80
        .size:           8
        .value_kind:     hidden_global_offset_x
      - .offset:         88
        .size:           8
        .value_kind:     hidden_global_offset_y
      - .offset:         96
        .size:           8
        .value_kind:     hidden_global_offset_z
      - .offset:         104
        .size:           2
        .value_kind:     hidden_grid_dims
    .group_segment_fixed_size: 0
    .kernarg_segment_align: 8
    .kernarg_segment_size: 296
    .language:       OpenCL C
    .language_version:
      - 2
      - 0
    .max_flat_workgroup_size: 1024
    .name:           _ZN9rocsolver6v33100L8set_zeroIfPfEEviiT0_iil13rocblas_fill_
    .private_segment_fixed_size: 0
    .sgpr_count:     18
    .sgpr_spill_count: 0
    .symbol:         _ZN9rocsolver6v33100L8set_zeroIfPfEEviiT0_iil13rocblas_fill_.kd
    .uniform_work_group_size: 1
    .uses_dynamic_stack: false
    .vgpr_count:     5
    .vgpr_spill_count: 0
    .wavefront_size: 32
    .workgroup_processor_mode: 1
  - .args:
      - .offset:         0
        .size:           4
        .value_kind:     by_value
      - .offset:         4
        .size:           4
        .value_kind:     by_value
      - .offset:         8
        .size:           4
        .value_kind:     by_value
      - .address_space:  global
        .offset:         16
        .size:           8
        .value_kind:     global_buffer
      - .offset:         24
        .size:           4
        .value_kind:     by_value
      - .offset:         28
        .size:           4
        .value_kind:     by_value
      - .offset:         32
        .size:           8
        .value_kind:     by_value
      - .address_space:  global
        .offset:         40
        .size:           8
        .value_kind:     global_buffer
      - .offset:         48
        .size:           4
        .value_kind:     by_value
      - .offset:         52
        .size:           4
        .value_kind:     by_value
      - .offset:         56
        .size:           8
        .value_kind:     by_value
      - .offset:         64
        .size:           1
        .value_kind:     by_value
      - .offset:         68
        .size:           4
        .value_kind:     by_value
      - .offset:         72
        .size:           4
        .value_kind:     by_value
      - .offset:         80
        .size:           4
        .value_kind:     hidden_block_count_x
      - .offset:         84
        .size:           4
        .value_kind:     hidden_block_count_y
      - .offset:         88
        .size:           4
        .value_kind:     hidden_block_count_z
      - .offset:         92
        .size:           2
        .value_kind:     hidden_group_size_x
      - .offset:         94
        .size:           2
        .value_kind:     hidden_group_size_y
      - .offset:         96
        .size:           2
        .value_kind:     hidden_group_size_z
      - .offset:         98
        .size:           2
        .value_kind:     hidden_remainder_x
      - .offset:         100
        .size:           2
        .value_kind:     hidden_remainder_y
      - .offset:         102
        .size:           2
        .value_kind:     hidden_remainder_z
      - .offset:         120
        .size:           8
        .value_kind:     hidden_global_offset_x
      - .offset:         128
        .size:           8
        .value_kind:     hidden_global_offset_y
      - .offset:         136
        .size:           8
        .value_kind:     hidden_global_offset_z
      - .offset:         144
        .size:           2
        .value_kind:     hidden_grid_dims
    .group_segment_fixed_size: 0
    .kernarg_segment_align: 8
    .kernarg_segment_size: 336
    .language:       OpenCL C
    .language_version:
      - 2
      - 0
    .max_flat_workgroup_size: 1024
    .name:           _ZN9rocsolver6v33100L14copy_trans_matIffPfS2_NS0_7no_maskEEEv18rocblas_operation_iiT1_iilT2_iilT3_13rocblas_fill_17rocblas_diagonal_
    .private_segment_fixed_size: 0
    .sgpr_count:     22
    .sgpr_spill_count: 0
    .symbol:         _ZN9rocsolver6v33100L14copy_trans_matIffPfS2_NS0_7no_maskEEEv18rocblas_operation_iiT1_iilT2_iilT3_13rocblas_fill_17rocblas_diagonal_.kd
    .uniform_work_group_size: 1
    .uses_dynamic_stack: false
    .vgpr_count:     5
    .vgpr_spill_count: 0
    .wavefront_size: 32
    .workgroup_processor_mode: 1
  - .args:
      - .offset:         0
        .size:           4
        .value_kind:     by_value
      - .offset:         4
        .size:           4
        .value_kind:     by_value
      - .offset:         8
        .size:           4
        .value_kind:     by_value
      - .address_space:  global
        .offset:         16
        .size:           8
        .value_kind:     global_buffer
      - .offset:         24
        .size:           4
        .value_kind:     by_value
      - .offset:         28
        .size:           4
        .value_kind:     by_value
      - .offset:         32
        .size:           8
        .value_kind:     by_value
      - .offset:         40
        .size:           4
        .value_kind:     hidden_block_count_x
      - .offset:         44
        .size:           4
        .value_kind:     hidden_block_count_y
      - .offset:         48
        .size:           4
        .value_kind:     hidden_block_count_z
      - .offset:         52
        .size:           2
        .value_kind:     hidden_group_size_x
      - .offset:         54
        .size:           2
        .value_kind:     hidden_group_size_y
      - .offset:         56
        .size:           2
        .value_kind:     hidden_group_size_z
      - .offset:         58
        .size:           2
        .value_kind:     hidden_remainder_x
      - .offset:         60
        .size:           2
        .value_kind:     hidden_remainder_y
      - .offset:         62
        .size:           2
        .value_kind:     hidden_remainder_z
      - .offset:         80
        .size:           8
        .value_kind:     hidden_global_offset_x
      - .offset:         88
        .size:           8
        .value_kind:     hidden_global_offset_y
      - .offset:         96
        .size:           8
        .value_kind:     hidden_global_offset_z
      - .offset:         104
        .size:           2
        .value_kind:     hidden_grid_dims
    .group_segment_fixed_size: 0
    .kernarg_segment_align: 8
    .kernarg_segment_size: 296
    .language:       OpenCL C
    .language_version:
      - 2
      - 0
    .max_flat_workgroup_size: 1024
    .name:           _ZN9rocsolver6v33100L16orgl2_init_identIfPfEEviiiT0_iil
    .private_segment_fixed_size: 0
    .sgpr_count:     18
    .sgpr_spill_count: 0
    .symbol:         _ZN9rocsolver6v33100L16orgl2_init_identIfPfEEviiiT0_iil.kd
    .uniform_work_group_size: 1
    .uses_dynamic_stack: false
    .vgpr_count:     6
    .vgpr_spill_count: 0
    .wavefront_size: 32
    .workgroup_processor_mode: 1
  - .args:
      - .address_space:  global
        .offset:         0
        .size:           8
        .value_kind:     global_buffer
      - .offset:         8
        .size:           4
        .value_kind:     by_value
      - .offset:         16
        .size:           8
        .value_kind:     by_value
    .group_segment_fixed_size: 0
    .kernarg_segment_align: 8
    .kernarg_segment_size: 24
    .language:       OpenCL C
    .language_version:
      - 2
      - 0
    .max_flat_workgroup_size: 32
    .name:           _ZN9rocsolver6v33100L6iota_nIdEEvPT_jS2_
    .private_segment_fixed_size: 0
    .sgpr_count:     6
    .sgpr_spill_count: 0
    .symbol:         _ZN9rocsolver6v33100L6iota_nIdEEvPT_jS2_.kd
    .uniform_work_group_size: 1
    .uses_dynamic_stack: false
    .vgpr_count:     3
    .vgpr_spill_count: 0
    .wavefront_size: 32
    .workgroup_processor_mode: 1
  - .args:
      - .offset:         0
        .size:           4
        .value_kind:     by_value
      - .address_space:  global
        .offset:         8
        .size:           8
        .value_kind:     global_buffer
      - .offset:         16
        .size:           8
        .value_kind:     by_value
      - .address_space:  global
        .offset:         24
        .size:           8
        .value_kind:     global_buffer
      - .offset:         32
        .size:           8
        .value_kind:     by_value
      - .offset:         40
        .size:           4
        .value_kind:     by_value
      - .offset:         48
        .size:           4
        .value_kind:     hidden_block_count_x
      - .offset:         52
        .size:           4
        .value_kind:     hidden_block_count_y
      - .offset:         56
        .size:           4
        .value_kind:     hidden_block_count_z
      - .offset:         60
        .size:           2
        .value_kind:     hidden_group_size_x
      - .offset:         62
        .size:           2
        .value_kind:     hidden_group_size_y
      - .offset:         64
        .size:           2
        .value_kind:     hidden_group_size_z
      - .offset:         66
        .size:           2
        .value_kind:     hidden_remainder_x
      - .offset:         68
        .size:           2
        .value_kind:     hidden_remainder_y
      - .offset:         70
        .size:           2
        .value_kind:     hidden_remainder_z
      - .offset:         88
        .size:           8
        .value_kind:     hidden_global_offset_x
      - .offset:         96
        .size:           8
        .value_kind:     hidden_global_offset_y
      - .offset:         104
        .size:           8
        .value_kind:     hidden_global_offset_z
      - .offset:         112
        .size:           2
        .value_kind:     hidden_grid_dims
    .group_segment_fixed_size: 0
    .kernarg_segment_align: 8
    .kernarg_segment_size: 304
    .language:       OpenCL C
    .language_version:
      - 2
      - 0
    .max_flat_workgroup_size: 1024
    .name:           _ZN9rocsolver6v33100L16syev_scalar_caseIdPdTnNSt9enable_ifIXnt18rocblas_is_complexIT_EEiE4typeELi0EEEv14rocblas_evect_T0_lPS4_li
    .private_segment_fixed_size: 0
    .sgpr_count:     18
    .sgpr_spill_count: 0
    .symbol:         _ZN9rocsolver6v33100L16syev_scalar_caseIdPdTnNSt9enable_ifIXnt18rocblas_is_complexIT_EEiE4typeELi0EEEv14rocblas_evect_T0_lPS4_li.kd
    .uniform_work_group_size: 1
    .uses_dynamic_stack: false
    .vgpr_count:     9
    .vgpr_spill_count: 0
    .wavefront_size: 32
    .workgroup_processor_mode: 1
  - .args:
      - .offset:         0
        .size:           4
        .value_kind:     by_value
      - .address_space:  global
        .offset:         8
        .size:           8
        .value_kind:     global_buffer
      - .offset:         16
        .size:           8
        .value_kind:     by_value
      - .offset:         24
        .size:           4
        .value_kind:     by_value
      - .offset:         32
        .size:           8
        .value_kind:     by_value
      - .address_space:  global
        .offset:         40
        .size:           8
        .value_kind:     global_buffer
      - .offset:         48
        .size:           8
        .value_kind:     by_value
      - .address_space:  global
        .offset:         56
        .size:           8
        .value_kind:     global_buffer
      - .offset:         64
        .size:           8
        .value_kind:     by_value
      - .address_space:  global
        .offset:         72
        .size:           8
        .value_kind:     global_buffer
      - .offset:         80
        .size:           8
        .value_kind:     by_value
    .group_segment_fixed_size: 0
    .kernarg_segment_align: 8
    .kernarg_segment_size: 88
    .language:       OpenCL C
    .language_version:
      - 2
      - 0
    .max_flat_workgroup_size: 256
    .name:           _ZN9rocsolver6v33100L24sytd2_lower_kernel_smallILi256EdidPdEEvT1_T3_lS3_lPT2_lS6_lPT0_l
    .private_segment_fixed_size: 0
    .sgpr_count:     40
    .sgpr_spill_count: 0
    .symbol:         _ZN9rocsolver6v33100L24sytd2_lower_kernel_smallILi256EdidPdEEvT1_T3_lS3_lPT2_lS6_lPT0_l.kd
    .uniform_work_group_size: 1
    .uses_dynamic_stack: false
    .vgpr_count:     38
    .vgpr_spill_count: 0
    .wavefront_size: 32
    .workgroup_processor_mode: 1
  - .args:
      - .address_space:  global
        .offset:         0
        .size:           8
        .value_kind:     global_buffer
      - .offset:         8
        .size:           8
        .value_kind:     by_value
      - .offset:         16
        .size:           4
        .value_kind:     by_value
      - .offset:         20
        .size:           4
        .value_kind:     by_value
      - .offset:         24
        .size:           4
        .value_kind:     hidden_block_count_x
      - .offset:         28
        .size:           4
        .value_kind:     hidden_block_count_y
      - .offset:         32
        .size:           4
        .value_kind:     hidden_block_count_z
      - .offset:         36
        .size:           2
        .value_kind:     hidden_group_size_x
      - .offset:         38
        .size:           2
        .value_kind:     hidden_group_size_y
      - .offset:         40
        .size:           2
        .value_kind:     hidden_group_size_z
      - .offset:         42
        .size:           2
        .value_kind:     hidden_remainder_x
      - .offset:         44
        .size:           2
        .value_kind:     hidden_remainder_y
      - .offset:         46
        .size:           2
        .value_kind:     hidden_remainder_z
      - .offset:         64
        .size:           8
        .value_kind:     hidden_global_offset_x
      - .offset:         72
        .size:           8
        .value_kind:     hidden_global_offset_y
      - .offset:         80
        .size:           8
        .value_kind:     hidden_global_offset_z
      - .offset:         88
        .size:           2
        .value_kind:     hidden_grid_dims
    .group_segment_fixed_size: 0
    .kernarg_segment_align: 8
    .kernarg_segment_size: 280
    .language:       OpenCL C
    .language_version:
      - 2
      - 0
    .max_flat_workgroup_size: 1024
    .name:           _ZN9rocsolver6v33100L16reset_batch_infoIdiiPdEEvT2_lT0_T1_
    .private_segment_fixed_size: 0
    .sgpr_count:     18
    .sgpr_spill_count: 0
    .symbol:         _ZN9rocsolver6v33100L16reset_batch_infoIdiiPdEEvT2_lT0_T1_.kd
    .uniform_work_group_size: 1
    .uses_dynamic_stack: false
    .vgpr_count:     5
    .vgpr_spill_count: 0
    .wavefront_size: 32
    .workgroup_processor_mode: 1
  - .args:
      - .address_space:  global
        .offset:         0
        .size:           8
        .value_kind:     global_buffer
      - .offset:         8
        .size:           8
        .value_kind:     by_value
      - .offset:         16
        .size:           8
        .value_kind:     by_value
      - .address_space:  global
        .offset:         24
        .size:           8
        .value_kind:     global_buffer
      - .offset:         32
        .size:           8
        .value_kind:     by_value
      - .offset:         40
        .size:           4
        .value_kind:     by_value
      - .offset:         48
        .size:           8
        .value_kind:     by_value
      - .offset:         56
        .size:           4
        .value_kind:     by_value
      - .offset:         60
        .size:           1
        .value_kind:     by_value
      - .offset:         64
        .size:           4
        .value_kind:     hidden_block_count_x
      - .offset:         68
        .size:           4
        .value_kind:     hidden_block_count_y
      - .offset:         72
        .size:           4
        .value_kind:     hidden_block_count_z
      - .offset:         76
        .size:           2
        .value_kind:     hidden_group_size_x
      - .offset:         78
        .size:           2
        .value_kind:     hidden_group_size_y
      - .offset:         80
        .size:           2
        .value_kind:     hidden_group_size_z
      - .offset:         82
        .size:           2
        .value_kind:     hidden_remainder_x
      - .offset:         84
        .size:           2
        .value_kind:     hidden_remainder_y
      - .offset:         86
        .size:           2
        .value_kind:     hidden_remainder_z
      - .offset:         104
        .size:           8
        .value_kind:     hidden_global_offset_x
      - .offset:         112
        .size:           8
        .value_kind:     hidden_global_offset_y
      - .offset:         120
        .size:           8
        .value_kind:     hidden_global_offset_z
      - .offset:         128
        .size:           2
        .value_kind:     hidden_grid_dims
    .group_segment_fixed_size: 0
    .kernarg_segment_align: 8
    .kernarg_segment_size: 320
    .language:       OpenCL C
    .language_version:
      - 2
      - 0
    .max_flat_workgroup_size: 1024
    .name:           _ZN9rocsolver6v33100L8set_diagIdidPdTnNSt9enable_ifIXoont18rocblas_is_complexIT_E18rocblas_is_complexIT1_EEiE4typeELi0EEEvPS5_llT2_lT0_lSA_b
    .private_segment_fixed_size: 0
    .sgpr_count:     19
    .sgpr_spill_count: 0
    .symbol:         _ZN9rocsolver6v33100L8set_diagIdidPdTnNSt9enable_ifIXoont18rocblas_is_complexIT_E18rocblas_is_complexIT1_EEiE4typeELi0EEEvPS5_llT2_lT0_lSA_b.kd
    .uniform_work_group_size: 1
    .uses_dynamic_stack: false
    .vgpr_count:     9
    .vgpr_spill_count: 0
    .wavefront_size: 32
    .workgroup_processor_mode: 1
  - .args:
      - .address_space:  global
        .offset:         0
        .size:           8
        .value_kind:     global_buffer
      - .offset:         8
        .size:           8
        .value_kind:     by_value
      - .address_space:  global
        .offset:         16
        .size:           8
        .value_kind:     global_buffer
      - .address_space:  global
        .offset:         24
        .size:           8
        .value_kind:     global_buffer
      - .offset:         32
        .size:           8
        .value_kind:     by_value
      - .offset:         40
        .size:           8
        .value_kind:     by_value
      - .address_space:  global
        .offset:         48
        .size:           8
        .value_kind:     global_buffer
      - .offset:         56
        .size:           8
        .value_kind:     by_value
      - .offset:         64
        .size:           8
        .value_kind:     by_value
    .group_segment_fixed_size: 0
    .kernarg_segment_align: 8
    .kernarg_segment_size: 72
    .language:       OpenCL C
    .language_version:
      - 2
      - 0
    .max_flat_workgroup_size: 1024
    .name:           _ZN9rocsolver6v33100L11set_taubetaIdidPdEEvPT_lS4_T2_llPT1_ll
    .private_segment_fixed_size: 0
    .sgpr_count:     24
    .sgpr_spill_count: 0
    .symbol:         _ZN9rocsolver6v33100L11set_taubetaIdidPdEEvPT_lS4_T2_llPT1_ll.kd
    .uniform_work_group_size: 1
    .uses_dynamic_stack: false
    .vgpr_count:     13
    .vgpr_spill_count: 0
    .wavefront_size: 32
    .workgroup_processor_mode: 1
  - .args:
      - .offset:         0
        .size:           4
        .value_kind:     by_value
      - .address_space:  global
        .offset:         8
        .size:           8
        .value_kind:     global_buffer
      - .offset:         16
        .size:           8
        .value_kind:     by_value
      - .offset:         24
        .size:           8
        .value_kind:     by_value
      - .address_space:  global
        .offset:         32
        .size:           8
        .value_kind:     global_buffer
      - .offset:         40
        .size:           8
        .value_kind:     by_value
      - .offset:         48
        .size:           8
        .value_kind:     by_value
      - .address_space:  global
        .offset:         56
        .size:           8
        .value_kind:     global_buffer
      - .offset:         64
        .size:           8
        .value_kind:     by_value
    .group_segment_fixed_size: 1040
    .kernarg_segment_align: 8
    .kernarg_segment_size: 72
    .language:       OpenCL C
    .language_version:
      - 2
      - 0
    .max_flat_workgroup_size: 64
    .name:           _ZN9rocsolver6v33100L20latrd_dot_scale_axpyILi64EdiPdEEvT1_T2_llPT0_llS6_l
    .private_segment_fixed_size: 0
    .sgpr_count:     34
    .sgpr_spill_count: 0
    .symbol:         _ZN9rocsolver6v33100L20latrd_dot_scale_axpyILi64EdiPdEEvT1_T2_llPT0_llS6_l.kd
    .uniform_work_group_size: 1
    .uses_dynamic_stack: false
    .vgpr_count:     14
    .vgpr_spill_count: 0
    .wavefront_size: 32
    .workgroup_processor_mode: 1
  - .args:
      - .offset:         0
        .size:           4
        .value_kind:     by_value
      - .address_space:  global
        .offset:         8
        .size:           8
        .value_kind:     global_buffer
      - .address_space:  global
        .offset:         16
        .size:           8
        .value_kind:     global_buffer
      - .offset:         24
        .size:           8
        .value_kind:     by_value
      - .offset:         32
        .size:           4
        .value_kind:     hidden_block_count_x
      - .offset:         36
        .size:           4
        .value_kind:     hidden_block_count_y
      - .offset:         40
        .size:           4
        .value_kind:     hidden_block_count_z
      - .offset:         44
        .size:           2
        .value_kind:     hidden_group_size_x
      - .offset:         46
        .size:           2
        .value_kind:     hidden_group_size_y
      - .offset:         48
        .size:           2
        .value_kind:     hidden_group_size_z
      - .offset:         50
        .size:           2
        .value_kind:     hidden_remainder_x
      - .offset:         52
        .size:           2
        .value_kind:     hidden_remainder_y
      - .offset:         54
        .size:           2
        .value_kind:     hidden_remainder_z
      - .offset:         72
        .size:           8
        .value_kind:     hidden_global_offset_x
      - .offset:         80
        .size:           8
        .value_kind:     hidden_global_offset_y
      - .offset:         88
        .size:           8
        .value_kind:     hidden_global_offset_z
      - .offset:         96
        .size:           2
        .value_kind:     hidden_grid_dims
    .group_segment_fixed_size: 0
    .kernarg_segment_align: 8
    .kernarg_segment_size: 288
    .language:       OpenCL C
    .language_version:
      - 2
      - 0
    .max_flat_workgroup_size: 1024
    .name:           _ZN9rocsolver6v33100L7set_tauIdEEviPT_S3_l
    .private_segment_fixed_size: 0
    .sgpr_count:     18
    .sgpr_spill_count: 0
    .symbol:         _ZN9rocsolver6v33100L7set_tauIdEEviPT_S3_l.kd
    .uniform_work_group_size: 1
    .uses_dynamic_stack: false
    .vgpr_count:     7
    .vgpr_spill_count: 0
    .wavefront_size: 32
    .workgroup_processor_mode: 1
  - .args:
      - .offset:         0
        .size:           4
        .value_kind:     by_value
      - .address_space:  global
        .offset:         8
        .size:           8
        .value_kind:     global_buffer
      - .offset:         16
        .size:           8
        .value_kind:     by_value
      - .offset:         24
        .size:           4
        .value_kind:     by_value
      - .offset:         32
        .size:           8
        .value_kind:     by_value
      - .address_space:  global
        .offset:         40
        .size:           8
        .value_kind:     global_buffer
      - .offset:         48
        .size:           8
        .value_kind:     by_value
      - .address_space:  global
        .offset:         56
        .size:           8
        .value_kind:     global_buffer
      - .offset:         64
        .size:           8
        .value_kind:     by_value
      - .address_space:  global
        .offset:         72
        .size:           8
        .value_kind:     global_buffer
      - .offset:         80
        .size:           8
        .value_kind:     by_value
    .group_segment_fixed_size: 0
    .kernarg_segment_align: 8
    .kernarg_segment_size: 88
    .language:       OpenCL C
    .language_version:
      - 2
      - 0
    .max_flat_workgroup_size: 256
    .name:           _ZN9rocsolver6v33100L24sytd2_upper_kernel_smallILi256EdidPdEEvT1_T3_lS3_lPT2_lS6_lPT0_l
    .private_segment_fixed_size: 0
    .sgpr_count:     38
    .sgpr_spill_count: 0
    .symbol:         _ZN9rocsolver6v33100L24sytd2_upper_kernel_smallILi256EdidPdEEvT1_T3_lS3_lPT2_lS6_lPT0_l.kd
    .uniform_work_group_size: 1
    .uses_dynamic_stack: false
    .vgpr_count:     37
    .vgpr_spill_count: 0
    .wavefront_size: 32
    .workgroup_processor_mode: 1
  - .args:
      - .offset:         0
        .size:           4
        .value_kind:     by_value
      - .offset:         4
        .size:           4
        .value_kind:     by_value
      - .offset:         8
        .size:           4
        .value_kind:     by_value
      - .address_space:  global
        .offset:         16
        .size:           8
        .value_kind:     global_buffer
      - .offset:         24
        .size:           4
        .value_kind:     by_value
      - .offset:         28
        .size:           4
        .value_kind:     by_value
      - .offset:         32
        .size:           8
        .value_kind:     by_value
      - .address_space:  global
        .offset:         40
        .size:           8
        .value_kind:     global_buffer
      - .offset:         48
        .size:           1
        .value_kind:     by_value
      - .offset:         52
        .size:           4
        .value_kind:     by_value
      - .offset:         56
        .size:           4
        .value_kind:     by_value
      - .offset:         64
        .size:           4
        .value_kind:     hidden_block_count_x
      - .offset:         68
        .size:           4
        .value_kind:     hidden_block_count_y
      - .offset:         72
        .size:           4
        .value_kind:     hidden_block_count_z
      - .offset:         76
        .size:           2
        .value_kind:     hidden_group_size_x
      - .offset:         78
        .size:           2
        .value_kind:     hidden_group_size_y
      - .offset:         80
        .size:           2
        .value_kind:     hidden_group_size_z
      - .offset:         82
        .size:           2
        .value_kind:     hidden_remainder_x
      - .offset:         84
        .size:           2
        .value_kind:     hidden_remainder_y
      - .offset:         86
        .size:           2
        .value_kind:     hidden_remainder_z
      - .offset:         104
        .size:           8
        .value_kind:     hidden_global_offset_x
      - .offset:         112
        .size:           8
        .value_kind:     hidden_global_offset_y
      - .offset:         120
        .size:           8
        .value_kind:     hidden_global_offset_z
      - .offset:         128
        .size:           2
        .value_kind:     hidden_grid_dims
    .group_segment_fixed_size: 0
    .kernarg_segment_align: 8
    .kernarg_segment_size: 320
    .language:       OpenCL C
    .language_version:
      - 2
      - 0
    .max_flat_workgroup_size: 1024
    .name:           _ZN9rocsolver6v33100L8copy_matIdPdNS0_7no_maskEEEvNS0_17copymat_directionEiiT0_iilPT_T1_13rocblas_fill_17rocblas_diagonal_
    .private_segment_fixed_size: 0
    .sgpr_count:     20
    .sgpr_spill_count: 0
    .symbol:         _ZN9rocsolver6v33100L8copy_matIdPdNS0_7no_maskEEEvNS0_17copymat_directionEiiT0_iilPT_T1_13rocblas_fill_17rocblas_diagonal_.kd
    .uniform_work_group_size: 1
    .uses_dynamic_stack: false
    .vgpr_count:     8
    .vgpr_spill_count: 0
    .wavefront_size: 32
    .workgroup_processor_mode: 1
  - .args:
      - .offset:         0
        .size:           4
        .value_kind:     by_value
      - .offset:         4
        .size:           4
        .value_kind:     by_value
      - .address_space:  global
        .offset:         8
        .size:           8
        .value_kind:     global_buffer
      - .offset:         16
        .size:           4
        .value_kind:     by_value
      - .offset:         20
        .size:           4
        .value_kind:     by_value
      - .offset:         24
        .size:           8
        .value_kind:     by_value
      - .address_space:  global
        .offset:         32
        .size:           8
        .value_kind:     global_buffer
      - .offset:         40
        .size:           4
        .value_kind:     by_value
      - .offset:         44
        .size:           4
        .value_kind:     by_value
      - .offset:         48
        .size:           8
        .value_kind:     by_value
      - .offset:         56
        .size:           4
        .value_kind:     hidden_block_count_x
      - .offset:         60
        .size:           4
        .value_kind:     hidden_block_count_y
      - .offset:         64
        .size:           4
        .value_kind:     hidden_block_count_z
      - .offset:         68
        .size:           2
        .value_kind:     hidden_group_size_x
      - .offset:         70
        .size:           2
        .value_kind:     hidden_group_size_y
      - .offset:         72
        .size:           2
        .value_kind:     hidden_group_size_z
      - .offset:         74
        .size:           2
        .value_kind:     hidden_remainder_x
      - .offset:         76
        .size:           2
        .value_kind:     hidden_remainder_y
      - .offset:         78
        .size:           2
        .value_kind:     hidden_remainder_z
      - .offset:         96
        .size:           8
        .value_kind:     hidden_global_offset_x
      - .offset:         104
        .size:           8
        .value_kind:     hidden_global_offset_y
      - .offset:         112
        .size:           8
        .value_kind:     hidden_global_offset_z
      - .offset:         120
        .size:           2
        .value_kind:     hidden_grid_dims
      - .offset:         176
        .size:           4
        .value_kind:     hidden_dynamic_lds_size
    .group_segment_fixed_size: 0
    .kernarg_segment_align: 8
    .kernarg_segment_size: 312
    .language:       OpenCL C
    .language_version:
      - 2
      - 0
    .max_flat_workgroup_size: 1024
    .name:           _ZN9rocsolver6v33100L26latrd_lower_updateA_kernelIdPdEEviiT0_iilPT_iil
    .private_segment_fixed_size: 0
    .sgpr_count:     30
    .sgpr_spill_count: 0
    .symbol:         _ZN9rocsolver6v33100L26latrd_lower_updateA_kernelIdPdEEviiT0_iilPT_iil.kd
    .uniform_work_group_size: 1
    .uses_dynamic_stack: false
    .vgpr_count:     24
    .vgpr_spill_count: 0
    .wavefront_size: 32
    .workgroup_processor_mode: 1
  - .args:
      - .offset:         0
        .size:           4
        .value_kind:     by_value
      - .offset:         4
        .size:           4
        .value_kind:     by_value
      - .address_space:  global
        .offset:         8
        .size:           8
        .value_kind:     global_buffer
      - .offset:         16
        .size:           4
        .value_kind:     by_value
      - .offset:         20
        .size:           4
        .value_kind:     by_value
      - .offset:         24
        .size:           8
        .value_kind:     by_value
      - .address_space:  global
        .offset:         32
        .size:           8
        .value_kind:     global_buffer
      - .offset:         40
        .size:           4
        .value_kind:     by_value
      - .offset:         44
        .size:           4
        .value_kind:     by_value
      - .offset:         48
        .size:           8
        .value_kind:     by_value
      - .address_space:  global
        .offset:         56
        .size:           8
        .value_kind:     global_buffer
      - .offset:         64
        .size:           4
        .value_kind:     by_value
      - .offset:         68
        .size:           4
        .value_kind:     by_value
      - .offset:         72
        .size:           8
        .value_kind:     by_value
      - .address_space:  global
        .offset:         80
        .size:           8
        .value_kind:     global_buffer
      - .offset:         88
        .size:           8
        .value_kind:     by_value
    .group_segment_fixed_size: 2048
    .kernarg_segment_align: 8
    .kernarg_segment_size: 96
    .language:       OpenCL C
    .language_version:
      - 2
      - 0
    .max_flat_workgroup_size: 1024
    .name:           _ZN9rocsolver6v33100L33latrd_lower_computeW_gemvt_kernelILi256EdPdEEviiT1_iilPT0_iilS5_iilS5_l
    .private_segment_fixed_size: 0
    .sgpr_count:     34
    .sgpr_spill_count: 0
    .symbol:         _ZN9rocsolver6v33100L33latrd_lower_computeW_gemvt_kernelILi256EdPdEEviiT1_iilPT0_iilS5_iilS5_l.kd
    .uniform_work_group_size: 1
    .uses_dynamic_stack: false
    .vgpr_count:     14
    .vgpr_spill_count: 0
    .wavefront_size: 32
    .workgroup_processor_mode: 1
  - .args:
      - .offset:         0
        .size:           4
        .value_kind:     by_value
      - .offset:         4
        .size:           4
        .value_kind:     by_value
      - .address_space:  global
        .offset:         8
        .size:           8
        .value_kind:     global_buffer
      - .offset:         16
        .size:           4
        .value_kind:     by_value
      - .offset:         20
        .size:           4
        .value_kind:     by_value
      - .offset:         24
        .size:           8
        .value_kind:     by_value
      - .address_space:  global
        .offset:         32
        .size:           8
        .value_kind:     global_buffer
      - .offset:         40
        .size:           4
        .value_kind:     by_value
      - .offset:         44
        .size:           4
        .value_kind:     by_value
      - .offset:         48
        .size:           8
        .value_kind:     by_value
      - .address_space:  global
        .offset:         56
        .size:           8
        .value_kind:     global_buffer
      - .offset:         64
        .size:           8
        .value_kind:     by_value
      - .address_space:  global
        .offset:         72
        .size:           8
        .value_kind:     global_buffer
      - .offset:         80
        .size:           8
        .value_kind:     by_value
      - .offset:         88
        .size:           4
        .value_kind:     hidden_block_count_x
      - .offset:         92
        .size:           4
        .value_kind:     hidden_block_count_y
      - .offset:         96
        .size:           4
        .value_kind:     hidden_block_count_z
      - .offset:         100
        .size:           2
        .value_kind:     hidden_group_size_x
      - .offset:         102
        .size:           2
        .value_kind:     hidden_group_size_y
      - .offset:         104
        .size:           2
        .value_kind:     hidden_group_size_z
      - .offset:         106
        .size:           2
        .value_kind:     hidden_remainder_x
      - .offset:         108
        .size:           2
        .value_kind:     hidden_remainder_y
      - .offset:         110
        .size:           2
        .value_kind:     hidden_remainder_z
      - .offset:         128
        .size:           8
        .value_kind:     hidden_global_offset_x
      - .offset:         136
        .size:           8
        .value_kind:     hidden_global_offset_y
      - .offset:         144
        .size:           8
        .value_kind:     hidden_global_offset_z
      - .offset:         152
        .size:           2
        .value_kind:     hidden_grid_dims
      - .offset:         208
        .size:           4
        .value_kind:     hidden_dynamic_lds_size
    .group_segment_fixed_size: 0
    .kernarg_segment_align: 8
    .kernarg_segment_size: 344
    .language:       OpenCL C
    .language_version:
      - 2
      - 0
    .max_flat_workgroup_size: 1024
    .name:           _ZN9rocsolver6v33100L26latrd_lower_updateW_kernelIdPdEEviiT0_iilPT_iilS5_lS5_l
    .private_segment_fixed_size: 0
    .sgpr_count:     40
    .sgpr_spill_count: 0
    .symbol:         _ZN9rocsolver6v33100L26latrd_lower_updateW_kernelIdPdEEviiT0_iilPT_iilS5_lS5_l.kd
    .uniform_work_group_size: 1
    .uses_dynamic_stack: false
    .vgpr_count:     26
    .vgpr_spill_count: 0
    .wavefront_size: 32
    .workgroup_processor_mode: 1
  - .args:
      - .offset:         0
        .size:           4
        .value_kind:     by_value
      - .address_space:  global
        .offset:         8
        .size:           8
        .value_kind:     global_buffer
      - .offset:         16
        .size:           8
        .value_kind:     by_value
      - .offset:         24
        .size:           8
        .value_kind:     by_value
      - .address_space:  global
        .offset:         32
        .size:           8
        .value_kind:     global_buffer
      - .offset:         40
        .size:           8
        .value_kind:     by_value
      - .offset:         48
        .size:           8
        .value_kind:     by_value
      - .address_space:  global
        .offset:         56
        .size:           8
        .value_kind:     global_buffer
      - .offset:         64
        .size:           8
        .value_kind:     by_value
    .group_segment_fixed_size: 16640
    .kernarg_segment_align: 8
    .kernarg_segment_size: 72
    .language:       OpenCL C
    .language_version:
      - 2
      - 0
    .max_flat_workgroup_size: 1024
    .name:           _ZN9rocsolver6v33100L20latrd_dot_scale_axpyILi1024EdiPdEEvT1_T2_llPT0_llS6_l
    .private_segment_fixed_size: 0
    .sgpr_count:     36
    .sgpr_spill_count: 0
    .symbol:         _ZN9rocsolver6v33100L20latrd_dot_scale_axpyILi1024EdiPdEEvT1_T2_llPT0_llS6_l.kd
    .uniform_work_group_size: 1
    .uses_dynamic_stack: false
    .vgpr_count:     14
    .vgpr_spill_count: 0
    .wavefront_size: 32
    .workgroup_processor_mode: 1
  - .args:
      - .offset:         0
        .size:           4
        .value_kind:     by_value
      - .offset:         4
        .size:           4
        .value_kind:     by_value
      - .offset:         8
        .size:           4
        .value_kind:     by_value
      - .address_space:  global
        .offset:         16
        .size:           8
        .value_kind:     global_buffer
      - .offset:         24
        .size:           4
        .value_kind:     by_value
      - .offset:         28
        .size:           4
        .value_kind:     by_value
      - .offset:         32
        .size:           8
        .value_kind:     by_value
      - .address_space:  global
        .offset:         40
        .size:           8
        .value_kind:     global_buffer
      - .offset:         48
        .size:           4
        .value_kind:     by_value
      - .offset:         52
        .size:           4
        .value_kind:     by_value
      - .offset:         56
        .size:           8
        .value_kind:     by_value
      - .offset:         64
        .size:           4
        .value_kind:     hidden_block_count_x
      - .offset:         68
        .size:           4
        .value_kind:     hidden_block_count_y
      - .offset:         72
        .size:           4
        .value_kind:     hidden_block_count_z
      - .offset:         76
        .size:           2
        .value_kind:     hidden_group_size_x
      - .offset:         78
        .size:           2
        .value_kind:     hidden_group_size_y
      - .offset:         80
        .size:           2
        .value_kind:     hidden_group_size_z
      - .offset:         82
        .size:           2
        .value_kind:     hidden_remainder_x
      - .offset:         84
        .size:           2
        .value_kind:     hidden_remainder_y
      - .offset:         86
        .size:           2
        .value_kind:     hidden_remainder_z
      - .offset:         104
        .size:           8
        .value_kind:     hidden_global_offset_x
      - .offset:         112
        .size:           8
        .value_kind:     hidden_global_offset_y
      - .offset:         120
        .size:           8
        .value_kind:     hidden_global_offset_z
      - .offset:         128
        .size:           2
        .value_kind:     hidden_grid_dims
      - .offset:         184
        .size:           4
        .value_kind:     hidden_dynamic_lds_size
    .group_segment_fixed_size: 0
    .kernarg_segment_align: 8
    .kernarg_segment_size: 320
    .language:       OpenCL C
    .language_version:
      - 2
      - 0
    .max_flat_workgroup_size: 1024
    .name:           _ZN9rocsolver6v33100L26latrd_upper_updateA_kernelIdPdEEviiiT0_iilPT_iil
    .private_segment_fixed_size: 0
    .sgpr_count:     34
    .sgpr_spill_count: 0
    .symbol:         _ZN9rocsolver6v33100L26latrd_upper_updateA_kernelIdPdEEviiiT0_iilPT_iil.kd
    .uniform_work_group_size: 1
    .uses_dynamic_stack: false
    .vgpr_count:     24
    .vgpr_spill_count: 0
    .wavefront_size: 32
    .workgroup_processor_mode: 1
  - .args:
      - .offset:         0
        .size:           4
        .value_kind:     by_value
      - .offset:         4
        .size:           4
        .value_kind:     by_value
      - .offset:         8
        .size:           4
        .value_kind:     by_value
      - .address_space:  global
        .offset:         16
        .size:           8
        .value_kind:     global_buffer
      - .offset:         24
        .size:           4
        .value_kind:     by_value
      - .offset:         28
        .size:           4
        .value_kind:     by_value
      - .offset:         32
        .size:           8
        .value_kind:     by_value
      - .address_space:  global
        .offset:         40
        .size:           8
        .value_kind:     global_buffer
      - .offset:         48
        .size:           4
        .value_kind:     by_value
      - .offset:         52
        .size:           4
        .value_kind:     by_value
      - .offset:         56
        .size:           8
        .value_kind:     by_value
      - .address_space:  global
        .offset:         64
        .size:           8
        .value_kind:     global_buffer
      - .offset:         72
        .size:           4
        .value_kind:     by_value
      - .offset:         76
        .size:           4
        .value_kind:     by_value
      - .offset:         80
        .size:           8
        .value_kind:     by_value
      - .address_space:  global
        .offset:         88
        .size:           8
        .value_kind:     global_buffer
      - .offset:         96
        .size:           8
        .value_kind:     by_value
    .group_segment_fixed_size: 2048
    .kernarg_segment_align: 8
    .kernarg_segment_size: 104
    .language:       OpenCL C
    .language_version:
      - 2
      - 0
    .max_flat_workgroup_size: 1024
    .name:           _ZN9rocsolver6v33100L33latrd_upper_computeW_gemvt_kernelILi256EdPdEEviiiT1_iilPT0_iilS5_iilS5_l
    .private_segment_fixed_size: 0
    .sgpr_count:     34
    .sgpr_spill_count: 0
    .symbol:         _ZN9rocsolver6v33100L33latrd_upper_computeW_gemvt_kernelILi256EdPdEEviiiT1_iilPT0_iilS5_iilS5_l.kd
    .uniform_work_group_size: 1
    .uses_dynamic_stack: false
    .vgpr_count:     14
    .vgpr_spill_count: 0
    .wavefront_size: 32
    .workgroup_processor_mode: 1
  - .args:
      - .offset:         0
        .size:           4
        .value_kind:     by_value
      - .offset:         4
        .size:           4
        .value_kind:     by_value
      - .offset:         8
        .size:           4
        .value_kind:     by_value
      - .address_space:  global
        .offset:         16
        .size:           8
        .value_kind:     global_buffer
      - .offset:         24
        .size:           4
        .value_kind:     by_value
      - .offset:         28
        .size:           4
        .value_kind:     by_value
      - .offset:         32
        .size:           8
        .value_kind:     by_value
      - .address_space:  global
        .offset:         40
        .size:           8
        .value_kind:     global_buffer
      - .offset:         48
        .size:           4
        .value_kind:     by_value
      - .offset:         52
        .size:           4
        .value_kind:     by_value
      - .offset:         56
        .size:           8
        .value_kind:     by_value
      - .address_space:  global
        .offset:         64
        .size:           8
        .value_kind:     global_buffer
      - .offset:         72
        .size:           8
        .value_kind:     by_value
      - .address_space:  global
        .offset:         80
        .size:           8
        .value_kind:     global_buffer
      - .offset:         88
        .size:           8
        .value_kind:     by_value
      - .offset:         96
        .size:           4
        .value_kind:     hidden_block_count_x
      - .offset:         100
        .size:           4
        .value_kind:     hidden_block_count_y
      - .offset:         104
        .size:           4
        .value_kind:     hidden_block_count_z
      - .offset:         108
        .size:           2
        .value_kind:     hidden_group_size_x
      - .offset:         110
        .size:           2
        .value_kind:     hidden_group_size_y
      - .offset:         112
        .size:           2
        .value_kind:     hidden_group_size_z
      - .offset:         114
        .size:           2
        .value_kind:     hidden_remainder_x
      - .offset:         116
        .size:           2
        .value_kind:     hidden_remainder_y
      - .offset:         118
        .size:           2
        .value_kind:     hidden_remainder_z
      - .offset:         136
        .size:           8
        .value_kind:     hidden_global_offset_x
      - .offset:         144
        .size:           8
        .value_kind:     hidden_global_offset_y
      - .offset:         152
        .size:           8
        .value_kind:     hidden_global_offset_z
      - .offset:         160
        .size:           2
        .value_kind:     hidden_grid_dims
      - .offset:         216
        .size:           4
        .value_kind:     hidden_dynamic_lds_size
    .group_segment_fixed_size: 0
    .kernarg_segment_align: 8
    .kernarg_segment_size: 352
    .language:       OpenCL C
    .language_version:
      - 2
      - 0
    .max_flat_workgroup_size: 1024
    .name:           _ZN9rocsolver6v33100L26latrd_upper_updateW_kernelIdPdEEviiiT0_iilPT_iilS5_lS5_l
    .private_segment_fixed_size: 0
    .sgpr_count:     41
    .sgpr_spill_count: 0
    .symbol:         _ZN9rocsolver6v33100L26latrd_upper_updateW_kernelIdPdEEviiiT0_iilPT_iilS5_lS5_l.kd
    .uniform_work_group_size: 1
    .uses_dynamic_stack: false
    .vgpr_count:     26
    .vgpr_spill_count: 0
    .wavefront_size: 32
    .workgroup_processor_mode: 1
  - .args:
      - .offset:         0
        .size:           4
        .value_kind:     by_value
      - .offset:         4
        .size:           4
        .value_kind:     by_value
      - .address_space:  global
        .offset:         8
        .size:           8
        .value_kind:     global_buffer
      - .offset:         16
        .size:           4
        .value_kind:     by_value
      - .offset:         20
        .size:           4
        .value_kind:     by_value
      - .offset:         24
        .size:           8
        .value_kind:     by_value
      - .address_space:  global
        .offset:         32
        .size:           8
        .value_kind:     global_buffer
      - .offset:         40
        .size:           8
        .value_kind:     by_value
      - .address_space:  global
        .offset:         48
        .size:           8
        .value_kind:     global_buffer
      - .offset:         56
        .size:           8
        .value_kind:     by_value
      - .offset:         64
        .size:           4
        .value_kind:     hidden_block_count_x
      - .offset:         68
        .size:           4
        .value_kind:     hidden_block_count_y
      - .offset:         72
        .size:           4
        .value_kind:     hidden_block_count_z
      - .offset:         76
        .size:           2
        .value_kind:     hidden_group_size_x
      - .offset:         78
        .size:           2
        .value_kind:     hidden_group_size_y
      - .offset:         80
        .size:           2
        .value_kind:     hidden_group_size_z
      - .offset:         82
        .size:           2
        .value_kind:     hidden_remainder_x
      - .offset:         84
        .size:           2
        .value_kind:     hidden_remainder_y
      - .offset:         86
        .size:           2
        .value_kind:     hidden_remainder_z
      - .offset:         104
        .size:           8
        .value_kind:     hidden_global_offset_x
      - .offset:         112
        .size:           8
        .value_kind:     hidden_global_offset_y
      - .offset:         120
        .size:           8
        .value_kind:     hidden_global_offset_z
      - .offset:         128
        .size:           2
        .value_kind:     hidden_grid_dims
    .group_segment_fixed_size: 0
    .kernarg_segment_align: 8
    .kernarg_segment_size: 320
    .language:       OpenCL C
    .language_version:
      - 2
      - 0
    .max_flat_workgroup_size: 1024
    .name:           _ZN9rocsolver6v33100L11set_tridiagIddPdTnNSt9enable_ifIXnt18rocblas_is_complexIT_EEiE4typeELi0EEEv13rocblas_fill_iT1_iilPT0_lSA_l
    .private_segment_fixed_size: 0
    .sgpr_count:     24
    .sgpr_spill_count: 0
    .symbol:         _ZN9rocsolver6v33100L11set_tridiagIddPdTnNSt9enable_ifIXnt18rocblas_is_complexIT_EEiE4typeELi0EEEv13rocblas_fill_iT1_iilPT0_lSA_l.kd
    .uniform_work_group_size: 1
    .uses_dynamic_stack: false
    .vgpr_count:     9
    .vgpr_spill_count: 0
    .wavefront_size: 32
    .workgroup_processor_mode: 1
  - .args:
      - .offset:         0
        .size:           4
        .value_kind:     by_value
      - .address_space:  global
        .offset:         8
        .size:           8
        .value_kind:     global_buffer
      - .offset:         16
        .size:           8
        .value_kind:     by_value
      - .address_space:  global
        .offset:         24
        .size:           8
        .value_kind:     global_buffer
      - .offset:         32
        .size:           8
        .value_kind:     by_value
      - .address_space:  global
        .offset:         40
        .size:           8
        .value_kind:     global_buffer
      - .address_space:  global
        .offset:         48
        .size:           8
        .value_kind:     global_buffer
      - .offset:         56
        .size:           4
        .value_kind:     by_value
      - .offset:         64
        .size:           8
        .value_kind:     by_value
      - .offset:         72
        .size:           8
        .value_kind:     by_value
      - .offset:         80
        .size:           8
        .value_kind:     by_value
    .group_segment_fixed_size: 0
    .kernarg_segment_align: 8
    .kernarg_segment_size: 88
    .language:       OpenCL C
    .language_version:
      - 2
      - 0
    .max_flat_workgroup_size: 1024
    .name:           _ZN9rocsolver6v33100L12sterf_kernelIdEEviPT_lS3_lPiS4_iS2_S2_S2_
    .private_segment_fixed_size: 0
    .sgpr_count:     73
    .sgpr_spill_count: 0
    .symbol:         _ZN9rocsolver6v33100L12sterf_kernelIdEEviPT_lS3_lPiS4_iS2_S2_S2_.kd
    .uniform_work_group_size: 1
    .uses_dynamic_stack: false
    .vgpr_count:     38
    .vgpr_spill_count: 0
    .wavefront_size: 32
    .workgroup_processor_mode: 1
  - .args:
      - .offset:         0
        .size:           4
        .value_kind:     by_value
      - .offset:         4
        .size:           4
        .value_kind:     by_value
      - .offset:         8
        .size:           4
        .value_kind:     by_value
      - .offset:         12
        .size:           4
        .value_kind:     by_value
      - .offset:         16
        .size:           4
        .value_kind:     by_value
      - .address_space:  global
        .offset:         24
        .size:           8
        .value_kind:     global_buffer
      - .offset:         32
        .size:           8
        .value_kind:     by_value
      - .address_space:  global
        .offset:         40
        .size:           8
        .value_kind:     global_buffer
      - .offset:         48
        .size:           8
        .value_kind:     by_value
      - .address_space:  global
        .offset:         56
        .size:           8
        .value_kind:     global_buffer
      - .offset:         64
        .size:           8
        .value_kind:     by_value
      - .offset:         72
        .size:           4
        .value_kind:     by_value
      - .offset:         80
        .size:           8
        .value_kind:     by_value
      - .offset:         88
        .size:           4
        .value_kind:     by_value
      - .offset:         96
        .size:           4
        .value_kind:     hidden_block_count_x
      - .offset:         100
        .size:           4
        .value_kind:     hidden_block_count_y
      - .offset:         104
        .size:           4
        .value_kind:     hidden_block_count_z
      - .offset:         108
        .size:           2
        .value_kind:     hidden_group_size_x
      - .offset:         110
        .size:           2
        .value_kind:     hidden_group_size_y
      - .offset:         112
        .size:           2
        .value_kind:     hidden_group_size_z
      - .offset:         114
        .size:           2
        .value_kind:     hidden_remainder_x
      - .offset:         116
        .size:           2
        .value_kind:     hidden_remainder_y
      - .offset:         118
        .size:           2
        .value_kind:     hidden_remainder_z
      - .offset:         136
        .size:           8
        .value_kind:     hidden_global_offset_x
      - .offset:         144
        .size:           8
        .value_kind:     hidden_global_offset_y
      - .offset:         152
        .size:           8
        .value_kind:     hidden_global_offset_z
      - .offset:         160
        .size:           2
        .value_kind:     hidden_grid_dims
    .group_segment_fixed_size: 0
    .kernarg_segment_align: 8
    .kernarg_segment_size: 352
    .language:       OpenCL C
    .language_version:
      - 2
      - 0
    .max_flat_workgroup_size: 64
    .name:           _ZN9rocsolver6v33100L11lasr_kernelIddPdiEEv13rocblas_side_14rocblas_pivot_15rocblas_direct_T2_S6_PT0_lS8_lT1_lS6_lS6_
    .private_segment_fixed_size: 0
    .sgpr_count:     89
    .sgpr_spill_count: 0
    .symbol:         _ZN9rocsolver6v33100L11lasr_kernelIddPdiEEv13rocblas_side_14rocblas_pivot_15rocblas_direct_T2_S6_PT0_lS8_lT1_lS6_lS6_.kd
    .uniform_work_group_size: 1
    .uses_dynamic_stack: false
    .vgpr_count:     43
    .vgpr_spill_count: 0
    .wavefront_size: 32
    .workgroup_processor_mode: 1
  - .args:
      - .offset:         0
        .size:           4
        .value_kind:     by_value
      - .address_space:  global
        .offset:         8
        .size:           8
        .value_kind:     global_buffer
      - .offset:         16
        .size:           4
        .value_kind:     by_value
      - .address_space:  global
        .offset:         24
        .size:           8
        .value_kind:     global_buffer
      - .offset:         32
        .size:           4
        .value_kind:     by_value
      - .offset:         40
        .size:           4
        .value_kind:     hidden_block_count_x
      - .offset:         44
        .size:           4
        .value_kind:     hidden_block_count_y
      - .offset:         48
        .size:           4
        .value_kind:     hidden_block_count_z
      - .offset:         52
        .size:           2
        .value_kind:     hidden_group_size_x
      - .offset:         54
        .size:           2
        .value_kind:     hidden_group_size_y
      - .offset:         56
        .size:           2
        .value_kind:     hidden_group_size_z
      - .offset:         58
        .size:           2
        .value_kind:     hidden_remainder_x
      - .offset:         60
        .size:           2
        .value_kind:     hidden_remainder_y
      - .offset:         62
        .size:           2
        .value_kind:     hidden_remainder_z
      - .offset:         80
        .size:           8
        .value_kind:     hidden_global_offset_x
      - .offset:         88
        .size:           8
        .value_kind:     hidden_global_offset_y
      - .offset:         96
        .size:           8
        .value_kind:     hidden_global_offset_z
      - .offset:         104
        .size:           2
        .value_kind:     hidden_grid_dims
    .group_segment_fixed_size: 0
    .kernarg_segment_align: 8
    .kernarg_segment_size: 296
    .language:       OpenCL C
    .language_version:
      - 2
      - 0
    .max_flat_workgroup_size: 1024
    .name:           _ZN9rocsolver6v33100L11swap_kernelIdiEEvT0_PT_S2_S4_S2_
    .private_segment_fixed_size: 0
    .sgpr_count:     18
    .sgpr_spill_count: 0
    .symbol:         _ZN9rocsolver6v33100L11swap_kernelIdiEEvT0_PT_S2_S4_S2_.kd
    .uniform_work_group_size: 1
    .uses_dynamic_stack: false
    .vgpr_count:     12
    .vgpr_spill_count: 0
    .wavefront_size: 32
    .workgroup_processor_mode: 1
  - .args:
      - .offset:         0
        .size:           4
        .value_kind:     by_value
      - .address_space:  global
        .offset:         8
        .size:           8
        .value_kind:     global_buffer
      - .offset:         16
        .size:           8
        .value_kind:     by_value
      - .address_space:  global
        .offset:         24
        .size:           8
        .value_kind:     global_buffer
      - .offset:         32
        .size:           8
        .value_kind:     by_value
      - .address_space:  global
        .offset:         40
        .size:           8
        .value_kind:     global_buffer
      - .offset:         48
        .size:           4
        .value_kind:     by_value
      - .offset:         52
        .size:           4
        .value_kind:     by_value
      - .offset:         56
        .size:           8
        .value_kind:     by_value
      - .address_space:  global
        .offset:         64
        .size:           8
        .value_kind:     global_buffer
      - .address_space:  global
        .offset:         72
        .size:           8
        .value_kind:     global_buffer
      - .offset:         80
        .size:           4
        .value_kind:     by_value
      - .offset:         88
        .size:           8
        .value_kind:     by_value
      - .offset:         96
        .size:           8
        .value_kind:     by_value
      - .offset:         104
        .size:           8
        .value_kind:     by_value
      - .offset:         112
        .size:           4
        .value_kind:     hidden_block_count_x
      - .offset:         116
        .size:           4
        .value_kind:     hidden_block_count_y
      - .offset:         120
        .size:           4
        .value_kind:     hidden_block_count_z
      - .offset:         124
        .size:           2
        .value_kind:     hidden_group_size_x
      - .offset:         126
        .size:           2
        .value_kind:     hidden_group_size_y
      - .offset:         128
        .size:           2
        .value_kind:     hidden_group_size_z
      - .offset:         130
        .size:           2
        .value_kind:     hidden_remainder_x
      - .offset:         132
        .size:           2
        .value_kind:     hidden_remainder_y
      - .offset:         134
        .size:           2
        .value_kind:     hidden_remainder_z
      - .offset:         152
        .size:           8
        .value_kind:     hidden_global_offset_x
      - .offset:         160
        .size:           8
        .value_kind:     hidden_global_offset_y
      - .offset:         168
        .size:           8
        .value_kind:     hidden_global_offset_z
      - .offset:         176
        .size:           2
        .value_kind:     hidden_grid_dims
    .group_segment_fixed_size: 48
    .kernarg_segment_align: 8
    .kernarg_segment_size: 368
    .language:       OpenCL C
    .language_version:
      - 2
      - 0
    .max_flat_workgroup_size: 1024
    .name:           _ZN9rocsolver6v33100L12steqr_kernelIddPdEEviPT0_lS4_lT1_iilPiS4_iS3_S3_S3_
    .private_segment_fixed_size: 0
    .sgpr_count:     39
    .sgpr_spill_count: 0
    .symbol:         _ZN9rocsolver6v33100L12steqr_kernelIddPdEEviPT0_lS4_lT1_iilPiS4_iS3_S3_S3_.kd
    .uniform_work_group_size: 1
    .uses_dynamic_stack: false
    .vgpr_count:     182
    .vgpr_spill_count: 0
    .wavefront_size: 32
    .workgroup_processor_mode: 1
  - .args:
      - .offset:         0
        .size:           4
        .value_kind:     by_value
      - .offset:         4
        .size:           4
        .value_kind:     by_value
      - .address_space:  global
        .offset:         8
        .size:           8
        .value_kind:     global_buffer
      - .offset:         16
        .size:           4
        .value_kind:     by_value
      - .offset:         20
        .size:           4
        .value_kind:     by_value
      - .offset:         24
        .size:           8
        .value_kind:     by_value
      - .offset:         32
        .size:           4
        .value_kind:     hidden_block_count_x
      - .offset:         36
        .size:           4
        .value_kind:     hidden_block_count_y
      - .offset:         40
        .size:           4
        .value_kind:     hidden_block_count_z
      - .offset:         44
        .size:           2
        .value_kind:     hidden_group_size_x
      - .offset:         46
        .size:           2
        .value_kind:     hidden_group_size_y
      - .offset:         48
        .size:           2
        .value_kind:     hidden_group_size_z
      - .offset:         50
        .size:           2
        .value_kind:     hidden_remainder_x
      - .offset:         52
        .size:           2
        .value_kind:     hidden_remainder_y
      - .offset:         54
        .size:           2
        .value_kind:     hidden_remainder_z
      - .offset:         72
        .size:           8
        .value_kind:     hidden_global_offset_x
      - .offset:         80
        .size:           8
        .value_kind:     hidden_global_offset_y
      - .offset:         88
        .size:           8
        .value_kind:     hidden_global_offset_z
      - .offset:         96
        .size:           2
        .value_kind:     hidden_grid_dims
    .group_segment_fixed_size: 0
    .kernarg_segment_align: 8
    .kernarg_segment_size: 288
    .language:       OpenCL C
    .language_version:
      - 2
      - 0
    .max_flat_workgroup_size: 1024
    .name:           _ZN9rocsolver6v33100L10init_identIdPdEEviiT0_iil
    .private_segment_fixed_size: 0
    .sgpr_count:     18
    .sgpr_spill_count: 0
    .symbol:         _ZN9rocsolver6v33100L10init_identIdPdEEviiT0_iil.kd
    .uniform_work_group_size: 1
    .uses_dynamic_stack: false
    .vgpr_count:     6
    .vgpr_spill_count: 0
    .wavefront_size: 32
    .workgroup_processor_mode: 1
  - .args:
      - .offset:         0
        .size:           4
        .value_kind:     by_value
      - .offset:         4
        .size:           4
        .value_kind:     by_value
      - .offset:         8
        .size:           4
        .value_kind:     by_value
      - .address_space:  global
        .offset:         16
        .size:           8
        .value_kind:     global_buffer
      - .offset:         24
        .size:           8
        .value_kind:     by_value
      - .address_space:  global
        .offset:         32
        .size:           8
        .value_kind:     global_buffer
      - .offset:         40
        .size:           8
        .value_kind:     by_value
      - .offset:         48
        .size:           4
        .value_kind:     by_value
      - .address_space:  global
        .offset:         56
        .size:           8
        .value_kind:     global_buffer
      - .offset:         64
        .size:           4
        .value_kind:     hidden_block_count_x
      - .offset:         68
        .size:           4
        .value_kind:     hidden_block_count_y
      - .offset:         72
        .size:           4
        .value_kind:     hidden_block_count_z
      - .offset:         76
        .size:           2
        .value_kind:     hidden_group_size_x
      - .offset:         78
        .size:           2
        .value_kind:     hidden_group_size_y
      - .offset:         80
        .size:           2
        .value_kind:     hidden_group_size_z
      - .offset:         82
        .size:           2
        .value_kind:     hidden_remainder_x
      - .offset:         84
        .size:           2
        .value_kind:     hidden_remainder_y
      - .offset:         86
        .size:           2
        .value_kind:     hidden_remainder_z
      - .offset:         104
        .size:           8
        .value_kind:     hidden_global_offset_x
      - .offset:         112
        .size:           8
        .value_kind:     hidden_global_offset_y
      - .offset:         120
        .size:           8
        .value_kind:     hidden_global_offset_z
      - .offset:         128
        .size:           2
        .value_kind:     hidden_grid_dims
    .group_segment_fixed_size: 0
    .kernarg_segment_align: 8
    .kernarg_segment_size: 320
    .language:       OpenCL C
    .language_version:
      - 2
      - 0
    .max_flat_workgroup_size: 512
    .name:           _ZN9rocsolver6v33100L19stedc_divide_kernelIdEEviiiPT_lS3_liPi
    .private_segment_fixed_size: 0
    .sgpr_count:     18
    .sgpr_spill_count: 0
    .symbol:         _ZN9rocsolver6v33100L19stedc_divide_kernelIdEEviiiPT_lS3_liPi.kd
    .uniform_work_group_size: 1
    .uses_dynamic_stack: false
    .vgpr_count:     16
    .vgpr_spill_count: 0
    .wavefront_size: 32
    .workgroup_processor_mode: 1
  - .args:
      - .offset:         0
        .size:           4
        .value_kind:     by_value
      - .offset:         4
        .size:           4
        .value_kind:     by_value
      - .address_space:  global
        .offset:         8
        .size:           8
        .value_kind:     global_buffer
      - .offset:         16
        .size:           8
        .value_kind:     by_value
      - .address_space:  global
        .offset:         24
        .size:           8
        .value_kind:     global_buffer
      - .offset:         32
        .size:           8
        .value_kind:     by_value
      - .address_space:  global
        .offset:         40
        .size:           8
        .value_kind:     global_buffer
      - .offset:         48
        .size:           4
        .value_kind:     by_value
      - .offset:         52
        .size:           4
        .value_kind:     by_value
      - .offset:         56
        .size:           8
        .value_kind:     by_value
      - .address_space:  global
        .offset:         64
        .size:           8
        .value_kind:     global_buffer
      - .address_space:  global
        .offset:         72
        .size:           8
        .value_kind:     global_buffer
      - .address_space:  global
        .offset:         80
        .size:           8
        .value_kind:     global_buffer
      - .offset:         88
        .size:           8
        .value_kind:     by_value
      - .offset:         96
        .size:           8
        .value_kind:     by_value
      - .offset:         104
        .size:           8
        .value_kind:     by_value
      - .offset:         112
        .size:           4
        .value_kind:     hidden_block_count_x
      - .offset:         116
        .size:           4
        .value_kind:     hidden_block_count_y
      - .offset:         120
        .size:           4
        .value_kind:     hidden_block_count_z
      - .offset:         124
        .size:           2
        .value_kind:     hidden_group_size_x
      - .offset:         126
        .size:           2
        .value_kind:     hidden_group_size_y
      - .offset:         128
        .size:           2
        .value_kind:     hidden_group_size_z
      - .offset:         130
        .size:           2
        .value_kind:     hidden_remainder_x
      - .offset:         132
        .size:           2
        .value_kind:     hidden_remainder_y
      - .offset:         134
        .size:           2
        .value_kind:     hidden_remainder_z
      - .offset:         152
        .size:           8
        .value_kind:     hidden_global_offset_x
      - .offset:         160
        .size:           8
        .value_kind:     hidden_global_offset_y
      - .offset:         168
        .size:           8
        .value_kind:     hidden_global_offset_z
      - .offset:         176
        .size:           2
        .value_kind:     hidden_grid_dims
    .group_segment_fixed_size: 48
    .kernarg_segment_align: 8
    .kernarg_segment_size: 368
    .language:       OpenCL C
    .language_version:
      - 2
      - 0
    .max_flat_workgroup_size: 512
    .name:           _ZN9rocsolver6v33100L18stedc_solve_kernelIdEEviiPT_lS3_lS3_iilPiS3_S4_S2_S2_S2_
    .private_segment_fixed_size: 0
    .sgpr_count:     35
    .sgpr_spill_count: 0
    .symbol:         _ZN9rocsolver6v33100L18stedc_solve_kernelIdEEviiPT_lS3_lS3_iilPiS3_S4_S2_S2_S2_.kd
    .uniform_work_group_size: 1
    .uses_dynamic_stack: false
    .vgpr_count:     182
    .vgpr_spill_count: 0
    .wavefront_size: 32
    .workgroup_processor_mode: 1
  - .args:
      - .offset:         0
        .size:           4
        .value_kind:     by_value
      - .offset:         4
        .size:           4
        .value_kind:     by_value
      - .address_space:  global
        .offset:         8
        .size:           8
        .value_kind:     global_buffer
      - .offset:         16
        .size:           8
        .value_kind:     by_value
      - .address_space:  global
        .offset:         24
        .size:           8
        .value_kind:     global_buffer
      - .offset:         32
        .size:           8
        .value_kind:     by_value
      - .address_space:  global
        .offset:         40
        .size:           8
        .value_kind:     global_buffer
      - .offset:         48
        .size:           4
        .value_kind:     by_value
      - .offset:         52
        .size:           4
        .value_kind:     by_value
      - .offset:         56
        .size:           8
        .value_kind:     by_value
      - .address_space:  global
        .offset:         64
        .size:           8
        .value_kind:     global_buffer
      - .address_space:  global
        .offset:         72
        .size:           8
        .value_kind:     global_buffer
      - .offset:         80
        .size:           8
        .value_kind:     by_value
      - .offset:         88
        .size:           4
        .value_kind:     hidden_block_count_x
      - .offset:         92
        .size:           4
        .value_kind:     hidden_block_count_y
      - .offset:         96
        .size:           4
        .value_kind:     hidden_block_count_z
      - .offset:         100
        .size:           2
        .value_kind:     hidden_group_size_x
      - .offset:         102
        .size:           2
        .value_kind:     hidden_group_size_y
      - .offset:         104
        .size:           2
        .value_kind:     hidden_group_size_z
      - .offset:         106
        .size:           2
        .value_kind:     hidden_remainder_x
      - .offset:         108
        .size:           2
        .value_kind:     hidden_remainder_y
      - .offset:         110
        .size:           2
        .value_kind:     hidden_remainder_z
      - .offset:         128
        .size:           8
        .value_kind:     hidden_global_offset_x
      - .offset:         136
        .size:           8
        .value_kind:     hidden_global_offset_y
      - .offset:         144
        .size:           8
        .value_kind:     hidden_global_offset_z
      - .offset:         152
        .size:           2
        .value_kind:     hidden_grid_dims
    .group_segment_fixed_size: 8192
    .kernarg_segment_align: 8
    .kernarg_segment_size: 344
    .language:       OpenCL C
    .language_version:
      - 2
      - 0
    .max_flat_workgroup_size: 512
    .name:           _ZN9rocsolver6v33100L37stedc_mergePrepare_DeflateZero_kernelIdEEviiPT_lS3_lS3_iilS3_PiS2_
    .private_segment_fixed_size: 0
    .sgpr_count:     42
    .sgpr_spill_count: 0
    .symbol:         _ZN9rocsolver6v33100L37stedc_mergePrepare_DeflateZero_kernelIdEEviiPT_lS3_lS3_iilS3_PiS2_.kd
    .uniform_work_group_size: 1
    .uses_dynamic_stack: false
    .vgpr_count:     17
    .vgpr_spill_count: 0
    .wavefront_size: 32
    .workgroup_processor_mode: 1
  - .args:
      - .offset:         0
        .size:           4
        .value_kind:     by_value
      - .offset:         4
        .size:           4
        .value_kind:     by_value
      - .address_space:  global
        .offset:         8
        .size:           8
        .value_kind:     global_buffer
      - .offset:         16
        .size:           8
        .value_kind:     by_value
      - .address_space:  global
        .offset:         24
        .size:           8
        .value_kind:     global_buffer
      - .address_space:  global
        .offset:         32
        .size:           8
        .value_kind:     global_buffer
      - .offset:         40
        .size:           4
        .value_kind:     hidden_block_count_x
      - .offset:         44
        .size:           4
        .value_kind:     hidden_block_count_y
      - .offset:         48
        .size:           4
        .value_kind:     hidden_block_count_z
      - .offset:         52
        .size:           2
        .value_kind:     hidden_group_size_x
      - .offset:         54
        .size:           2
        .value_kind:     hidden_group_size_y
      - .offset:         56
        .size:           2
        .value_kind:     hidden_group_size_z
      - .offset:         58
        .size:           2
        .value_kind:     hidden_remainder_x
      - .offset:         60
        .size:           2
        .value_kind:     hidden_remainder_y
      - .offset:         62
        .size:           2
        .value_kind:     hidden_remainder_z
      - .offset:         80
        .size:           8
        .value_kind:     hidden_global_offset_x
      - .offset:         88
        .size:           8
        .value_kind:     hidden_global_offset_y
      - .offset:         96
        .size:           8
        .value_kind:     hidden_global_offset_z
      - .offset:         104
        .size:           2
        .value_kind:     hidden_grid_dims
    .group_segment_fixed_size: 4096
    .kernarg_segment_align: 8
    .kernarg_segment_size: 296
    .language:       OpenCL C
    .language_version:
      - 2
      - 0
    .max_flat_workgroup_size: 512
    .name:           _ZN9rocsolver6v33100L31stedc_mergePrepare_SortD_kernelIdEEviiPT_lS3_Pi
    .private_segment_fixed_size: 0
    .sgpr_count:     44
    .sgpr_spill_count: 0
    .symbol:         _ZN9rocsolver6v33100L31stedc_mergePrepare_SortD_kernelIdEEviiPT_lS3_Pi.kd
    .uniform_work_group_size: 1
    .uses_dynamic_stack: false
    .vgpr_count:     35
    .vgpr_spill_count: 0
    .wavefront_size: 32
    .workgroup_processor_mode: 1
  - .args:
      - .offset:         0
        .size:           4
        .value_kind:     by_value
      - .offset:         4
        .size:           4
        .value_kind:     by_value
      - .address_space:  global
        .offset:         8
        .size:           8
        .value_kind:     global_buffer
      - .offset:         16
        .size:           8
        .value_kind:     by_value
      - .address_space:  global
        .offset:         24
        .size:           8
        .value_kind:     global_buffer
      - .address_space:  global
        .offset:         32
        .size:           8
        .value_kind:     global_buffer
      - .offset:         40
        .size:           4
        .value_kind:     hidden_block_count_x
      - .offset:         44
        .size:           4
        .value_kind:     hidden_block_count_y
      - .offset:         48
        .size:           4
        .value_kind:     hidden_block_count_z
      - .offset:         52
        .size:           2
        .value_kind:     hidden_group_size_x
      - .offset:         54
        .size:           2
        .value_kind:     hidden_group_size_y
      - .offset:         56
        .size:           2
        .value_kind:     hidden_group_size_z
      - .offset:         58
        .size:           2
        .value_kind:     hidden_remainder_x
      - .offset:         60
        .size:           2
        .value_kind:     hidden_remainder_y
      - .offset:         62
        .size:           2
        .value_kind:     hidden_remainder_z
      - .offset:         80
        .size:           8
        .value_kind:     hidden_global_offset_x
      - .offset:         88
        .size:           8
        .value_kind:     hidden_global_offset_y
      - .offset:         96
        .size:           8
        .value_kind:     hidden_global_offset_z
      - .offset:         104
        .size:           2
        .value_kind:     hidden_grid_dims
    .group_segment_fixed_size: 0
    .kernarg_segment_align: 8
    .kernarg_segment_size: 296
    .language:       OpenCL C
    .language_version:
      - 2
      - 0
    .max_flat_workgroup_size: 512
    .name:           _ZN9rocsolver6v33100L38stedc_mergePrepare_SetCandFlags_kernelIdEEviiPT_lS3_Pi
    .private_segment_fixed_size: 0
    .sgpr_count:     18
    .sgpr_spill_count: 0
    .symbol:         _ZN9rocsolver6v33100L38stedc_mergePrepare_SetCandFlags_kernelIdEEviiPT_lS3_Pi.kd
    .uniform_work_group_size: 1
    .uses_dynamic_stack: false
    .vgpr_count:     18
    .vgpr_spill_count: 0
    .wavefront_size: 32
    .workgroup_processor_mode: 1
  - .args:
      - .offset:         0
        .size:           4
        .value_kind:     by_value
      - .offset:         4
        .size:           4
        .value_kind:     by_value
      - .address_space:  global
        .offset:         8
        .size:           8
        .value_kind:     global_buffer
      - .offset:         16
        .size:           8
        .value_kind:     by_value
      - .address_space:  global
        .offset:         24
        .size:           8
        .value_kind:     global_buffer
      - .address_space:  global
        .offset:         32
        .size:           8
        .value_kind:     global_buffer
      - .offset:         40
        .size:           4
        .value_kind:     hidden_block_count_x
      - .offset:         44
        .size:           4
        .value_kind:     hidden_block_count_y
      - .offset:         48
        .size:           4
        .value_kind:     hidden_block_count_z
      - .offset:         52
        .size:           2
        .value_kind:     hidden_group_size_x
      - .offset:         54
        .size:           2
        .value_kind:     hidden_group_size_y
      - .offset:         56
        .size:           2
        .value_kind:     hidden_group_size_z
      - .offset:         58
        .size:           2
        .value_kind:     hidden_remainder_x
      - .offset:         60
        .size:           2
        .value_kind:     hidden_remainder_y
      - .offset:         62
        .size:           2
        .value_kind:     hidden_remainder_z
      - .offset:         80
        .size:           8
        .value_kind:     hidden_global_offset_x
      - .offset:         88
        .size:           8
        .value_kind:     hidden_global_offset_y
      - .offset:         96
        .size:           8
        .value_kind:     hidden_global_offset_z
      - .offset:         104
        .size:           2
        .value_kind:     hidden_grid_dims
    .group_segment_fixed_size: 49152
    .kernarg_segment_align: 8
    .kernarg_segment_size: 296
    .language:       OpenCL C
    .language_version:
      - 2
      - 0
    .max_flat_workgroup_size: 512
    .name:           _ZN9rocsolver6v33100L38stedc_mergePrepare_DeflateCount_kernelIdEEviiPT_lS3_Pi
    .private_segment_fixed_size: 0
    .sgpr_count:     29
    .sgpr_spill_count: 0
    .symbol:         _ZN9rocsolver6v33100L38stedc_mergePrepare_DeflateCount_kernelIdEEviiPT_lS3_Pi.kd
    .uniform_work_group_size: 1
    .uses_dynamic_stack: false
    .vgpr_count:     20
    .vgpr_spill_count: 0
    .wavefront_size: 32
    .workgroup_processor_mode: 1
  - .args:
      - .offset:         0
        .size:           4
        .value_kind:     by_value
      - .offset:         4
        .size:           4
        .value_kind:     by_value
      - .address_space:  global
        .offset:         8
        .size:           8
        .value_kind:     global_buffer
      - .offset:         16
        .size:           8
        .value_kind:     by_value
      - .address_space:  global
        .offset:         24
        .size:           8
        .value_kind:     global_buffer
      - .address_space:  global
        .offset:         32
        .size:           8
        .value_kind:     global_buffer
      - .offset:         40
        .size:           4
        .value_kind:     hidden_block_count_x
      - .offset:         44
        .size:           4
        .value_kind:     hidden_block_count_y
      - .offset:         48
        .size:           4
        .value_kind:     hidden_block_count_z
      - .offset:         52
        .size:           2
        .value_kind:     hidden_group_size_x
      - .offset:         54
        .size:           2
        .value_kind:     hidden_group_size_y
      - .offset:         56
        .size:           2
        .value_kind:     hidden_group_size_z
      - .offset:         58
        .size:           2
        .value_kind:     hidden_remainder_x
      - .offset:         60
        .size:           2
        .value_kind:     hidden_remainder_y
      - .offset:         62
        .size:           2
        .value_kind:     hidden_remainder_z
      - .offset:         80
        .size:           8
        .value_kind:     hidden_global_offset_x
      - .offset:         88
        .size:           8
        .value_kind:     hidden_global_offset_y
      - .offset:         96
        .size:           8
        .value_kind:     hidden_global_offset_z
      - .offset:         104
        .size:           2
        .value_kind:     hidden_grid_dims
    .group_segment_fixed_size: 49152
    .kernarg_segment_align: 8
    .kernarg_segment_size: 296
    .language:       OpenCL C
    .language_version:
      - 2
      - 0
    .max_flat_workgroup_size: 512
    .name:           _ZN9rocsolver6v33100L38stedc_mergePrepare_DeflateApply_kernelIdEEviiPT_lS3_Pi
    .private_segment_fixed_size: 0
    .sgpr_count:     24
    .sgpr_spill_count: 0
    .symbol:         _ZN9rocsolver6v33100L38stedc_mergePrepare_DeflateApply_kernelIdEEviiPT_lS3_Pi.kd
    .uniform_work_group_size: 1
    .uses_dynamic_stack: false
    .vgpr_count:     29
    .vgpr_spill_count: 0
    .wavefront_size: 32
    .workgroup_processor_mode: 1
  - .args:
      - .offset:         0
        .size:           4
        .value_kind:     by_value
      - .offset:         4
        .size:           4
        .value_kind:     by_value
      - .address_space:  global
        .offset:         8
        .size:           8
        .value_kind:     global_buffer
      - .offset:         16
        .size:           4
        .value_kind:     by_value
      - .offset:         20
        .size:           4
        .value_kind:     by_value
      - .offset:         24
        .size:           8
        .value_kind:     by_value
      - .address_space:  global
        .offset:         32
        .size:           8
        .value_kind:     global_buffer
      - .address_space:  global
        .offset:         40
        .size:           8
        .value_kind:     global_buffer
      - .offset:         48
        .size:           4
        .value_kind:     hidden_block_count_x
      - .offset:         52
        .size:           4
        .value_kind:     hidden_block_count_y
      - .offset:         56
        .size:           4
        .value_kind:     hidden_block_count_z
      - .offset:         60
        .size:           2
        .value_kind:     hidden_group_size_x
      - .offset:         62
        .size:           2
        .value_kind:     hidden_group_size_y
      - .offset:         64
        .size:           2
        .value_kind:     hidden_group_size_z
      - .offset:         66
        .size:           2
        .value_kind:     hidden_remainder_x
      - .offset:         68
        .size:           2
        .value_kind:     hidden_remainder_y
      - .offset:         70
        .size:           2
        .value_kind:     hidden_remainder_z
      - .offset:         88
        .size:           8
        .value_kind:     hidden_global_offset_x
      - .offset:         96
        .size:           8
        .value_kind:     hidden_global_offset_y
      - .offset:         104
        .size:           8
        .value_kind:     hidden_global_offset_z
      - .offset:         112
        .size:           2
        .value_kind:     hidden_grid_dims
    .group_segment_fixed_size: 0
    .kernarg_segment_align: 8
    .kernarg_segment_size: 304
    .language:       OpenCL C
    .language_version:
      - 2
      - 0
    .max_flat_workgroup_size: 512
    .name:           _ZN9rocsolver6v33100L24stedc_mergeRotate_kernelIdEEviiPT_iilS3_Pi
    .private_segment_fixed_size: 0
    .sgpr_count:     43
    .sgpr_spill_count: 0
    .symbol:         _ZN9rocsolver6v33100L24stedc_mergeRotate_kernelIdEEviiPT_iilS3_Pi.kd
    .uniform_work_group_size: 1
    .uses_dynamic_stack: false
    .vgpr_count:     168
    .vgpr_spill_count: 0
    .wavefront_size: 32
    .workgroup_processor_mode: 1
  - .args:
      - .offset:         0
        .size:           4
        .value_kind:     by_value
      - .offset:         4
        .size:           4
        .value_kind:     by_value
      - .address_space:  global
        .offset:         8
        .size:           8
        .value_kind:     global_buffer
      - .offset:         16
        .size:           8
        .value_kind:     by_value
      - .address_space:  global
        .offset:         24
        .size:           8
        .value_kind:     global_buffer
      - .address_space:  global
        .offset:         32
        .size:           8
        .value_kind:     global_buffer
      - .offset:         40
        .size:           4
        .value_kind:     hidden_block_count_x
      - .offset:         44
        .size:           4
        .value_kind:     hidden_block_count_y
      - .offset:         48
        .size:           4
        .value_kind:     hidden_block_count_z
      - .offset:         52
        .size:           2
        .value_kind:     hidden_group_size_x
      - .offset:         54
        .size:           2
        .value_kind:     hidden_group_size_y
      - .offset:         56
        .size:           2
        .value_kind:     hidden_group_size_z
      - .offset:         58
        .size:           2
        .value_kind:     hidden_remainder_x
      - .offset:         60
        .size:           2
        .value_kind:     hidden_remainder_y
      - .offset:         62
        .size:           2
        .value_kind:     hidden_remainder_z
      - .offset:         80
        .size:           8
        .value_kind:     hidden_global_offset_x
      - .offset:         88
        .size:           8
        .value_kind:     hidden_global_offset_y
      - .offset:         96
        .size:           8
        .value_kind:     hidden_global_offset_z
      - .offset:         104
        .size:           2
        .value_kind:     hidden_grid_dims
    .group_segment_fixed_size: 4096
    .kernarg_segment_align: 8
    .kernarg_segment_size: 296
    .language:       OpenCL C
    .language_version:
      - 2
      - 0
    .max_flat_workgroup_size: 512
    .name:           _ZN9rocsolver6v33100L31stedc_mergeValues_SortDZ_kernelIdEEviiPT_lS3_Pi
    .private_segment_fixed_size: 0
    .sgpr_count:     54
    .sgpr_spill_count: 0
    .symbol:         _ZN9rocsolver6v33100L31stedc_mergeValues_SortDZ_kernelIdEEviiPT_lS3_Pi.kd
    .uniform_work_group_size: 1
    .uses_dynamic_stack: false
    .vgpr_count:     35
    .vgpr_spill_count: 0
    .wavefront_size: 32
    .workgroup_processor_mode: 1
  - .args:
      - .offset:         0
        .size:           4
        .value_kind:     by_value
      - .offset:         4
        .size:           4
        .value_kind:     by_value
      - .address_space:  global
        .offset:         8
        .size:           8
        .value_kind:     global_buffer
      - .offset:         16
        .size:           8
        .value_kind:     by_value
      - .address_space:  global
        .offset:         24
        .size:           8
        .value_kind:     global_buffer
      - .address_space:  global
        .offset:         32
        .size:           8
        .value_kind:     global_buffer
      - .address_space:  global
        .offset:         40
        .size:           8
        .value_kind:     global_buffer
      - .offset:         48
        .size:           4
        .value_kind:     hidden_block_count_x
      - .offset:         52
        .size:           4
        .value_kind:     hidden_block_count_y
      - .offset:         56
        .size:           4
        .value_kind:     hidden_block_count_z
      - .offset:         60
        .size:           2
        .value_kind:     hidden_group_size_x
      - .offset:         62
        .size:           2
        .value_kind:     hidden_group_size_y
      - .offset:         64
        .size:           2
        .value_kind:     hidden_group_size_z
      - .offset:         66
        .size:           2
        .value_kind:     hidden_remainder_x
      - .offset:         68
        .size:           2
        .value_kind:     hidden_remainder_y
      - .offset:         70
        .size:           2
        .value_kind:     hidden_remainder_z
      - .offset:         88
        .size:           8
        .value_kind:     hidden_global_offset_x
      - .offset:         96
        .size:           8
        .value_kind:     hidden_global_offset_y
      - .offset:         104
        .size:           8
        .value_kind:     hidden_global_offset_z
      - .offset:         112
        .size:           2
        .value_kind:     hidden_grid_dims
    .group_segment_fixed_size: 0
    .kernarg_segment_align: 8
    .kernarg_segment_size: 304
    .language:       OpenCL C
    .language_version:
      - 2
      - 0
    .max_flat_workgroup_size: 512
    .name:           _ZN9rocsolver6v33100L30stedc_mergeValues_copyD_kernelIdEEviiPT_lS3_S3_Pi
    .private_segment_fixed_size: 0
    .sgpr_count:     26
    .sgpr_spill_count: 0
    .symbol:         _ZN9rocsolver6v33100L30stedc_mergeValues_copyD_kernelIdEEviiPT_lS3_S3_Pi.kd
    .uniform_work_group_size: 1
    .uses_dynamic_stack: false
    .vgpr_count:     5
    .vgpr_spill_count: 0
    .wavefront_size: 32
    .workgroup_processor_mode: 1
  - .args:
      - .offset:         0
        .size:           4
        .value_kind:     by_value
      - .address_space:  global
        .offset:         8
        .size:           8
        .value_kind:     global_buffer
      - .offset:         16
        .size:           4
        .value_kind:     by_value
      - .offset:         20
        .size:           4
        .value_kind:     by_value
      - .offset:         24
        .size:           8
        .value_kind:     by_value
      - .address_space:  global
        .offset:         32
        .size:           8
        .value_kind:     global_buffer
      - .offset:         40
        .size:           4
        .value_kind:     by_value
      - .offset:         44
        .size:           4
        .value_kind:     by_value
      - .offset:         48
        .size:           8
        .value_kind:     by_value
      - .offset:         56
        .size:           4
        .value_kind:     hidden_block_count_x
      - .offset:         60
        .size:           4
        .value_kind:     hidden_block_count_y
      - .offset:         64
        .size:           4
        .value_kind:     hidden_block_count_z
      - .offset:         68
        .size:           2
        .value_kind:     hidden_group_size_x
      - .offset:         70
        .size:           2
        .value_kind:     hidden_group_size_y
      - .offset:         72
        .size:           2
        .value_kind:     hidden_group_size_z
      - .offset:         74
        .size:           2
        .value_kind:     hidden_remainder_x
      - .offset:         76
        .size:           2
        .value_kind:     hidden_remainder_y
      - .offset:         78
        .size:           2
        .value_kind:     hidden_remainder_z
      - .offset:         96
        .size:           8
        .value_kind:     hidden_global_offset_x
      - .offset:         104
        .size:           8
        .value_kind:     hidden_global_offset_y
      - .offset:         112
        .size:           8
        .value_kind:     hidden_global_offset_z
      - .offset:         120
        .size:           2
        .value_kind:     hidden_grid_dims
    .group_segment_fixed_size: 0
    .kernarg_segment_align: 8
    .kernarg_segment_size: 312
    .language:       OpenCL C
    .language_version:
      - 2
      - 0
    .max_flat_workgroup_size: 512
    .name:           _ZN9rocsolver6v33100L11stedc_copyCIdPdS2_EEviT0_iilT1_iil
    .private_segment_fixed_size: 0
    .sgpr_count:     42
    .sgpr_spill_count: 0
    .symbol:         _ZN9rocsolver6v33100L11stedc_copyCIdPdS2_EEviT0_iilT1_iil.kd
    .uniform_work_group_size: 1
    .uses_dynamic_stack: false
    .vgpr_count:     66
    .vgpr_spill_count: 0
    .wavefront_size: 32
    .workgroup_processor_mode: 1
  - .args:
      - .offset:         0
        .size:           4
        .value_kind:     by_value
      - .address_space:  global
        .offset:         8
        .size:           8
        .value_kind:     global_buffer
      - .offset:         16
        .size:           4
        .value_kind:     by_value
      - .offset:         20
        .size:           4
        .value_kind:     by_value
      - .offset:         24
        .size:           8
        .value_kind:     by_value
      - .address_space:  global
        .offset:         32
        .size:           8
        .value_kind:     global_buffer
      - .offset:         40
        .size:           4
        .value_kind:     by_value
      - .offset:         44
        .size:           4
        .value_kind:     by_value
      - .offset:         48
        .size:           8
        .value_kind:     by_value
      - .address_space:  global
        .offset:         56
        .size:           8
        .value_kind:     global_buffer
      - .offset:         64
        .size:           4
        .value_kind:     hidden_block_count_x
      - .offset:         68
        .size:           4
        .value_kind:     hidden_block_count_y
      - .offset:         72
        .size:           4
        .value_kind:     hidden_block_count_z
      - .offset:         76
        .size:           2
        .value_kind:     hidden_group_size_x
      - .offset:         78
        .size:           2
        .value_kind:     hidden_group_size_y
      - .offset:         80
        .size:           2
        .value_kind:     hidden_group_size_z
      - .offset:         82
        .size:           2
        .value_kind:     hidden_remainder_x
      - .offset:         84
        .size:           2
        .value_kind:     hidden_remainder_y
      - .offset:         86
        .size:           2
        .value_kind:     hidden_remainder_z
      - .offset:         104
        .size:           8
        .value_kind:     hidden_global_offset_x
      - .offset:         112
        .size:           8
        .value_kind:     hidden_global_offset_y
      - .offset:         120
        .size:           8
        .value_kind:     hidden_global_offset_z
      - .offset:         128
        .size:           2
        .value_kind:     hidden_grid_dims
    .group_segment_fixed_size: 0
    .kernarg_segment_align: 8
    .kernarg_segment_size: 320
    .language:       OpenCL C
    .language_version:
      - 2
      - 0
    .max_flat_workgroup_size: 512
    .name:           _ZN9rocsolver6v33100L16stedc_reshuffleCIdPdS2_EEviT0_iilT1_iilPi
    .private_segment_fixed_size: 0
    .sgpr_count:     42
    .sgpr_spill_count: 0
    .symbol:         _ZN9rocsolver6v33100L16stedc_reshuffleCIdPdS2_EEviT0_iilT1_iilPi.kd
    .uniform_work_group_size: 1
    .uses_dynamic_stack: false
    .vgpr_count:     66
    .vgpr_spill_count: 0
    .wavefront_size: 32
    .workgroup_processor_mode: 1
  - .args:
      - .offset:         0
        .size:           4
        .value_kind:     by_value
      - .offset:         4
        .size:           4
        .value_kind:     by_value
      - .address_space:  global
        .offset:         8
        .size:           8
        .value_kind:     global_buffer
      - .offset:         16
        .size:           8
        .value_kind:     by_value
      - .address_space:  global
        .offset:         24
        .size:           8
        .value_kind:     global_buffer
      - .offset:         32
        .size:           8
        .value_kind:     by_value
      - .address_space:  global
        .offset:         40
        .size:           8
        .value_kind:     global_buffer
      - .address_space:  global
        .offset:         48
        .size:           8
        .value_kind:     global_buffer
      - .address_space:  global
        .offset:         56
        .size:           8
        .value_kind:     global_buffer
      - .offset:         64
        .size:           8
        .value_kind:     by_value
      - .offset:         72
        .size:           8
        .value_kind:     by_value
      - .offset:         80
        .size:           8
        .value_kind:     by_value
      - .offset:         88
        .size:           4
        .value_kind:     hidden_block_count_x
      - .offset:         92
        .size:           4
        .value_kind:     hidden_block_count_y
      - .offset:         96
        .size:           4
        .value_kind:     hidden_block_count_z
      - .offset:         100
        .size:           2
        .value_kind:     hidden_group_size_x
      - .offset:         102
        .size:           2
        .value_kind:     hidden_group_size_y
      - .offset:         104
        .size:           2
        .value_kind:     hidden_group_size_z
      - .offset:         106
        .size:           2
        .value_kind:     hidden_remainder_x
      - .offset:         108
        .size:           2
        .value_kind:     hidden_remainder_y
      - .offset:         110
        .size:           2
        .value_kind:     hidden_remainder_z
      - .offset:         128
        .size:           8
        .value_kind:     hidden_global_offset_x
      - .offset:         136
        .size:           8
        .value_kind:     hidden_global_offset_y
      - .offset:         144
        .size:           8
        .value_kind:     hidden_global_offset_z
      - .offset:         152
        .size:           2
        .value_kind:     hidden_grid_dims
    .group_segment_fixed_size: 0
    .kernarg_segment_align: 8
    .kernarg_segment_size: 344
    .language:       OpenCL C
    .language_version:
      - 2
      - 0
    .max_flat_workgroup_size: 4
    .name:           _ZN9rocsolver6v33100L30stedc_mergeValues_Solve_kernelIdEEviiPT_lS3_lS3_S3_PiS2_S2_S2_
    .private_segment_fixed_size: 0
    .sgpr_count:     29
    .sgpr_spill_count: 0
    .symbol:         _ZN9rocsolver6v33100L30stedc_mergeValues_Solve_kernelIdEEviiPT_lS3_lS3_S3_PiS2_S2_S2_.kd
    .uniform_work_group_size: 1
    .uses_dynamic_stack: false
    .vgpr_count:     76
    .vgpr_spill_count: 0
    .wavefront_size: 32
    .workgroup_processor_mode: 1
  - .args:
      - .offset:         0
        .size:           4
        .value_kind:     by_value
      - .offset:         4
        .size:           4
        .value_kind:     by_value
      - .address_space:  global
        .offset:         8
        .size:           8
        .value_kind:     global_buffer
      - .offset:         16
        .size:           8
        .value_kind:     by_value
      - .address_space:  global
        .offset:         24
        .size:           8
        .value_kind:     global_buffer
      - .offset:         32
        .size:           8
        .value_kind:     by_value
      - .address_space:  global
        .offset:         40
        .size:           8
        .value_kind:     global_buffer
      - .address_space:  global
        .offset:         48
        .size:           8
        .value_kind:     global_buffer
      - .address_space:  global
        .offset:         56
        .size:           8
        .value_kind:     global_buffer
      - .offset:         64
        .size:           8
        .value_kind:     by_value
      - .offset:         72
        .size:           8
        .value_kind:     by_value
      - .offset:         80
        .size:           8
        .value_kind:     by_value
      - .offset:         88
        .size:           4
        .value_kind:     hidden_block_count_x
      - .offset:         92
        .size:           4
        .value_kind:     hidden_block_count_y
      - .offset:         96
        .size:           4
        .value_kind:     hidden_block_count_z
      - .offset:         100
        .size:           2
        .value_kind:     hidden_group_size_x
      - .offset:         102
        .size:           2
        .value_kind:     hidden_group_size_y
      - .offset:         104
        .size:           2
        .value_kind:     hidden_group_size_z
      - .offset:         106
        .size:           2
        .value_kind:     hidden_remainder_x
      - .offset:         108
        .size:           2
        .value_kind:     hidden_remainder_y
      - .offset:         110
        .size:           2
        .value_kind:     hidden_remainder_z
      - .offset:         128
        .size:           8
        .value_kind:     hidden_global_offset_x
      - .offset:         136
        .size:           8
        .value_kind:     hidden_global_offset_y
      - .offset:         144
        .size:           8
        .value_kind:     hidden_global_offset_z
      - .offset:         152
        .size:           2
        .value_kind:     hidden_grid_dims
    .group_segment_fixed_size: 4096
    .kernarg_segment_align: 8
    .kernarg_segment_size: 344
    .language:       OpenCL C
    .language_version:
      - 2
      - 0
    .max_flat_workgroup_size: 512
    .name:           _ZN9rocsolver6v33100L32stedc_mergeValues_Rescale_kernelIdEEviiPT_lS3_lS3_S3_PiS2_S2_S2_
    .private_segment_fixed_size: 0
    .sgpr_count:     26
    .sgpr_spill_count: 0
    .symbol:         _ZN9rocsolver6v33100L32stedc_mergeValues_Rescale_kernelIdEEviiPT_lS3_lS3_S3_PiS2_S2_S2_.kd
    .uniform_work_group_size: 1
    .uses_dynamic_stack: false
    .vgpr_count:     17
    .vgpr_spill_count: 0
    .wavefront_size: 32
    .workgroup_processor_mode: 1
  - .args:
      - .offset:         0
        .size:           4
        .value_kind:     by_value
      - .offset:         4
        .size:           4
        .value_kind:     by_value
      - .address_space:  global
        .offset:         8
        .size:           8
        .value_kind:     global_buffer
      - .offset:         16
        .size:           4
        .value_kind:     by_value
      - .offset:         20
        .size:           4
        .value_kind:     by_value
      - .offset:         24
        .size:           8
        .value_kind:     by_value
      - .address_space:  global
        .offset:         32
        .size:           8
        .value_kind:     global_buffer
      - .address_space:  global
        .offset:         40
        .size:           8
        .value_kind:     global_buffer
      - .address_space:  global
        .offset:         48
        .size:           8
        .value_kind:     global_buffer
      - .offset:         56
        .size:           4
        .value_kind:     hidden_block_count_x
      - .offset:         60
        .size:           4
        .value_kind:     hidden_block_count_y
      - .offset:         64
        .size:           4
        .value_kind:     hidden_block_count_z
      - .offset:         68
        .size:           2
        .value_kind:     hidden_group_size_x
      - .offset:         70
        .size:           2
        .value_kind:     hidden_group_size_y
      - .offset:         72
        .size:           2
        .value_kind:     hidden_group_size_z
      - .offset:         74
        .size:           2
        .value_kind:     hidden_remainder_x
      - .offset:         76
        .size:           2
        .value_kind:     hidden_remainder_y
      - .offset:         78
        .size:           2
        .value_kind:     hidden_remainder_z
      - .offset:         96
        .size:           8
        .value_kind:     hidden_global_offset_x
      - .offset:         104
        .size:           8
        .value_kind:     hidden_global_offset_y
      - .offset:         112
        .size:           8
        .value_kind:     hidden_global_offset_z
      - .offset:         120
        .size:           2
        .value_kind:     hidden_grid_dims
    .group_segment_fixed_size: 4096
    .kernarg_segment_align: 8
    .kernarg_segment_size: 312
    .language:       OpenCL C
    .language_version:
      - 2
      - 0
    .max_flat_workgroup_size: 512
    .name:           _ZN9rocsolver6v33100L25stedc_mergeVectors_kernelILb1EdEEviiPT0_iilS3_S3_Pi
    .private_segment_fixed_size: 0
    .sgpr_count:     27
    .sgpr_spill_count: 0
    .symbol:         _ZN9rocsolver6v33100L25stedc_mergeVectors_kernelILb1EdEEviiPT0_iilS3_S3_Pi.kd
    .uniform_work_group_size: 1
    .uses_dynamic_stack: false
    .vgpr_count:     22
    .vgpr_spill_count: 0
    .wavefront_size: 32
    .workgroup_processor_mode: 1
  - .args:
      - .offset:         0
        .size:           4
        .value_kind:     by_value
      - .offset:         4
        .size:           4
        .value_kind:     by_value
      - .address_space:  global
        .offset:         8
        .size:           8
        .value_kind:     global_buffer
      - .offset:         16
        .size:           8
        .value_kind:     by_value
      - .address_space:  global
        .offset:         24
        .size:           8
        .value_kind:     global_buffer
      - .offset:         32
        .size:           4
        .value_kind:     by_value
      - .offset:         36
        .size:           4
        .value_kind:     by_value
      - .offset:         40
        .size:           8
        .value_kind:     by_value
      - .address_space:  global
        .offset:         48
        .size:           8
        .value_kind:     global_buffer
      - .address_space:  global
        .offset:         56
        .size:           8
        .value_kind:     global_buffer
      - .address_space:  global
        .offset:         64
        .size:           8
        .value_kind:     global_buffer
      - .offset:         72
        .size:           4
        .value_kind:     hidden_block_count_x
      - .offset:         76
        .size:           4
        .value_kind:     hidden_block_count_y
      - .offset:         80
        .size:           4
        .value_kind:     hidden_block_count_z
      - .offset:         84
        .size:           2
        .value_kind:     hidden_group_size_x
      - .offset:         86
        .size:           2
        .value_kind:     hidden_group_size_y
      - .offset:         88
        .size:           2
        .value_kind:     hidden_group_size_z
      - .offset:         90
        .size:           2
        .value_kind:     hidden_remainder_x
      - .offset:         92
        .size:           2
        .value_kind:     hidden_remainder_y
      - .offset:         94
        .size:           2
        .value_kind:     hidden_remainder_z
      - .offset:         112
        .size:           8
        .value_kind:     hidden_global_offset_x
      - .offset:         120
        .size:           8
        .value_kind:     hidden_global_offset_y
      - .offset:         128
        .size:           8
        .value_kind:     hidden_global_offset_z
      - .offset:         136
        .size:           2
        .value_kind:     hidden_grid_dims
    .group_segment_fixed_size: 0
    .kernarg_segment_align: 8
    .kernarg_segment_size: 328
    .language:       OpenCL C
    .language_version:
      - 2
      - 0
    .max_flat_workgroup_size: 512
    .name:           _ZN9rocsolver6v33100L24stedc_mergeUpdate_kernelIdEEviiPT_lS3_iilS3_S3_Pi
    .private_segment_fixed_size: 0
    .sgpr_count:     30
    .sgpr_spill_count: 0
    .symbol:         _ZN9rocsolver6v33100L24stedc_mergeUpdate_kernelIdEEviiPT_lS3_iilS3_S3_Pi.kd
    .uniform_work_group_size: 1
    .uses_dynamic_stack: false
    .vgpr_count:     5
    .vgpr_spill_count: 0
    .wavefront_size: 32
    .workgroup_processor_mode: 1
  - .args:
      - .offset:         0
        .size:           4
        .value_kind:     by_value
      - .address_space:  global
        .offset:         8
        .size:           8
        .value_kind:     global_buffer
      - .offset:         16
        .size:           8
        .value_kind:     by_value
      - .address_space:  global
        .offset:         24
        .size:           8
        .value_kind:     global_buffer
      - .offset:         32
        .size:           8
        .value_kind:     by_value
      - .offset:         40
        .size:           4
        .value_kind:     hidden_block_count_x
      - .offset:         44
        .size:           4
        .value_kind:     hidden_block_count_y
      - .offset:         48
        .size:           4
        .value_kind:     hidden_block_count_z
      - .offset:         52
        .size:           2
        .value_kind:     hidden_group_size_x
      - .offset:         54
        .size:           2
        .value_kind:     hidden_group_size_y
      - .offset:         56
        .size:           2
        .value_kind:     hidden_group_size_z
      - .offset:         58
        .size:           2
        .value_kind:     hidden_remainder_x
      - .offset:         60
        .size:           2
        .value_kind:     hidden_remainder_y
      - .offset:         62
        .size:           2
        .value_kind:     hidden_remainder_z
      - .offset:         80
        .size:           8
        .value_kind:     hidden_global_offset_x
      - .offset:         88
        .size:           8
        .value_kind:     hidden_global_offset_y
      - .offset:         96
        .size:           8
        .value_kind:     hidden_global_offset_z
      - .offset:         104
        .size:           2
        .value_kind:     hidden_grid_dims
    .group_segment_fixed_size: 0
    .kernarg_segment_align: 8
    .kernarg_segment_size: 296
    .language:       OpenCL C
    .language_version:
      - 2
      - 0
    .max_flat_workgroup_size: 512
    .name:           _ZN9rocsolver6v33100L11stedc_copyDIdEEviPT_lS3_l
    .private_segment_fixed_size: 0
    .sgpr_count:     42
    .sgpr_spill_count: 0
    .symbol:         _ZN9rocsolver6v33100L11stedc_copyDIdEEviPT_lS3_l.kd
    .uniform_work_group_size: 1
    .uses_dynamic_stack: false
    .vgpr_count:     66
    .vgpr_spill_count: 0
    .wavefront_size: 32
    .workgroup_processor_mode: 1
  - .args:
      - .offset:         0
        .size:           4
        .value_kind:     by_value
      - .address_space:  global
        .offset:         8
        .size:           8
        .value_kind:     global_buffer
      - .offset:         16
        .size:           8
        .value_kind:     by_value
      - .address_space:  global
        .offset:         24
        .size:           8
        .value_kind:     global_buffer
      - .offset:         32
        .size:           8
        .value_kind:     by_value
      - .address_space:  global
        .offset:         40
        .size:           8
        .value_kind:     global_buffer
      - .offset:         48
        .size:           4
        .value_kind:     by_value
      - .offset:         52
        .size:           4
        .value_kind:     by_value
      - .offset:         56
        .size:           8
        .value_kind:     by_value
      - .address_space:  global
        .offset:         64
        .size:           8
        .value_kind:     global_buffer
      - .offset:         72
        .size:           4
        .value_kind:     by_value
      - .offset:         76
        .size:           4
        .value_kind:     by_value
      - .offset:         80
        .size:           8
        .value_kind:     by_value
      - .offset:         88
        .size:           4
        .value_kind:     hidden_block_count_x
      - .offset:         92
        .size:           4
        .value_kind:     hidden_block_count_y
      - .offset:         96
        .size:           4
        .value_kind:     hidden_block_count_z
      - .offset:         100
        .size:           2
        .value_kind:     hidden_group_size_x
      - .offset:         102
        .size:           2
        .value_kind:     hidden_group_size_y
      - .offset:         104
        .size:           2
        .value_kind:     hidden_group_size_z
      - .offset:         106
        .size:           2
        .value_kind:     hidden_remainder_x
      - .offset:         108
        .size:           2
        .value_kind:     hidden_remainder_y
      - .offset:         110
        .size:           2
        .value_kind:     hidden_remainder_z
      - .offset:         128
        .size:           8
        .value_kind:     hidden_global_offset_x
      - .offset:         136
        .size:           8
        .value_kind:     hidden_global_offset_y
      - .offset:         144
        .size:           8
        .value_kind:     hidden_global_offset_z
      - .offset:         152
        .size:           2
        .value_kind:     hidden_grid_dims
    .group_segment_fixed_size: 2048
    .kernarg_segment_align: 8
    .kernarg_segment_size: 344
    .language:       OpenCL C
    .language_version:
      - 2
      - 0
    .max_flat_workgroup_size: 512
    .name:           _ZN9rocsolver6v33100L10stedc_sortIddPdS2_EEviPT0_lS4_lT1_iilT2_iil
    .private_segment_fixed_size: 0
    .sgpr_count:     58
    .sgpr_spill_count: 0
    .symbol:         _ZN9rocsolver6v33100L10stedc_sortIddPdS2_EEviPT0_lS4_lT1_iilT2_iil.kd
    .uniform_work_group_size: 1
    .uses_dynamic_stack: false
    .vgpr_count:     67
    .vgpr_spill_count: 0
    .wavefront_size: 32
    .workgroup_processor_mode: 1
  - .args:
      - .offset:         0
        .size:           4
        .value_kind:     by_value
      - .offset:         4
        .size:           4
        .value_kind:     by_value
      - .address_space:  global
        .offset:         8
        .size:           8
        .value_kind:     global_buffer
      - .offset:         16
        .size:           8
        .value_kind:     by_value
      - .offset:         24
        .size:           4
        .value_kind:     by_value
      - .offset:         32
        .size:           8
        .value_kind:     by_value
    .group_segment_fixed_size: 0
    .kernarg_segment_align: 8
    .kernarg_segment_size: 40
    .language:       OpenCL C
    .language_version:
      - 2
      - 0
    .max_flat_workgroup_size: 1024
    .name:           _ZN9rocsolver6v33100L13conj_in_placeIdiPdTnNSt9enable_ifIXnt18rocblas_is_complexIT_EEiE4typeELi0EEEvT0_S7_T1_lS7_l
    .private_segment_fixed_size: 0
    .sgpr_count:     0
    .sgpr_spill_count: 0
    .symbol:         _ZN9rocsolver6v33100L13conj_in_placeIdiPdTnNSt9enable_ifIXnt18rocblas_is_complexIT_EEiE4typeELi0EEEvT0_S7_T1_lS7_l.kd
    .uniform_work_group_size: 1
    .uses_dynamic_stack: false
    .vgpr_count:     0
    .vgpr_spill_count: 0
    .wavefront_size: 32
    .workgroup_processor_mode: 1
  - .args:
      - .offset:         0
        .size:           4
        .value_kind:     by_value
      - .offset:         4
        .size:           4
        .value_kind:     by_value
      - .address_space:  global
        .offset:         8
        .size:           8
        .value_kind:     global_buffer
      - .offset:         16
        .size:           8
        .value_kind:     by_value
      - .offset:         24
        .size:           4
        .value_kind:     by_value
      - .offset:         32
        .size:           8
        .value_kind:     by_value
      - .address_space:  global
        .offset:         40
        .size:           8
        .value_kind:     global_buffer
      - .offset:         48
        .size:           8
        .value_kind:     by_value
      - .address_space:  global
        .offset:         56
        .size:           8
        .value_kind:     global_buffer
      - .offset:         64
        .size:           8
        .value_kind:     by_value
      - .offset:         72
        .size:           4
        .value_kind:     by_value
      - .offset:         80
        .size:           8
        .value_kind:     by_value
    .group_segment_fixed_size: 0
    .kernarg_segment_align: 8
    .kernarg_segment_size: 88
    .language:       OpenCL C
    .language_version:
      - 2
      - 0
    .max_flat_workgroup_size: 1024
    .name:           _ZN9rocsolver6v33100L16larf_left_kernelILi1024EdiPdEEvT1_S3_T2_lS3_lPKT0_lS4_lS3_l
    .private_segment_fixed_size: 0
    .sgpr_count:     32
    .sgpr_spill_count: 0
    .symbol:         _ZN9rocsolver6v33100L16larf_left_kernelILi1024EdiPdEEvT1_S3_T2_lS3_lPKT0_lS4_lS3_l.kd
    .uniform_work_group_size: 1
    .uses_dynamic_stack: false
    .vgpr_count:     15
    .vgpr_spill_count: 0
    .wavefront_size: 32
    .workgroup_processor_mode: 1
  - .args:
      - .offset:         0
        .size:           4
        .value_kind:     by_value
      - .offset:         4
        .size:           4
        .value_kind:     by_value
      - .address_space:  global
        .offset:         8
        .size:           8
        .value_kind:     global_buffer
      - .offset:         16
        .size:           8
        .value_kind:     by_value
      - .offset:         24
        .size:           4
        .value_kind:     by_value
      - .offset:         32
        .size:           8
        .value_kind:     by_value
      - .address_space:  global
        .offset:         40
        .size:           8
        .value_kind:     global_buffer
      - .offset:         48
        .size:           8
        .value_kind:     by_value
      - .address_space:  global
        .offset:         56
        .size:           8
        .value_kind:     global_buffer
      - .offset:         64
        .size:           8
        .value_kind:     by_value
      - .offset:         72
        .size:           4
        .value_kind:     by_value
      - .offset:         80
        .size:           8
        .value_kind:     by_value
    .group_segment_fixed_size: 0
    .kernarg_segment_align: 8
    .kernarg_segment_size: 88
    .language:       OpenCL C
    .language_version:
      - 2
      - 0
    .max_flat_workgroup_size: 1024
    .name:           _ZN9rocsolver6v33100L17larf_right_kernelILi1024EdiPdEEvT1_S3_T2_lS3_lPKT0_lS4_lS3_l
    .private_segment_fixed_size: 0
    .sgpr_count:     36
    .sgpr_spill_count: 0
    .symbol:         _ZN9rocsolver6v33100L17larf_right_kernelILi1024EdiPdEEvT1_S3_T2_lS3_lPKT0_lS4_lS3_l.kd
    .uniform_work_group_size: 1
    .uses_dynamic_stack: false
    .vgpr_count:     15
    .vgpr_spill_count: 0
    .wavefront_size: 32
    .workgroup_processor_mode: 1
  - .args:
      - .address_space:  global
        .offset:         0
        .size:           8
        .value_kind:     global_buffer
      - .offset:         8
        .size:           8
        .value_kind:     by_value
      - .offset:         16
        .size:           8
        .value_kind:     by_value
      - .address_space:  global
        .offset:         24
        .size:           8
        .value_kind:     global_buffer
      - .offset:         32
        .size:           8
        .value_kind:     by_value
      - .offset:         40
        .size:           4
        .value_kind:     by_value
      - .offset:         48
        .size:           8
        .value_kind:     by_value
      - .offset:         56
        .size:           4
        .value_kind:     by_value
      - .offset:         64
        .size:           4
        .value_kind:     hidden_block_count_x
      - .offset:         68
        .size:           4
        .value_kind:     hidden_block_count_y
      - .offset:         72
        .size:           4
        .value_kind:     hidden_block_count_z
      - .offset:         76
        .size:           2
        .value_kind:     hidden_group_size_x
      - .offset:         78
        .size:           2
        .value_kind:     hidden_group_size_y
      - .offset:         80
        .size:           2
        .value_kind:     hidden_group_size_z
      - .offset:         82
        .size:           2
        .value_kind:     hidden_remainder_x
      - .offset:         84
        .size:           2
        .value_kind:     hidden_remainder_y
      - .offset:         86
        .size:           2
        .value_kind:     hidden_remainder_z
      - .offset:         104
        .size:           8
        .value_kind:     hidden_global_offset_x
      - .offset:         112
        .size:           8
        .value_kind:     hidden_global_offset_y
      - .offset:         120
        .size:           8
        .value_kind:     hidden_global_offset_z
      - .offset:         128
        .size:           2
        .value_kind:     hidden_grid_dims
    .group_segment_fixed_size: 0
    .kernarg_segment_align: 8
    .kernarg_segment_size: 320
    .language:       OpenCL C
    .language_version:
      - 2
      - 0
    .max_flat_workgroup_size: 1024
    .name:           _ZN9rocsolver6v33100L12restore_diagIdidPdEEvPT1_llT2_lT0_lS6_
    .private_segment_fixed_size: 0
    .sgpr_count:     19
    .sgpr_spill_count: 0
    .symbol:         _ZN9rocsolver6v33100L12restore_diagIdidPdEEvPT1_llT2_lT0_lS6_.kd
    .uniform_work_group_size: 1
    .uses_dynamic_stack: false
    .vgpr_count:     4
    .vgpr_spill_count: 0
    .wavefront_size: 32
    .workgroup_processor_mode: 1
  - .args:
      - .offset:         0
        .size:           4
        .value_kind:     by_value
      - .offset:         4
        .size:           4
        .value_kind:     by_value
      - .address_space:  global
        .offset:         8
        .size:           8
        .value_kind:     global_buffer
      - .offset:         16
        .size:           4
        .value_kind:     by_value
      - .offset:         20
        .size:           4
        .value_kind:     by_value
      - .offset:         24
        .size:           8
        .value_kind:     by_value
      - .address_space:  global
        .offset:         32
        .size:           8
        .value_kind:     global_buffer
      - .offset:         40
        .size:           8
        .value_kind:     by_value
      - .address_space:  global
        .offset:         48
        .size:           8
        .value_kind:     global_buffer
      - .offset:         56
        .size:           4
        .value_kind:     by_value
      - .offset:         64
        .size:           8
        .value_kind:     by_value
      - .offset:         72
        .size:           4
        .value_kind:     by_value
      - .offset:         76
        .size:           4
        .value_kind:     by_value
      - .offset:         80
        .size:           1
        .value_kind:     by_value
      - .offset:         88
        .size:           4
        .value_kind:     hidden_block_count_x
      - .offset:         92
        .size:           4
        .value_kind:     hidden_block_count_y
      - .offset:         96
        .size:           4
        .value_kind:     hidden_block_count_z
      - .offset:         100
        .size:           2
        .value_kind:     hidden_group_size_x
      - .offset:         102
        .size:           2
        .value_kind:     hidden_group_size_y
      - .offset:         104
        .size:           2
        .value_kind:     hidden_group_size_z
      - .offset:         106
        .size:           2
        .value_kind:     hidden_remainder_x
      - .offset:         108
        .size:           2
        .value_kind:     hidden_remainder_y
      - .offset:         110
        .size:           2
        .value_kind:     hidden_remainder_z
      - .offset:         128
        .size:           8
        .value_kind:     hidden_global_offset_x
      - .offset:         136
        .size:           8
        .value_kind:     hidden_global_offset_y
      - .offset:         144
        .size:           8
        .value_kind:     hidden_global_offset_z
      - .offset:         152
        .size:           2
        .value_kind:     hidden_grid_dims
    .group_segment_fixed_size: 0
    .kernarg_segment_align: 8
    .kernarg_segment_size: 344
    .language:       OpenCL C
    .language_version:
      - 2
      - 0
    .max_flat_workgroup_size: 1024
    .name:           _ZN9rocsolver6v33100L14set_triangularIdPdTnNSt9enable_ifIXnt18rocblas_is_complexIT_EEiE4typeELi0EEEviiT0_iilPS4_lS8_il15rocblas_direct_15rocblas_storev_b
    .private_segment_fixed_size: 0
    .sgpr_count:     24
    .sgpr_spill_count: 0
    .symbol:         _ZN9rocsolver6v33100L14set_triangularIdPdTnNSt9enable_ifIXnt18rocblas_is_complexIT_EEiE4typeELi0EEEviiT0_iilPS4_lS8_il15rocblas_direct_15rocblas_storev_b.kd
    .uniform_work_group_size: 1
    .uses_dynamic_stack: false
    .vgpr_count:     15
    .vgpr_spill_count: 0
    .wavefront_size: 32
    .workgroup_processor_mode: 1
  - .args:
      - .offset:         0
        .size:           4
        .value_kind:     by_value
      - .address_space:  global
        .offset:         8
        .size:           8
        .value_kind:     global_buffer
      - .offset:         16
        .size:           8
        .value_kind:     by_value
      - .offset:         24
        .size:           4
        .value_kind:     hidden_block_count_x
      - .offset:         28
        .size:           4
        .value_kind:     hidden_block_count_y
      - .offset:         32
        .size:           4
        .value_kind:     hidden_block_count_z
      - .offset:         36
        .size:           2
        .value_kind:     hidden_group_size_x
      - .offset:         38
        .size:           2
        .value_kind:     hidden_group_size_y
      - .offset:         40
        .size:           2
        .value_kind:     hidden_group_size_z
      - .offset:         42
        .size:           2
        .value_kind:     hidden_remainder_x
      - .offset:         44
        .size:           2
        .value_kind:     hidden_remainder_y
      - .offset:         46
        .size:           2
        .value_kind:     hidden_remainder_z
      - .offset:         64
        .size:           8
        .value_kind:     hidden_global_offset_x
      - .offset:         72
        .size:           8
        .value_kind:     hidden_global_offset_y
      - .offset:         80
        .size:           8
        .value_kind:     hidden_global_offset_z
      - .offset:         88
        .size:           2
        .value_kind:     hidden_grid_dims
    .group_segment_fixed_size: 0
    .kernarg_segment_align: 8
    .kernarg_segment_size: 280
    .language:       OpenCL C
    .language_version:
      - 2
      - 0
    .max_flat_workgroup_size: 1024
    .name:           _ZN9rocsolver6v33100L7set_tauIdEEviPT_l
    .private_segment_fixed_size: 0
    .sgpr_count:     18
    .sgpr_spill_count: 0
    .symbol:         _ZN9rocsolver6v33100L7set_tauIdEEviPT_l.kd
    .uniform_work_group_size: 1
    .uses_dynamic_stack: false
    .vgpr_count:     4
    .vgpr_spill_count: 0
    .wavefront_size: 32
    .workgroup_processor_mode: 1
  - .args:
      - .offset:         0
        .size:           4
        .value_kind:     by_value
      - .offset:         4
        .size:           4
        .value_kind:     by_value
      - .offset:         8
        .size:           4
        .value_kind:     by_value
      - .address_space:  global
        .offset:         16
        .size:           8
        .value_kind:     global_buffer
      - .offset:         24
        .size:           4
        .value_kind:     by_value
      - .offset:         28
        .size:           4
        .value_kind:     by_value
      - .offset:         32
        .size:           8
        .value_kind:     by_value
      - .address_space:  global
        .offset:         40
        .size:           8
        .value_kind:     global_buffer
      - .offset:         48
        .size:           8
        .value_kind:     by_value
      - .address_space:  global
        .offset:         56
        .size:           8
        .value_kind:     global_buffer
      - .offset:         64
        .size:           4
        .value_kind:     by_value
      - .offset:         72
        .size:           8
        .value_kind:     by_value
      - .offset:         80
        .size:           4
        .value_kind:     hidden_block_count_x
      - .offset:         84
        .size:           4
        .value_kind:     hidden_block_count_y
      - .offset:         88
        .size:           4
        .value_kind:     hidden_block_count_z
      - .offset:         92
        .size:           2
        .value_kind:     hidden_group_size_x
      - .offset:         94
        .size:           2
        .value_kind:     hidden_group_size_y
      - .offset:         96
        .size:           2
        .value_kind:     hidden_group_size_z
      - .offset:         98
        .size:           2
        .value_kind:     hidden_remainder_x
      - .offset:         100
        .size:           2
        .value_kind:     hidden_remainder_y
      - .offset:         102
        .size:           2
        .value_kind:     hidden_remainder_z
      - .offset:         120
        .size:           8
        .value_kind:     hidden_global_offset_x
      - .offset:         128
        .size:           8
        .value_kind:     hidden_global_offset_y
      - .offset:         136
        .size:           8
        .value_kind:     hidden_global_offset_z
      - .offset:         144
        .size:           2
        .value_kind:     hidden_grid_dims
      - .offset:         200
        .size:           4
        .value_kind:     hidden_dynamic_lds_size
    .group_segment_fixed_size: 0
    .kernarg_segment_align: 8
    .kernarg_segment_size: 336
    .language:       OpenCL C
    .language_version:
      - 2
      - 0
    .max_flat_workgroup_size: 1024
    .name:           _ZN9rocsolver6v33100L20larft_kernel_forwardIdPdEEv15rocblas_storev_iiT0_iilPT_lS6_il
    .private_segment_fixed_size: 0
    .sgpr_count:     46
    .sgpr_spill_count: 0
    .symbol:         _ZN9rocsolver6v33100L20larft_kernel_forwardIdPdEEv15rocblas_storev_iiT0_iilPT_lS6_il.kd
    .uniform_work_group_size: 1
    .uses_dynamic_stack: false
    .vgpr_count:     19
    .vgpr_spill_count: 0
    .wavefront_size: 32
    .workgroup_processor_mode: 1
  - .args:
      - .offset:         0
        .size:           4
        .value_kind:     by_value
      - .offset:         4
        .size:           4
        .value_kind:     by_value
      - .offset:         8
        .size:           4
        .value_kind:     by_value
      - .address_space:  global
        .offset:         16
        .size:           8
        .value_kind:     global_buffer
      - .offset:         24
        .size:           4
        .value_kind:     by_value
      - .offset:         28
        .size:           4
        .value_kind:     by_value
      - .offset:         32
        .size:           8
        .value_kind:     by_value
      - .address_space:  global
        .offset:         40
        .size:           8
        .value_kind:     global_buffer
      - .offset:         48
        .size:           8
        .value_kind:     by_value
      - .address_space:  global
        .offset:         56
        .size:           8
        .value_kind:     global_buffer
      - .offset:         64
        .size:           4
        .value_kind:     by_value
      - .offset:         72
        .size:           8
        .value_kind:     by_value
      - .offset:         80
        .size:           4
        .value_kind:     hidden_block_count_x
      - .offset:         84
        .size:           4
        .value_kind:     hidden_block_count_y
      - .offset:         88
        .size:           4
        .value_kind:     hidden_block_count_z
      - .offset:         92
        .size:           2
        .value_kind:     hidden_group_size_x
      - .offset:         94
        .size:           2
        .value_kind:     hidden_group_size_y
      - .offset:         96
        .size:           2
        .value_kind:     hidden_group_size_z
      - .offset:         98
        .size:           2
        .value_kind:     hidden_remainder_x
      - .offset:         100
        .size:           2
        .value_kind:     hidden_remainder_y
      - .offset:         102
        .size:           2
        .value_kind:     hidden_remainder_z
      - .offset:         120
        .size:           8
        .value_kind:     hidden_global_offset_x
      - .offset:         128
        .size:           8
        .value_kind:     hidden_global_offset_y
      - .offset:         136
        .size:           8
        .value_kind:     hidden_global_offset_z
      - .offset:         144
        .size:           2
        .value_kind:     hidden_grid_dims
      - .offset:         200
        .size:           4
        .value_kind:     hidden_dynamic_lds_size
    .group_segment_fixed_size: 0
    .kernarg_segment_align: 8
    .kernarg_segment_size: 336
    .language:       OpenCL C
    .language_version:
      - 2
      - 0
    .max_flat_workgroup_size: 1024
    .name:           _ZN9rocsolver6v33100L21larft_kernel_backwardIdPdEEv15rocblas_storev_iiT0_iilPT_lS6_il
    .private_segment_fixed_size: 0
    .sgpr_count:     48
    .sgpr_spill_count: 0
    .symbol:         _ZN9rocsolver6v33100L21larft_kernel_backwardIdPdEEv15rocblas_storev_iiT0_iilPT_lS6_il.kd
    .uniform_work_group_size: 1
    .uses_dynamic_stack: false
    .vgpr_count:     16
    .vgpr_spill_count: 0
    .wavefront_size: 32
    .workgroup_processor_mode: 1
  - .args:
      - .offset:         0
        .size:           4
        .value_kind:     by_value
      - .offset:         4
        .size:           4
        .value_kind:     by_value
      - .address_space:  global
        .offset:         8
        .size:           8
        .value_kind:     global_buffer
      - .offset:         16
        .size:           4
        .value_kind:     by_value
      - .offset:         20
        .size:           4
        .value_kind:     by_value
      - .offset:         24
        .size:           8
        .value_kind:     by_value
      - .address_space:  global
        .offset:         32
        .size:           8
        .value_kind:     global_buffer
      - .offset:         40
        .size:           4
        .value_kind:     hidden_block_count_x
      - .offset:         44
        .size:           4
        .value_kind:     hidden_block_count_y
      - .offset:         48
        .size:           4
        .value_kind:     hidden_block_count_z
      - .offset:         52
        .size:           2
        .value_kind:     hidden_group_size_x
      - .offset:         54
        .size:           2
        .value_kind:     hidden_group_size_y
      - .offset:         56
        .size:           2
        .value_kind:     hidden_group_size_z
      - .offset:         58
        .size:           2
        .value_kind:     hidden_remainder_x
      - .offset:         60
        .size:           2
        .value_kind:     hidden_remainder_y
      - .offset:         62
        .size:           2
        .value_kind:     hidden_remainder_z
      - .offset:         80
        .size:           8
        .value_kind:     hidden_global_offset_x
      - .offset:         88
        .size:           8
        .value_kind:     hidden_global_offset_y
      - .offset:         96
        .size:           8
        .value_kind:     hidden_global_offset_z
      - .offset:         104
        .size:           2
        .value_kind:     hidden_grid_dims
    .group_segment_fixed_size: 0
    .kernarg_segment_align: 8
    .kernarg_segment_size: 296
    .language:       OpenCL C
    .language_version:
      - 2
      - 0
    .max_flat_workgroup_size: 1024
    .name:           _ZN9rocsolver6v33100L9copymatA1IdPdEEviiT0_iilPT_
    .private_segment_fixed_size: 0
    .sgpr_count:     18
    .sgpr_spill_count: 0
    .symbol:         _ZN9rocsolver6v33100L9copymatA1IdPdEEviiT0_iilPT_.kd
    .uniform_work_group_size: 1
    .uses_dynamic_stack: false
    .vgpr_count:     8
    .vgpr_spill_count: 0
    .wavefront_size: 32
    .workgroup_processor_mode: 1
  - .args:
      - .offset:         0
        .size:           4
        .value_kind:     by_value
      - .offset:         4
        .size:           4
        .value_kind:     by_value
      - .address_space:  global
        .offset:         8
        .size:           8
        .value_kind:     global_buffer
      - .offset:         16
        .size:           4
        .value_kind:     by_value
      - .offset:         20
        .size:           4
        .value_kind:     by_value
      - .offset:         24
        .size:           8
        .value_kind:     by_value
      - .address_space:  global
        .offset:         32
        .size:           8
        .value_kind:     global_buffer
      - .offset:         40
        .size:           4
        .value_kind:     hidden_block_count_x
      - .offset:         44
        .size:           4
        .value_kind:     hidden_block_count_y
      - .offset:         48
        .size:           4
        .value_kind:     hidden_block_count_z
      - .offset:         52
        .size:           2
        .value_kind:     hidden_group_size_x
      - .offset:         54
        .size:           2
        .value_kind:     hidden_group_size_y
      - .offset:         56
        .size:           2
        .value_kind:     hidden_group_size_z
      - .offset:         58
        .size:           2
        .value_kind:     hidden_remainder_x
      - .offset:         60
        .size:           2
        .value_kind:     hidden_remainder_y
      - .offset:         62
        .size:           2
        .value_kind:     hidden_remainder_z
      - .offset:         80
        .size:           8
        .value_kind:     hidden_global_offset_x
      - .offset:         88
        .size:           8
        .value_kind:     hidden_global_offset_y
      - .offset:         96
        .size:           8
        .value_kind:     hidden_global_offset_z
      - .offset:         104
        .size:           2
        .value_kind:     hidden_grid_dims
    .group_segment_fixed_size: 0
    .kernarg_segment_align: 8
    .kernarg_segment_size: 296
    .language:       OpenCL C
    .language_version:
      - 2
      - 0
    .max_flat_workgroup_size: 1024
    .name:           _ZN9rocsolver6v33100L8addmatA1IdPdEEviiT0_iilPT_
    .private_segment_fixed_size: 0
    .sgpr_count:     18
    .sgpr_spill_count: 0
    .symbol:         _ZN9rocsolver6v33100L8addmatA1IdPdEEviiT0_iilPT_.kd
    .uniform_work_group_size: 1
    .uses_dynamic_stack: false
    .vgpr_count:     6
    .vgpr_spill_count: 0
    .wavefront_size: 32
    .workgroup_processor_mode: 1
  - .args:
      - .offset:         0
        .size:           4
        .value_kind:     by_value
      - .offset:         4
        .size:           4
        .value_kind:     by_value
      - .address_space:  global
        .offset:         8
        .size:           8
        .value_kind:     global_buffer
      - .offset:         16
        .size:           4
        .value_kind:     by_value
      - .offset:         20
        .size:           4
        .value_kind:     by_value
      - .offset:         24
        .size:           8
        .value_kind:     by_value
      - .address_space:  global
        .offset:         32
        .size:           8
        .value_kind:     global_buffer
      - .offset:         40
        .size:           4
        .value_kind:     by_value
      - .offset:         44
        .size:           4
        .value_kind:     by_value
      - .offset:         48
        .size:           8
        .value_kind:     by_value
      - .offset:         56
        .size:           1
        .value_kind:     by_value
      - .offset:         60
        .size:           4
        .value_kind:     by_value
      - .offset:         64
        .size:           4
        .value_kind:     by_value
      - .offset:         72
        .size:           4
        .value_kind:     hidden_block_count_x
      - .offset:         76
        .size:           4
        .value_kind:     hidden_block_count_y
      - .offset:         80
        .size:           4
        .value_kind:     hidden_block_count_z
      - .offset:         84
        .size:           2
        .value_kind:     hidden_group_size_x
      - .offset:         86
        .size:           2
        .value_kind:     hidden_group_size_y
      - .offset:         88
        .size:           2
        .value_kind:     hidden_group_size_z
      - .offset:         90
        .size:           2
        .value_kind:     hidden_remainder_x
      - .offset:         92
        .size:           2
        .value_kind:     hidden_remainder_y
      - .offset:         94
        .size:           2
        .value_kind:     hidden_remainder_z
      - .offset:         112
        .size:           8
        .value_kind:     hidden_global_offset_x
      - .offset:         120
        .size:           8
        .value_kind:     hidden_global_offset_y
      - .offset:         128
        .size:           8
        .value_kind:     hidden_global_offset_z
      - .offset:         136
        .size:           2
        .value_kind:     hidden_grid_dims
    .group_segment_fixed_size: 0
    .kernarg_segment_align: 8
    .kernarg_segment_size: 328
    .language:       OpenCL C
    .language_version:
      - 2
      - 0
    .max_flat_workgroup_size: 1024
    .name:           _ZN9rocsolver6v33100L8copy_matIdPdS2_NS0_7no_maskEEEviiT0_iilT1_iilT2_13rocblas_fill_17rocblas_diagonal_
    .private_segment_fixed_size: 0
    .sgpr_count:     18
    .sgpr_spill_count: 0
    .symbol:         _ZN9rocsolver6v33100L8copy_matIdPdS2_NS0_7no_maskEEEviiT0_iilT1_iilT2_13rocblas_fill_17rocblas_diagonal_.kd
    .uniform_work_group_size: 1
    .uses_dynamic_stack: false
    .vgpr_count:     8
    .vgpr_spill_count: 0
    .wavefront_size: 32
    .workgroup_processor_mode: 1
  - .args:
      - .offset:         0
        .size:           4
        .value_kind:     by_value
      - .offset:         4
        .size:           4
        .value_kind:     by_value
      - .address_space:  global
        .offset:         8
        .size:           8
        .value_kind:     global_buffer
      - .offset:         16
        .size:           8
        .value_kind:     by_value
      - .offset:         24
        .size:           4
        .value_kind:     by_value
      - .offset:         32
        .size:           8
        .value_kind:     by_value
      - .address_space:  global
        .offset:         40
        .size:           8
        .value_kind:     global_buffer
      - .offset:         48
        .size:           8
        .value_kind:     by_value
      - .address_space:  global
        .offset:         56
        .size:           8
        .value_kind:     global_buffer
      - .offset:         64
        .size:           8
        .value_kind:     by_value
    .group_segment_fixed_size: 0
    .kernarg_segment_align: 8
    .kernarg_segment_size: 72
    .language:       OpenCL C
    .language_version:
      - 2
      - 0
    .max_flat_workgroup_size: 256
    .name:           _ZN9rocsolver6v33100L18geqr2_kernel_smallILi256EdidPdEEvT1_S3_T3_lS3_lPT2_lPT0_l
    .private_segment_fixed_size: 0
    .sgpr_count:     42
    .sgpr_spill_count: 0
    .symbol:         _ZN9rocsolver6v33100L18geqr2_kernel_smallILi256EdidPdEEvT1_S3_T3_lS3_lPT2_lPT0_l.kd
    .uniform_work_group_size: 1
    .uses_dynamic_stack: false
    .vgpr_count:     36
    .vgpr_spill_count: 0
    .wavefront_size: 32
    .workgroup_processor_mode: 1
  - .args:
      - .offset:         0
        .size:           4
        .value_kind:     by_value
      - .address_space:  global
        .offset:         8
        .size:           8
        .value_kind:     global_buffer
      - .offset:         16
        .size:           8
        .value_kind:     by_value
      - .address_space:  global
        .offset:         24
        .size:           8
        .value_kind:     global_buffer
      - .offset:         32
        .size:           4
        .value_kind:     by_value
      - .offset:         40
        .size:           8
        .value_kind:     by_value
      - .address_space:  global
        .offset:         48
        .size:           8
        .value_kind:     global_buffer
      - .offset:         56
        .size:           4
        .value_kind:     by_value
      - .offset:         64
        .size:           8
        .value_kind:     by_value
      - .offset:         72
        .size:           4
        .value_kind:     by_value
      - .offset:         80
        .size:           4
        .value_kind:     hidden_block_count_x
      - .offset:         84
        .size:           4
        .value_kind:     hidden_block_count_y
      - .offset:         88
        .size:           4
        .value_kind:     hidden_block_count_z
      - .offset:         92
        .size:           2
        .value_kind:     hidden_group_size_x
      - .offset:         94
        .size:           2
        .value_kind:     hidden_group_size_y
      - .offset:         96
        .size:           2
        .value_kind:     hidden_group_size_z
      - .offset:         98
        .size:           2
        .value_kind:     hidden_remainder_x
      - .offset:         100
        .size:           2
        .value_kind:     hidden_remainder_y
      - .offset:         102
        .size:           2
        .value_kind:     hidden_remainder_z
      - .offset:         120
        .size:           8
        .value_kind:     hidden_global_offset_x
      - .offset:         128
        .size:           8
        .value_kind:     hidden_global_offset_y
      - .offset:         136
        .size:           8
        .value_kind:     hidden_global_offset_z
      - .offset:         144
        .size:           2
        .value_kind:     hidden_grid_dims
    .group_segment_fixed_size: 0
    .kernarg_segment_align: 8
    .kernarg_segment_size: 336
    .language:       OpenCL C
    .language_version:
      - 2
      - 0
    .max_flat_workgroup_size: 1024
    .name:           _ZN9rocsolver6v33100L16gesdd_flip_signsIddEEviPT0_lPT_ilS5_ili
    .private_segment_fixed_size: 0
    .sgpr_count:     40
    .sgpr_spill_count: 0
    .symbol:         _ZN9rocsolver6v33100L16gesdd_flip_signsIddEEviPT0_lPT_ilS5_ili.kd
    .uniform_work_group_size: 1
    .uses_dynamic_stack: false
    .vgpr_count:     11
    .vgpr_spill_count: 0
    .wavefront_size: 32
    .workgroup_processor_mode: 1
  - .args:
      - .offset:         0
        .size:           4
        .value_kind:     by_value
      - .offset:         4
        .size:           4
        .value_kind:     by_value
      - .offset:         8
        .size:           4
        .value_kind:     by_value
      - .address_space:  global
        .offset:         16
        .size:           8
        .value_kind:     global_buffer
      - .offset:         24
        .size:           4
        .value_kind:     by_value
      - .offset:         28
        .size:           4
        .value_kind:     by_value
      - .offset:         32
        .size:           8
        .value_kind:     by_value
      - .offset:         40
        .size:           4
        .value_kind:     hidden_block_count_x
      - .offset:         44
        .size:           4
        .value_kind:     hidden_block_count_y
      - .offset:         48
        .size:           4
        .value_kind:     hidden_block_count_z
      - .offset:         52
        .size:           2
        .value_kind:     hidden_group_size_x
      - .offset:         54
        .size:           2
        .value_kind:     hidden_group_size_y
      - .offset:         56
        .size:           2
        .value_kind:     hidden_group_size_z
      - .offset:         58
        .size:           2
        .value_kind:     hidden_remainder_x
      - .offset:         60
        .size:           2
        .value_kind:     hidden_remainder_y
      - .offset:         62
        .size:           2
        .value_kind:     hidden_remainder_z
      - .offset:         80
        .size:           8
        .value_kind:     hidden_global_offset_x
      - .offset:         88
        .size:           8
        .value_kind:     hidden_global_offset_y
      - .offset:         96
        .size:           8
        .value_kind:     hidden_global_offset_z
      - .offset:         104
        .size:           2
        .value_kind:     hidden_grid_dims
    .group_segment_fixed_size: 0
    .kernarg_segment_align: 8
    .kernarg_segment_size: 296
    .language:       OpenCL C
    .language_version:
      - 2
      - 0
    .max_flat_workgroup_size: 1024
    .name:           _ZN9rocsolver6v33100L16org2r_init_identIdPdEEviiiT0_iil
    .private_segment_fixed_size: 0
    .sgpr_count:     18
    .sgpr_spill_count: 0
    .symbol:         _ZN9rocsolver6v33100L16org2r_init_identIdPdEEviiiT0_iil.kd
    .uniform_work_group_size: 1
    .uses_dynamic_stack: false
    .vgpr_count:     8
    .vgpr_spill_count: 0
    .wavefront_size: 32
    .workgroup_processor_mode: 1
  - .args:
      - .offset:         0
        .size:           4
        .value_kind:     by_value
      - .offset:         4
        .size:           4
        .value_kind:     by_value
      - .address_space:  global
        .offset:         8
        .size:           8
        .value_kind:     global_buffer
      - .offset:         16
        .size:           4
        .value_kind:     by_value
      - .offset:         20
        .size:           4
        .value_kind:     by_value
      - .offset:         24
        .size:           8
        .value_kind:     by_value
      - .address_space:  global
        .offset:         32
        .size:           8
        .value_kind:     global_buffer
      - .offset:         40
        .size:           8
        .value_kind:     by_value
    .group_segment_fixed_size: 0
    .kernarg_segment_align: 8
    .kernarg_segment_size: 48
    .language:       OpenCL C
    .language_version:
      - 2
      - 0
    .max_flat_workgroup_size: 1024
    .name:           _ZN9rocsolver6v33100L12subtract_tauIdPdEEviiT0_iilPT_l
    .private_segment_fixed_size: 0
    .sgpr_count:     16
    .sgpr_spill_count: 0
    .symbol:         _ZN9rocsolver6v33100L12subtract_tauIdPdEEviiT0_iilPT_l.kd
    .uniform_work_group_size: 1
    .uses_dynamic_stack: false
    .vgpr_count:     5
    .vgpr_spill_count: 0
    .wavefront_size: 32
    .workgroup_processor_mode: 1
  - .args:
      - .offset:         0
        .size:           4
        .value_kind:     by_value
      - .address_space:  global
        .offset:         8
        .size:           8
        .value_kind:     global_buffer
      - .offset:         16
        .size:           8
        .value_kind:     by_value
      - .offset:         24
        .size:           4
        .value_kind:     hidden_block_count_x
      - .offset:         28
        .size:           4
        .value_kind:     hidden_block_count_y
      - .offset:         32
        .size:           4
        .value_kind:     hidden_block_count_z
      - .offset:         36
        .size:           2
        .value_kind:     hidden_group_size_x
      - .offset:         38
        .size:           2
        .value_kind:     hidden_group_size_y
      - .offset:         40
        .size:           2
        .value_kind:     hidden_group_size_z
      - .offset:         42
        .size:           2
        .value_kind:     hidden_remainder_x
      - .offset:         44
        .size:           2
        .value_kind:     hidden_remainder_y
      - .offset:         46
        .size:           2
        .value_kind:     hidden_remainder_z
      - .offset:         64
        .size:           8
        .value_kind:     hidden_global_offset_x
      - .offset:         72
        .size:           8
        .value_kind:     hidden_global_offset_y
      - .offset:         80
        .size:           8
        .value_kind:     hidden_global_offset_z
      - .offset:         88
        .size:           2
        .value_kind:     hidden_grid_dims
    .group_segment_fixed_size: 0
    .kernarg_segment_align: 8
    .kernarg_segment_size: 280
    .language:       OpenCL C
    .language_version:
      - 2
      - 0
    .max_flat_workgroup_size: 1024
    .name:           _ZN9rocsolver6v33100L6restauIdEEviPT_l
    .private_segment_fixed_size: 0
    .sgpr_count:     18
    .sgpr_spill_count: 0
    .symbol:         _ZN9rocsolver6v33100L6restauIdEEviPT_l.kd
    .uniform_work_group_size: 1
    .uses_dynamic_stack: false
    .vgpr_count:     4
    .vgpr_spill_count: 0
    .wavefront_size: 32
    .workgroup_processor_mode: 1
  - .args:
      - .offset:         0
        .size:           4
        .value_kind:     by_value
      - .offset:         4
        .size:           4
        .value_kind:     by_value
      - .address_space:  global
        .offset:         8
        .size:           8
        .value_kind:     global_buffer
      - .offset:         16
        .size:           4
        .value_kind:     by_value
      - .offset:         20
        .size:           4
        .value_kind:     by_value
      - .offset:         24
        .size:           8
        .value_kind:     by_value
      - .offset:         32
        .size:           4
        .value_kind:     by_value
      - .offset:         40
        .size:           4
        .value_kind:     hidden_block_count_x
      - .offset:         44
        .size:           4
        .value_kind:     hidden_block_count_y
      - .offset:         48
        .size:           4
        .value_kind:     hidden_block_count_z
      - .offset:         52
        .size:           2
        .value_kind:     hidden_group_size_x
      - .offset:         54
        .size:           2
        .value_kind:     hidden_group_size_y
      - .offset:         56
        .size:           2
        .value_kind:     hidden_group_size_z
      - .offset:         58
        .size:           2
        .value_kind:     hidden_remainder_x
      - .offset:         60
        .size:           2
        .value_kind:     hidden_remainder_y
      - .offset:         62
        .size:           2
        .value_kind:     hidden_remainder_z
      - .offset:         80
        .size:           8
        .value_kind:     hidden_global_offset_x
      - .offset:         88
        .size:           8
        .value_kind:     hidden_global_offset_y
      - .offset:         96
        .size:           8
        .value_kind:     hidden_global_offset_z
      - .offset:         104
        .size:           2
        .value_kind:     hidden_grid_dims
    .group_segment_fixed_size: 0
    .kernarg_segment_align: 8
    .kernarg_segment_size: 296
    .language:       OpenCL C
    .language_version:
      - 2
      - 0
    .max_flat_workgroup_size: 1024
    .name:           _ZN9rocsolver6v33100L8set_zeroIdPdEEviiT0_iil13rocblas_fill_
    .private_segment_fixed_size: 0
    .sgpr_count:     18
    .sgpr_spill_count: 0
    .symbol:         _ZN9rocsolver6v33100L8set_zeroIdPdEEviiT0_iil13rocblas_fill_.kd
    .uniform_work_group_size: 1
    .uses_dynamic_stack: false
    .vgpr_count:     5
    .vgpr_spill_count: 0
    .wavefront_size: 32
    .workgroup_processor_mode: 1
  - .args:
      - .offset:         0
        .size:           4
        .value_kind:     by_value
      - .offset:         4
        .size:           4
        .value_kind:     by_value
      - .offset:         8
        .size:           4
        .value_kind:     by_value
      - .address_space:  global
        .offset:         16
        .size:           8
        .value_kind:     global_buffer
      - .offset:         24
        .size:           4
        .value_kind:     by_value
      - .offset:         28
        .size:           4
        .value_kind:     by_value
      - .offset:         32
        .size:           8
        .value_kind:     by_value
      - .address_space:  global
        .offset:         40
        .size:           8
        .value_kind:     global_buffer
      - .offset:         48
        .size:           4
        .value_kind:     by_value
      - .offset:         52
        .size:           4
        .value_kind:     by_value
      - .offset:         56
        .size:           8
        .value_kind:     by_value
      - .offset:         64
        .size:           1
        .value_kind:     by_value
      - .offset:         68
        .size:           4
        .value_kind:     by_value
      - .offset:         72
        .size:           4
        .value_kind:     by_value
      - .offset:         80
        .size:           4
        .value_kind:     hidden_block_count_x
      - .offset:         84
        .size:           4
        .value_kind:     hidden_block_count_y
      - .offset:         88
        .size:           4
        .value_kind:     hidden_block_count_z
      - .offset:         92
        .size:           2
        .value_kind:     hidden_group_size_x
      - .offset:         94
        .size:           2
        .value_kind:     hidden_group_size_y
      - .offset:         96
        .size:           2
        .value_kind:     hidden_group_size_z
      - .offset:         98
        .size:           2
        .value_kind:     hidden_remainder_x
      - .offset:         100
        .size:           2
        .value_kind:     hidden_remainder_y
      - .offset:         102
        .size:           2
        .value_kind:     hidden_remainder_z
      - .offset:         120
        .size:           8
        .value_kind:     hidden_global_offset_x
      - .offset:         128
        .size:           8
        .value_kind:     hidden_global_offset_y
      - .offset:         136
        .size:           8
        .value_kind:     hidden_global_offset_z
      - .offset:         144
        .size:           2
        .value_kind:     hidden_grid_dims
    .group_segment_fixed_size: 0
    .kernarg_segment_align: 8
    .kernarg_segment_size: 336
    .language:       OpenCL C
    .language_version:
      - 2
      - 0
    .max_flat_workgroup_size: 1024
    .name:           _ZN9rocsolver6v33100L14copy_trans_matIddPdS2_NS0_7no_maskEEEv18rocblas_operation_iiT1_iilT2_iilT3_13rocblas_fill_17rocblas_diagonal_
    .private_segment_fixed_size: 0
    .sgpr_count:     22
    .sgpr_spill_count: 0
    .symbol:         _ZN9rocsolver6v33100L14copy_trans_matIddPdS2_NS0_7no_maskEEEv18rocblas_operation_iiT1_iilT2_iilT3_13rocblas_fill_17rocblas_diagonal_.kd
    .uniform_work_group_size: 1
    .uses_dynamic_stack: false
    .vgpr_count:     6
    .vgpr_spill_count: 0
    .wavefront_size: 32
    .workgroup_processor_mode: 1
  - .args:
      - .offset:         0
        .size:           4
        .value_kind:     by_value
      - .offset:         4
        .size:           4
        .value_kind:     by_value
      - .offset:         8
        .size:           4
        .value_kind:     by_value
      - .address_space:  global
        .offset:         16
        .size:           8
        .value_kind:     global_buffer
      - .offset:         24
        .size:           4
        .value_kind:     by_value
      - .offset:         28
        .size:           4
        .value_kind:     by_value
      - .offset:         32
        .size:           8
        .value_kind:     by_value
      - .offset:         40
        .size:           4
        .value_kind:     hidden_block_count_x
      - .offset:         44
        .size:           4
        .value_kind:     hidden_block_count_y
      - .offset:         48
        .size:           4
        .value_kind:     hidden_block_count_z
      - .offset:         52
        .size:           2
        .value_kind:     hidden_group_size_x
      - .offset:         54
        .size:           2
        .value_kind:     hidden_group_size_y
      - .offset:         56
        .size:           2
        .value_kind:     hidden_group_size_z
      - .offset:         58
        .size:           2
        .value_kind:     hidden_remainder_x
      - .offset:         60
        .size:           2
        .value_kind:     hidden_remainder_y
      - .offset:         62
        .size:           2
        .value_kind:     hidden_remainder_z
      - .offset:         80
        .size:           8
        .value_kind:     hidden_global_offset_x
      - .offset:         88
        .size:           8
        .value_kind:     hidden_global_offset_y
      - .offset:         96
        .size:           8
        .value_kind:     hidden_global_offset_z
      - .offset:         104
        .size:           2
        .value_kind:     hidden_grid_dims
    .group_segment_fixed_size: 0
    .kernarg_segment_align: 8
    .kernarg_segment_size: 296
    .language:       OpenCL C
    .language_version:
      - 2
      - 0
    .max_flat_workgroup_size: 1024
    .name:           _ZN9rocsolver6v33100L16orgl2_init_identIdPdEEviiiT0_iil
    .private_segment_fixed_size: 0
    .sgpr_count:     18
    .sgpr_spill_count: 0
    .symbol:         _ZN9rocsolver6v33100L16orgl2_init_identIdPdEEviiiT0_iil.kd
    .uniform_work_group_size: 1
    .uses_dynamic_stack: false
    .vgpr_count:     8
    .vgpr_spill_count: 0
    .wavefront_size: 32
    .workgroup_processor_mode: 1
  - .args:
      - .address_space:  global
        .offset:         0
        .size:           8
        .value_kind:     global_buffer
      - .offset:         8
        .size:           4
        .value_kind:     by_value
      - .offset:         12
        .size:           8
        .value_kind:     by_value
    .group_segment_fixed_size: 0
    .kernarg_segment_align: 8
    .kernarg_segment_size: 20
    .language:       OpenCL C
    .language_version:
      - 2
      - 0
    .max_flat_workgroup_size: 32
    .name:           _ZN9rocsolver6v33100L6iota_nI19rocblas_complex_numIfEEEvPT_jS4_
    .private_segment_fixed_size: 0
    .sgpr_count:     6
    .sgpr_spill_count: 0
    .symbol:         _ZN9rocsolver6v33100L6iota_nI19rocblas_complex_numIfEEEvPT_jS4_.kd
    .uniform_work_group_size: 1
    .uses_dynamic_stack: false
    .vgpr_count:     3
    .vgpr_spill_count: 0
    .wavefront_size: 32
    .workgroup_processor_mode: 1
  - .args:
      - .offset:         0
        .size:           4
        .value_kind:     by_value
      - .address_space:  global
        .offset:         8
        .size:           8
        .value_kind:     global_buffer
      - .offset:         16
        .size:           8
        .value_kind:     by_value
      - .address_space:  global
        .offset:         24
        .size:           8
        .value_kind:     global_buffer
      - .offset:         32
        .size:           8
        .value_kind:     by_value
      - .offset:         40
        .size:           4
        .value_kind:     by_value
      - .offset:         48
        .size:           4
        .value_kind:     hidden_block_count_x
      - .offset:         52
        .size:           4
        .value_kind:     hidden_block_count_y
      - .offset:         56
        .size:           4
        .value_kind:     hidden_block_count_z
      - .offset:         60
        .size:           2
        .value_kind:     hidden_group_size_x
      - .offset:         62
        .size:           2
        .value_kind:     hidden_group_size_y
      - .offset:         64
        .size:           2
        .value_kind:     hidden_group_size_z
      - .offset:         66
        .size:           2
        .value_kind:     hidden_remainder_x
      - .offset:         68
        .size:           2
        .value_kind:     hidden_remainder_y
      - .offset:         70
        .size:           2
        .value_kind:     hidden_remainder_z
      - .offset:         88
        .size:           8
        .value_kind:     hidden_global_offset_x
      - .offset:         96
        .size:           8
        .value_kind:     hidden_global_offset_y
      - .offset:         104
        .size:           8
        .value_kind:     hidden_global_offset_z
      - .offset:         112
        .size:           2
        .value_kind:     hidden_grid_dims
    .group_segment_fixed_size: 0
    .kernarg_segment_align: 8
    .kernarg_segment_size: 304
    .language:       OpenCL C
    .language_version:
      - 2
      - 0
    .max_flat_workgroup_size: 1024
    .name:           _ZN9rocsolver6v33100L16syev_scalar_caseI19rocblas_complex_numIfEfPS3_TnNSt9enable_ifIX18rocblas_is_complexIT_EEiE4typeELi0EEEv14rocblas_evect_T1_lPT0_li
    .private_segment_fixed_size: 0
    .sgpr_count:     18
    .sgpr_spill_count: 0
    .symbol:         _ZN9rocsolver6v33100L16syev_scalar_caseI19rocblas_complex_numIfEfPS3_TnNSt9enable_ifIX18rocblas_is_complexIT_EEiE4typeELi0EEEv14rocblas_evect_T1_lPT0_li.kd
    .uniform_work_group_size: 1
    .uses_dynamic_stack: false
    .vgpr_count:     8
    .vgpr_spill_count: 0
    .wavefront_size: 32
    .workgroup_processor_mode: 1
  - .args:
      - .offset:         0
        .size:           4
        .value_kind:     by_value
      - .address_space:  global
        .offset:         8
        .size:           8
        .value_kind:     global_buffer
      - .offset:         16
        .size:           8
        .value_kind:     by_value
      - .offset:         24
        .size:           4
        .value_kind:     by_value
      - .offset:         32
        .size:           8
        .value_kind:     by_value
      - .address_space:  global
        .offset:         40
        .size:           8
        .value_kind:     global_buffer
      - .offset:         48
        .size:           8
        .value_kind:     by_value
      - .address_space:  global
        .offset:         56
        .size:           8
        .value_kind:     global_buffer
      - .offset:         64
        .size:           8
        .value_kind:     by_value
      - .address_space:  global
        .offset:         72
        .size:           8
        .value_kind:     global_buffer
      - .offset:         80
        .size:           8
        .value_kind:     by_value
    .group_segment_fixed_size: 0
    .kernarg_segment_align: 8
    .kernarg_segment_size: 88
    .language:       OpenCL C
    .language_version:
      - 2
      - 0
    .max_flat_workgroup_size: 256
    .name:           _ZN9rocsolver6v33100L24sytd2_lower_kernel_smallILi256E19rocblas_complex_numIfEifPS3_EEvT1_T3_lS5_lPT2_lS8_lPT0_l
    .private_segment_fixed_size: 0
    .sgpr_count:     37
    .sgpr_spill_count: 0
    .symbol:         _ZN9rocsolver6v33100L24sytd2_lower_kernel_smallILi256E19rocblas_complex_numIfEifPS3_EEvT1_T3_lS5_lPT2_lS8_lPT0_l.kd
    .uniform_work_group_size: 1
    .uses_dynamic_stack: false
    .vgpr_count:     42
    .vgpr_spill_count: 0
    .wavefront_size: 32
    .workgroup_processor_mode: 1
  - .args:
      - .address_space:  global
        .offset:         0
        .size:           8
        .value_kind:     global_buffer
      - .offset:         8
        .size:           8
        .value_kind:     by_value
      - .offset:         16
        .size:           4
        .value_kind:     by_value
      - .offset:         20
        .size:           4
        .value_kind:     by_value
      - .offset:         24
        .size:           4
        .value_kind:     hidden_block_count_x
      - .offset:         28
        .size:           4
        .value_kind:     hidden_block_count_y
      - .offset:         32
        .size:           4
        .value_kind:     hidden_block_count_z
      - .offset:         36
        .size:           2
        .value_kind:     hidden_group_size_x
      - .offset:         38
        .size:           2
        .value_kind:     hidden_group_size_y
      - .offset:         40
        .size:           2
        .value_kind:     hidden_group_size_z
      - .offset:         42
        .size:           2
        .value_kind:     hidden_remainder_x
      - .offset:         44
        .size:           2
        .value_kind:     hidden_remainder_y
      - .offset:         46
        .size:           2
        .value_kind:     hidden_remainder_z
      - .offset:         64
        .size:           8
        .value_kind:     hidden_global_offset_x
      - .offset:         72
        .size:           8
        .value_kind:     hidden_global_offset_y
      - .offset:         80
        .size:           8
        .value_kind:     hidden_global_offset_z
      - .offset:         88
        .size:           2
        .value_kind:     hidden_grid_dims
    .group_segment_fixed_size: 0
    .kernarg_segment_align: 8
    .kernarg_segment_size: 280
    .language:       OpenCL C
    .language_version:
      - 2
      - 0
    .max_flat_workgroup_size: 1024
    .name:           _ZN9rocsolver6v33100L16reset_batch_infoI19rocblas_complex_numIfEiiPS3_EEvT2_lT0_T1_
    .private_segment_fixed_size: 0
    .sgpr_count:     18
    .sgpr_spill_count: 0
    .symbol:         _ZN9rocsolver6v33100L16reset_batch_infoI19rocblas_complex_numIfEiiPS3_EEvT2_lT0_T1_.kd
    .uniform_work_group_size: 1
    .uses_dynamic_stack: false
    .vgpr_count:     4
    .vgpr_spill_count: 0
    .wavefront_size: 32
    .workgroup_processor_mode: 1
  - .args:
      - .address_space:  global
        .offset:         0
        .size:           8
        .value_kind:     global_buffer
      - .offset:         8
        .size:           8
        .value_kind:     by_value
      - .offset:         16
        .size:           8
        .value_kind:     by_value
      - .address_space:  global
        .offset:         24
        .size:           8
        .value_kind:     global_buffer
      - .offset:         32
        .size:           8
        .value_kind:     by_value
      - .offset:         40
        .size:           4
        .value_kind:     by_value
      - .offset:         48
        .size:           8
        .value_kind:     by_value
      - .offset:         56
        .size:           4
        .value_kind:     by_value
      - .offset:         60
        .size:           1
        .value_kind:     by_value
      - .offset:         64
        .size:           4
        .value_kind:     hidden_block_count_x
      - .offset:         68
        .size:           4
        .value_kind:     hidden_block_count_y
      - .offset:         72
        .size:           4
        .value_kind:     hidden_block_count_z
      - .offset:         76
        .size:           2
        .value_kind:     hidden_group_size_x
      - .offset:         78
        .size:           2
        .value_kind:     hidden_group_size_y
      - .offset:         80
        .size:           2
        .value_kind:     hidden_group_size_z
      - .offset:         82
        .size:           2
        .value_kind:     hidden_remainder_x
      - .offset:         84
        .size:           2
        .value_kind:     hidden_remainder_y
      - .offset:         86
        .size:           2
        .value_kind:     hidden_remainder_z
      - .offset:         104
        .size:           8
        .value_kind:     hidden_global_offset_x
      - .offset:         112
        .size:           8
        .value_kind:     hidden_global_offset_y
      - .offset:         120
        .size:           8
        .value_kind:     hidden_global_offset_z
      - .offset:         128
        .size:           2
        .value_kind:     hidden_grid_dims
    .group_segment_fixed_size: 0
    .kernarg_segment_align: 8
    .kernarg_segment_size: 320
    .language:       OpenCL C
    .language_version:
      - 2
      - 0
    .max_flat_workgroup_size: 1024
    .name:           _ZN9rocsolver6v33100L8set_diagI19rocblas_complex_numIfEifPS3_TnNSt9enable_ifIXaa18rocblas_is_complexIT_Ent18rocblas_is_complexIT1_EEiE4typeELi0EEEvPS7_llT2_lT0_lSC_b
    .private_segment_fixed_size: 0
    .sgpr_count:     19
    .sgpr_spill_count: 0
    .symbol:         _ZN9rocsolver6v33100L8set_diagI19rocblas_complex_numIfEifPS3_TnNSt9enable_ifIXaa18rocblas_is_complexIT_Ent18rocblas_is_complexIT1_EEiE4typeELi0EEEvPS7_llT2_lT0_lSC_b.kd
    .uniform_work_group_size: 1
    .uses_dynamic_stack: false
    .vgpr_count:     6
    .vgpr_spill_count: 0
    .wavefront_size: 32
    .workgroup_processor_mode: 1
  - .args:
      - .address_space:  global
        .offset:         0
        .size:           8
        .value_kind:     global_buffer
      - .offset:         8
        .size:           8
        .value_kind:     by_value
      - .address_space:  global
        .offset:         16
        .size:           8
        .value_kind:     global_buffer
      - .address_space:  global
        .offset:         24
        .size:           8
        .value_kind:     global_buffer
      - .offset:         32
        .size:           8
        .value_kind:     by_value
      - .offset:         40
        .size:           8
        .value_kind:     by_value
      - .address_space:  global
        .offset:         48
        .size:           8
        .value_kind:     global_buffer
      - .offset:         56
        .size:           8
        .value_kind:     by_value
      - .offset:         64
        .size:           8
        .value_kind:     by_value
    .group_segment_fixed_size: 0
    .kernarg_segment_align: 8
    .kernarg_segment_size: 72
    .language:       OpenCL C
    .language_version:
      - 2
      - 0
    .max_flat_workgroup_size: 1024
    .name:           _ZN9rocsolver6v33100L11set_taubetaI19rocblas_complex_numIfEifPS3_EEvPT_lS6_T2_llPT1_ll
    .private_segment_fixed_size: 0
    .sgpr_count:     24
    .sgpr_spill_count: 0
    .symbol:         _ZN9rocsolver6v33100L11set_taubetaI19rocblas_complex_numIfEifPS3_EEvPT_lS6_T2_llPT1_ll.kd
    .uniform_work_group_size: 1
    .uses_dynamic_stack: false
    .vgpr_count:     24
    .vgpr_spill_count: 0
    .wavefront_size: 32
    .workgroup_processor_mode: 1
  - .args:
      - .offset:         0
        .size:           4
        .value_kind:     by_value
      - .address_space:  global
        .offset:         8
        .size:           8
        .value_kind:     global_buffer
      - .offset:         16
        .size:           8
        .value_kind:     by_value
      - .offset:         24
        .size:           8
        .value_kind:     by_value
      - .address_space:  global
        .offset:         32
        .size:           8
        .value_kind:     global_buffer
      - .offset:         40
        .size:           8
        .value_kind:     by_value
      - .offset:         48
        .size:           8
        .value_kind:     by_value
      - .address_space:  global
        .offset:         56
        .size:           8
        .value_kind:     global_buffer
      - .offset:         64
        .size:           8
        .value_kind:     by_value
    .group_segment_fixed_size: 1040
    .kernarg_segment_align: 8
    .kernarg_segment_size: 72
    .language:       OpenCL C
    .language_version:
      - 2
      - 0
    .max_flat_workgroup_size: 64
    .name:           _ZN9rocsolver6v33100L20latrd_dot_scale_axpyILi64E19rocblas_complex_numIfEiPS3_EEvT1_T2_llPT0_llS8_l
    .private_segment_fixed_size: 0
    .sgpr_count:     34
    .sgpr_spill_count: 0
    .symbol:         _ZN9rocsolver6v33100L20latrd_dot_scale_axpyILi64E19rocblas_complex_numIfEiPS3_EEvT1_T2_llPT0_llS8_l.kd
    .uniform_work_group_size: 1
    .uses_dynamic_stack: false
    .vgpr_count:     15
    .vgpr_spill_count: 0
    .wavefront_size: 32
    .workgroup_processor_mode: 1
  - .args:
      - .offset:         0
        .size:           4
        .value_kind:     by_value
      - .address_space:  global
        .offset:         8
        .size:           8
        .value_kind:     global_buffer
      - .address_space:  global
        .offset:         16
        .size:           8
        .value_kind:     global_buffer
      - .offset:         24
        .size:           8
        .value_kind:     by_value
      - .offset:         32
        .size:           4
        .value_kind:     hidden_block_count_x
      - .offset:         36
        .size:           4
        .value_kind:     hidden_block_count_y
      - .offset:         40
        .size:           4
        .value_kind:     hidden_block_count_z
      - .offset:         44
        .size:           2
        .value_kind:     hidden_group_size_x
      - .offset:         46
        .size:           2
        .value_kind:     hidden_group_size_y
      - .offset:         48
        .size:           2
        .value_kind:     hidden_group_size_z
      - .offset:         50
        .size:           2
        .value_kind:     hidden_remainder_x
      - .offset:         52
        .size:           2
        .value_kind:     hidden_remainder_y
      - .offset:         54
        .size:           2
        .value_kind:     hidden_remainder_z
      - .offset:         72
        .size:           8
        .value_kind:     hidden_global_offset_x
      - .offset:         80
        .size:           8
        .value_kind:     hidden_global_offset_y
      - .offset:         88
        .size:           8
        .value_kind:     hidden_global_offset_z
      - .offset:         96
        .size:           2
        .value_kind:     hidden_grid_dims
    .group_segment_fixed_size: 0
    .kernarg_segment_align: 8
    .kernarg_segment_size: 288
    .language:       OpenCL C
    .language_version:
      - 2
      - 0
    .max_flat_workgroup_size: 1024
    .name:           _ZN9rocsolver6v33100L7set_tauI19rocblas_complex_numIfEEEviPT_S5_l
    .private_segment_fixed_size: 0
    .sgpr_count:     18
    .sgpr_spill_count: 0
    .symbol:         _ZN9rocsolver6v33100L7set_tauI19rocblas_complex_numIfEEEviPT_S5_l.kd
    .uniform_work_group_size: 1
    .uses_dynamic_stack: false
    .vgpr_count:     7
    .vgpr_spill_count: 0
    .wavefront_size: 32
    .workgroup_processor_mode: 1
  - .args:
      - .offset:         0
        .size:           4
        .value_kind:     by_value
      - .address_space:  global
        .offset:         8
        .size:           8
        .value_kind:     global_buffer
      - .offset:         16
        .size:           8
        .value_kind:     by_value
      - .offset:         24
        .size:           4
        .value_kind:     by_value
      - .offset:         32
        .size:           8
        .value_kind:     by_value
      - .address_space:  global
        .offset:         40
        .size:           8
        .value_kind:     global_buffer
      - .offset:         48
        .size:           8
        .value_kind:     by_value
      - .address_space:  global
        .offset:         56
        .size:           8
        .value_kind:     global_buffer
      - .offset:         64
        .size:           8
        .value_kind:     by_value
      - .address_space:  global
        .offset:         72
        .size:           8
        .value_kind:     global_buffer
      - .offset:         80
        .size:           8
        .value_kind:     by_value
    .group_segment_fixed_size: 0
    .kernarg_segment_align: 8
    .kernarg_segment_size: 88
    .language:       OpenCL C
    .language_version:
      - 2
      - 0
    .max_flat_workgroup_size: 256
    .name:           _ZN9rocsolver6v33100L24sytd2_upper_kernel_smallILi256E19rocblas_complex_numIfEifPS3_EEvT1_T3_lS5_lPT2_lS8_lPT0_l
    .private_segment_fixed_size: 0
    .sgpr_count:     37
    .sgpr_spill_count: 0
    .symbol:         _ZN9rocsolver6v33100L24sytd2_upper_kernel_smallILi256E19rocblas_complex_numIfEifPS3_EEvT1_T3_lS5_lPT2_lS8_lPT0_l.kd
    .uniform_work_group_size: 1
    .uses_dynamic_stack: false
    .vgpr_count:     41
    .vgpr_spill_count: 0
    .wavefront_size: 32
    .workgroup_processor_mode: 1
  - .args:
      - .offset:         0
        .size:           4
        .value_kind:     by_value
      - .offset:         4
        .size:           4
        .value_kind:     by_value
      - .offset:         8
        .size:           4
        .value_kind:     by_value
      - .address_space:  global
        .offset:         16
        .size:           8
        .value_kind:     global_buffer
      - .offset:         24
        .size:           4
        .value_kind:     by_value
      - .offset:         28
        .size:           4
        .value_kind:     by_value
      - .offset:         32
        .size:           8
        .value_kind:     by_value
      - .address_space:  global
        .offset:         40
        .size:           8
        .value_kind:     global_buffer
      - .offset:         48
        .size:           1
        .value_kind:     by_value
      - .offset:         52
        .size:           4
        .value_kind:     by_value
      - .offset:         56
        .size:           4
        .value_kind:     by_value
      - .offset:         64
        .size:           4
        .value_kind:     hidden_block_count_x
      - .offset:         68
        .size:           4
        .value_kind:     hidden_block_count_y
      - .offset:         72
        .size:           4
        .value_kind:     hidden_block_count_z
      - .offset:         76
        .size:           2
        .value_kind:     hidden_group_size_x
      - .offset:         78
        .size:           2
        .value_kind:     hidden_group_size_y
      - .offset:         80
        .size:           2
        .value_kind:     hidden_group_size_z
      - .offset:         82
        .size:           2
        .value_kind:     hidden_remainder_x
      - .offset:         84
        .size:           2
        .value_kind:     hidden_remainder_y
      - .offset:         86
        .size:           2
        .value_kind:     hidden_remainder_z
      - .offset:         104
        .size:           8
        .value_kind:     hidden_global_offset_x
      - .offset:         112
        .size:           8
        .value_kind:     hidden_global_offset_y
      - .offset:         120
        .size:           8
        .value_kind:     hidden_global_offset_z
      - .offset:         128
        .size:           2
        .value_kind:     hidden_grid_dims
    .group_segment_fixed_size: 0
    .kernarg_segment_align: 8
    .kernarg_segment_size: 320
    .language:       OpenCL C
    .language_version:
      - 2
      - 0
    .max_flat_workgroup_size: 1024
    .name:           _ZN9rocsolver6v33100L8copy_matI19rocblas_complex_numIfEPS3_NS0_7no_maskEEEvNS0_17copymat_directionEiiT0_iilPT_T1_13rocblas_fill_17rocblas_diagonal_
    .private_segment_fixed_size: 0
    .sgpr_count:     20
    .sgpr_spill_count: 0
    .symbol:         _ZN9rocsolver6v33100L8copy_matI19rocblas_complex_numIfEPS3_NS0_7no_maskEEEvNS0_17copymat_directionEiiT0_iilPT_T1_13rocblas_fill_17rocblas_diagonal_.kd
    .uniform_work_group_size: 1
    .uses_dynamic_stack: false
    .vgpr_count:     8
    .vgpr_spill_count: 0
    .wavefront_size: 32
    .workgroup_processor_mode: 1
  - .args:
      - .offset:         0
        .size:           4
        .value_kind:     by_value
      - .offset:         4
        .size:           4
        .value_kind:     by_value
      - .address_space:  global
        .offset:         8
        .size:           8
        .value_kind:     global_buffer
      - .offset:         16
        .size:           4
        .value_kind:     by_value
      - .offset:         20
        .size:           4
        .value_kind:     by_value
      - .offset:         24
        .size:           8
        .value_kind:     by_value
      - .address_space:  global
        .offset:         32
        .size:           8
        .value_kind:     global_buffer
      - .offset:         40
        .size:           4
        .value_kind:     by_value
      - .offset:         44
        .size:           4
        .value_kind:     by_value
      - .offset:         48
        .size:           8
        .value_kind:     by_value
      - .offset:         56
        .size:           4
        .value_kind:     hidden_block_count_x
      - .offset:         60
        .size:           4
        .value_kind:     hidden_block_count_y
      - .offset:         64
        .size:           4
        .value_kind:     hidden_block_count_z
      - .offset:         68
        .size:           2
        .value_kind:     hidden_group_size_x
      - .offset:         70
        .size:           2
        .value_kind:     hidden_group_size_y
      - .offset:         72
        .size:           2
        .value_kind:     hidden_group_size_z
      - .offset:         74
        .size:           2
        .value_kind:     hidden_remainder_x
      - .offset:         76
        .size:           2
        .value_kind:     hidden_remainder_y
      - .offset:         78
        .size:           2
        .value_kind:     hidden_remainder_z
      - .offset:         96
        .size:           8
        .value_kind:     hidden_global_offset_x
      - .offset:         104
        .size:           8
        .value_kind:     hidden_global_offset_y
      - .offset:         112
        .size:           8
        .value_kind:     hidden_global_offset_z
      - .offset:         120
        .size:           2
        .value_kind:     hidden_grid_dims
      - .offset:         176
        .size:           4
        .value_kind:     hidden_dynamic_lds_size
    .group_segment_fixed_size: 0
    .kernarg_segment_align: 8
    .kernarg_segment_size: 312
    .language:       OpenCL C
    .language_version:
      - 2
      - 0
    .max_flat_workgroup_size: 1024
    .name:           _ZN9rocsolver6v33100L26latrd_lower_updateA_kernelI19rocblas_complex_numIfEPS3_EEviiT0_iilPT_iil
    .private_segment_fixed_size: 0
    .sgpr_count:     30
    .sgpr_spill_count: 0
    .symbol:         _ZN9rocsolver6v33100L26latrd_lower_updateA_kernelI19rocblas_complex_numIfEPS3_EEviiT0_iilPT_iil.kd
    .uniform_work_group_size: 1
    .uses_dynamic_stack: false
    .vgpr_count:     25
    .vgpr_spill_count: 0
    .wavefront_size: 32
    .workgroup_processor_mode: 1
  - .args:
      - .offset:         0
        .size:           4
        .value_kind:     by_value
      - .offset:         4
        .size:           4
        .value_kind:     by_value
      - .address_space:  global
        .offset:         8
        .size:           8
        .value_kind:     global_buffer
      - .offset:         16
        .size:           4
        .value_kind:     by_value
      - .offset:         20
        .size:           4
        .value_kind:     by_value
      - .offset:         24
        .size:           8
        .value_kind:     by_value
      - .address_space:  global
        .offset:         32
        .size:           8
        .value_kind:     global_buffer
      - .offset:         40
        .size:           4
        .value_kind:     by_value
      - .offset:         44
        .size:           4
        .value_kind:     by_value
      - .offset:         48
        .size:           8
        .value_kind:     by_value
      - .address_space:  global
        .offset:         56
        .size:           8
        .value_kind:     global_buffer
      - .offset:         64
        .size:           4
        .value_kind:     by_value
      - .offset:         68
        .size:           4
        .value_kind:     by_value
      - .offset:         72
        .size:           8
        .value_kind:     by_value
      - .address_space:  global
        .offset:         80
        .size:           8
        .value_kind:     global_buffer
      - .offset:         88
        .size:           8
        .value_kind:     by_value
    .group_segment_fixed_size: 2048
    .kernarg_segment_align: 8
    .kernarg_segment_size: 96
    .language:       OpenCL C
    .language_version:
      - 2
      - 0
    .max_flat_workgroup_size: 1024
    .name:           _ZN9rocsolver6v33100L33latrd_lower_computeW_gemvt_kernelILi256E19rocblas_complex_numIfEPS3_EEviiT1_iilPT0_iilS7_iilS7_l
    .private_segment_fixed_size: 0
    .sgpr_count:     34
    .sgpr_spill_count: 0
    .symbol:         _ZN9rocsolver6v33100L33latrd_lower_computeW_gemvt_kernelILi256E19rocblas_complex_numIfEPS3_EEviiT1_iilPT0_iilS7_iilS7_l.kd
    .uniform_work_group_size: 1
    .uses_dynamic_stack: false
    .vgpr_count:     17
    .vgpr_spill_count: 0
    .wavefront_size: 32
    .workgroup_processor_mode: 1
  - .args:
      - .offset:         0
        .size:           4
        .value_kind:     by_value
      - .offset:         4
        .size:           4
        .value_kind:     by_value
      - .address_space:  global
        .offset:         8
        .size:           8
        .value_kind:     global_buffer
      - .offset:         16
        .size:           4
        .value_kind:     by_value
      - .offset:         20
        .size:           4
        .value_kind:     by_value
      - .offset:         24
        .size:           8
        .value_kind:     by_value
      - .address_space:  global
        .offset:         32
        .size:           8
        .value_kind:     global_buffer
      - .offset:         40
        .size:           4
        .value_kind:     by_value
      - .offset:         44
        .size:           4
        .value_kind:     by_value
      - .offset:         48
        .size:           8
        .value_kind:     by_value
      - .address_space:  global
        .offset:         56
        .size:           8
        .value_kind:     global_buffer
      - .offset:         64
        .size:           8
        .value_kind:     by_value
      - .address_space:  global
        .offset:         72
        .size:           8
        .value_kind:     global_buffer
      - .offset:         80
        .size:           8
        .value_kind:     by_value
      - .offset:         88
        .size:           4
        .value_kind:     hidden_block_count_x
      - .offset:         92
        .size:           4
        .value_kind:     hidden_block_count_y
      - .offset:         96
        .size:           4
        .value_kind:     hidden_block_count_z
      - .offset:         100
        .size:           2
        .value_kind:     hidden_group_size_x
      - .offset:         102
        .size:           2
        .value_kind:     hidden_group_size_y
      - .offset:         104
        .size:           2
        .value_kind:     hidden_group_size_z
      - .offset:         106
        .size:           2
        .value_kind:     hidden_remainder_x
      - .offset:         108
        .size:           2
        .value_kind:     hidden_remainder_y
      - .offset:         110
        .size:           2
        .value_kind:     hidden_remainder_z
      - .offset:         128
        .size:           8
        .value_kind:     hidden_global_offset_x
      - .offset:         136
        .size:           8
        .value_kind:     hidden_global_offset_y
      - .offset:         144
        .size:           8
        .value_kind:     hidden_global_offset_z
      - .offset:         152
        .size:           2
        .value_kind:     hidden_grid_dims
      - .offset:         208
        .size:           4
        .value_kind:     hidden_dynamic_lds_size
    .group_segment_fixed_size: 0
    .kernarg_segment_align: 8
    .kernarg_segment_size: 344
    .language:       OpenCL C
    .language_version:
      - 2
      - 0
    .max_flat_workgroup_size: 1024
    .name:           _ZN9rocsolver6v33100L26latrd_lower_updateW_kernelI19rocblas_complex_numIfEPS3_EEviiT0_iilPT_iilS7_lS7_l
    .private_segment_fixed_size: 0
    .sgpr_count:     40
    .sgpr_spill_count: 0
    .symbol:         _ZN9rocsolver6v33100L26latrd_lower_updateW_kernelI19rocblas_complex_numIfEPS3_EEviiT0_iilPT_iilS7_lS7_l.kd
    .uniform_work_group_size: 1
    .uses_dynamic_stack: false
    .vgpr_count:     26
    .vgpr_spill_count: 0
    .wavefront_size: 32
    .workgroup_processor_mode: 1
  - .args:
      - .offset:         0
        .size:           4
        .value_kind:     by_value
      - .address_space:  global
        .offset:         8
        .size:           8
        .value_kind:     global_buffer
      - .offset:         16
        .size:           8
        .value_kind:     by_value
      - .offset:         24
        .size:           8
        .value_kind:     by_value
      - .address_space:  global
        .offset:         32
        .size:           8
        .value_kind:     global_buffer
      - .offset:         40
        .size:           8
        .value_kind:     by_value
      - .offset:         48
        .size:           8
        .value_kind:     by_value
      - .address_space:  global
        .offset:         56
        .size:           8
        .value_kind:     global_buffer
      - .offset:         64
        .size:           8
        .value_kind:     by_value
    .group_segment_fixed_size: 16640
    .kernarg_segment_align: 8
    .kernarg_segment_size: 72
    .language:       OpenCL C
    .language_version:
      - 2
      - 0
    .max_flat_workgroup_size: 1024
    .name:           _ZN9rocsolver6v33100L20latrd_dot_scale_axpyILi1024E19rocblas_complex_numIfEiPS3_EEvT1_T2_llPT0_llS8_l
    .private_segment_fixed_size: 0
    .sgpr_count:     36
    .sgpr_spill_count: 0
    .symbol:         _ZN9rocsolver6v33100L20latrd_dot_scale_axpyILi1024E19rocblas_complex_numIfEiPS3_EEvT1_T2_llPT0_llS8_l.kd
    .uniform_work_group_size: 1
    .uses_dynamic_stack: false
    .vgpr_count:     19
    .vgpr_spill_count: 0
    .wavefront_size: 32
    .workgroup_processor_mode: 1
  - .args:
      - .offset:         0
        .size:           4
        .value_kind:     by_value
      - .offset:         4
        .size:           4
        .value_kind:     by_value
      - .offset:         8
        .size:           4
        .value_kind:     by_value
      - .address_space:  global
        .offset:         16
        .size:           8
        .value_kind:     global_buffer
      - .offset:         24
        .size:           4
        .value_kind:     by_value
      - .offset:         28
        .size:           4
        .value_kind:     by_value
      - .offset:         32
        .size:           8
        .value_kind:     by_value
      - .address_space:  global
        .offset:         40
        .size:           8
        .value_kind:     global_buffer
      - .offset:         48
        .size:           4
        .value_kind:     by_value
      - .offset:         52
        .size:           4
        .value_kind:     by_value
      - .offset:         56
        .size:           8
        .value_kind:     by_value
      - .offset:         64
        .size:           4
        .value_kind:     hidden_block_count_x
      - .offset:         68
        .size:           4
        .value_kind:     hidden_block_count_y
      - .offset:         72
        .size:           4
        .value_kind:     hidden_block_count_z
      - .offset:         76
        .size:           2
        .value_kind:     hidden_group_size_x
      - .offset:         78
        .size:           2
        .value_kind:     hidden_group_size_y
      - .offset:         80
        .size:           2
        .value_kind:     hidden_group_size_z
      - .offset:         82
        .size:           2
        .value_kind:     hidden_remainder_x
      - .offset:         84
        .size:           2
        .value_kind:     hidden_remainder_y
      - .offset:         86
        .size:           2
        .value_kind:     hidden_remainder_z
      - .offset:         104
        .size:           8
        .value_kind:     hidden_global_offset_x
      - .offset:         112
        .size:           8
        .value_kind:     hidden_global_offset_y
      - .offset:         120
        .size:           8
        .value_kind:     hidden_global_offset_z
      - .offset:         128
        .size:           2
        .value_kind:     hidden_grid_dims
      - .offset:         184
        .size:           4
        .value_kind:     hidden_dynamic_lds_size
    .group_segment_fixed_size: 0
    .kernarg_segment_align: 8
    .kernarg_segment_size: 320
    .language:       OpenCL C
    .language_version:
      - 2
      - 0
    .max_flat_workgroup_size: 1024
    .name:           _ZN9rocsolver6v33100L26latrd_upper_updateA_kernelI19rocblas_complex_numIfEPS3_EEviiiT0_iilPT_iil
    .private_segment_fixed_size: 0
    .sgpr_count:     34
    .sgpr_spill_count: 0
    .symbol:         _ZN9rocsolver6v33100L26latrd_upper_updateA_kernelI19rocblas_complex_numIfEPS3_EEviiiT0_iilPT_iil.kd
    .uniform_work_group_size: 1
    .uses_dynamic_stack: false
    .vgpr_count:     25
    .vgpr_spill_count: 0
    .wavefront_size: 32
    .workgroup_processor_mode: 1
  - .args:
      - .offset:         0
        .size:           4
        .value_kind:     by_value
      - .offset:         4
        .size:           4
        .value_kind:     by_value
      - .offset:         8
        .size:           4
        .value_kind:     by_value
      - .address_space:  global
        .offset:         16
        .size:           8
        .value_kind:     global_buffer
      - .offset:         24
        .size:           4
        .value_kind:     by_value
      - .offset:         28
        .size:           4
        .value_kind:     by_value
      - .offset:         32
        .size:           8
        .value_kind:     by_value
      - .address_space:  global
        .offset:         40
        .size:           8
        .value_kind:     global_buffer
      - .offset:         48
        .size:           4
        .value_kind:     by_value
      - .offset:         52
        .size:           4
        .value_kind:     by_value
      - .offset:         56
        .size:           8
        .value_kind:     by_value
      - .address_space:  global
        .offset:         64
        .size:           8
        .value_kind:     global_buffer
      - .offset:         72
        .size:           4
        .value_kind:     by_value
      - .offset:         76
        .size:           4
        .value_kind:     by_value
      - .offset:         80
        .size:           8
        .value_kind:     by_value
      - .address_space:  global
        .offset:         88
        .size:           8
        .value_kind:     global_buffer
      - .offset:         96
        .size:           8
        .value_kind:     by_value
    .group_segment_fixed_size: 2048
    .kernarg_segment_align: 8
    .kernarg_segment_size: 104
    .language:       OpenCL C
    .language_version:
      - 2
      - 0
    .max_flat_workgroup_size: 1024
    .name:           _ZN9rocsolver6v33100L33latrd_upper_computeW_gemvt_kernelILi256E19rocblas_complex_numIfEPS3_EEviiiT1_iilPT0_iilS7_iilS7_l
    .private_segment_fixed_size: 0
    .sgpr_count:     34
    .sgpr_spill_count: 0
    .symbol:         _ZN9rocsolver6v33100L33latrd_upper_computeW_gemvt_kernelILi256E19rocblas_complex_numIfEPS3_EEviiiT1_iilPT0_iilS7_iilS7_l.kd
    .uniform_work_group_size: 1
    .uses_dynamic_stack: false
    .vgpr_count:     17
    .vgpr_spill_count: 0
    .wavefront_size: 32
    .workgroup_processor_mode: 1
  - .args:
      - .offset:         0
        .size:           4
        .value_kind:     by_value
      - .offset:         4
        .size:           4
        .value_kind:     by_value
      - .offset:         8
        .size:           4
        .value_kind:     by_value
      - .address_space:  global
        .offset:         16
        .size:           8
        .value_kind:     global_buffer
      - .offset:         24
        .size:           4
        .value_kind:     by_value
      - .offset:         28
        .size:           4
        .value_kind:     by_value
      - .offset:         32
        .size:           8
        .value_kind:     by_value
      - .address_space:  global
        .offset:         40
        .size:           8
        .value_kind:     global_buffer
      - .offset:         48
        .size:           4
        .value_kind:     by_value
      - .offset:         52
        .size:           4
        .value_kind:     by_value
      - .offset:         56
        .size:           8
        .value_kind:     by_value
      - .address_space:  global
        .offset:         64
        .size:           8
        .value_kind:     global_buffer
      - .offset:         72
        .size:           8
        .value_kind:     by_value
      - .address_space:  global
        .offset:         80
        .size:           8
        .value_kind:     global_buffer
      - .offset:         88
        .size:           8
        .value_kind:     by_value
      - .offset:         96
        .size:           4
        .value_kind:     hidden_block_count_x
      - .offset:         100
        .size:           4
        .value_kind:     hidden_block_count_y
      - .offset:         104
        .size:           4
        .value_kind:     hidden_block_count_z
      - .offset:         108
        .size:           2
        .value_kind:     hidden_group_size_x
      - .offset:         110
        .size:           2
        .value_kind:     hidden_group_size_y
      - .offset:         112
        .size:           2
        .value_kind:     hidden_group_size_z
      - .offset:         114
        .size:           2
        .value_kind:     hidden_remainder_x
      - .offset:         116
        .size:           2
        .value_kind:     hidden_remainder_y
      - .offset:         118
        .size:           2
        .value_kind:     hidden_remainder_z
      - .offset:         136
        .size:           8
        .value_kind:     hidden_global_offset_x
      - .offset:         144
        .size:           8
        .value_kind:     hidden_global_offset_y
      - .offset:         152
        .size:           8
        .value_kind:     hidden_global_offset_z
      - .offset:         160
        .size:           2
        .value_kind:     hidden_grid_dims
      - .offset:         216
        .size:           4
        .value_kind:     hidden_dynamic_lds_size
    .group_segment_fixed_size: 0
    .kernarg_segment_align: 8
    .kernarg_segment_size: 352
    .language:       OpenCL C
    .language_version:
      - 2
      - 0
    .max_flat_workgroup_size: 1024
    .name:           _ZN9rocsolver6v33100L26latrd_upper_updateW_kernelI19rocblas_complex_numIfEPS3_EEviiiT0_iilPT_iilS7_lS7_l
    .private_segment_fixed_size: 0
    .sgpr_count:     41
    .sgpr_spill_count: 0
    .symbol:         _ZN9rocsolver6v33100L26latrd_upper_updateW_kernelI19rocblas_complex_numIfEPS3_EEviiiT0_iilPT_iilS7_lS7_l.kd
    .uniform_work_group_size: 1
    .uses_dynamic_stack: false
    .vgpr_count:     26
    .vgpr_spill_count: 0
    .wavefront_size: 32
    .workgroup_processor_mode: 1
  - .args:
      - .offset:         0
        .size:           4
        .value_kind:     by_value
      - .offset:         4
        .size:           4
        .value_kind:     by_value
      - .address_space:  global
        .offset:         8
        .size:           8
        .value_kind:     global_buffer
      - .offset:         16
        .size:           4
        .value_kind:     by_value
      - .offset:         20
        .size:           4
        .value_kind:     by_value
      - .offset:         24
        .size:           8
        .value_kind:     by_value
      - .address_space:  global
        .offset:         32
        .size:           8
        .value_kind:     global_buffer
      - .offset:         40
        .size:           8
        .value_kind:     by_value
      - .address_space:  global
        .offset:         48
        .size:           8
        .value_kind:     global_buffer
      - .offset:         56
        .size:           8
        .value_kind:     by_value
      - .offset:         64
        .size:           4
        .value_kind:     hidden_block_count_x
      - .offset:         68
        .size:           4
        .value_kind:     hidden_block_count_y
      - .offset:         72
        .size:           4
        .value_kind:     hidden_block_count_z
      - .offset:         76
        .size:           2
        .value_kind:     hidden_group_size_x
      - .offset:         78
        .size:           2
        .value_kind:     hidden_group_size_y
      - .offset:         80
        .size:           2
        .value_kind:     hidden_group_size_z
      - .offset:         82
        .size:           2
        .value_kind:     hidden_remainder_x
      - .offset:         84
        .size:           2
        .value_kind:     hidden_remainder_y
      - .offset:         86
        .size:           2
        .value_kind:     hidden_remainder_z
      - .offset:         104
        .size:           8
        .value_kind:     hidden_global_offset_x
      - .offset:         112
        .size:           8
        .value_kind:     hidden_global_offset_y
      - .offset:         120
        .size:           8
        .value_kind:     hidden_global_offset_z
      - .offset:         128
        .size:           2
        .value_kind:     hidden_grid_dims
    .group_segment_fixed_size: 0
    .kernarg_segment_align: 8
    .kernarg_segment_size: 320
    .language:       OpenCL C
    .language_version:
      - 2
      - 0
    .max_flat_workgroup_size: 1024
    .name:           _ZN9rocsolver6v33100L11set_tridiagI19rocblas_complex_numIfEfPS3_TnNSt9enable_ifIX18rocblas_is_complexIT_EEiE4typeELi0EEEv13rocblas_fill_iT1_iilPT0_lSC_l
    .private_segment_fixed_size: 0
    .sgpr_count:     24
    .sgpr_spill_count: 0
    .symbol:         _ZN9rocsolver6v33100L11set_tridiagI19rocblas_complex_numIfEfPS3_TnNSt9enable_ifIX18rocblas_is_complexIT_EEiE4typeELi0EEEv13rocblas_fill_iT1_iilPT0_lSC_l.kd
    .uniform_work_group_size: 1
    .uses_dynamic_stack: false
    .vgpr_count:     11
    .vgpr_spill_count: 0
    .wavefront_size: 32
    .workgroup_processor_mode: 1
  - .args:
      - .offset:         0
        .size:           4
        .value_kind:     by_value
      - .offset:         4
        .size:           4
        .value_kind:     by_value
      - .address_space:  global
        .offset:         8
        .size:           8
        .value_kind:     global_buffer
      - .offset:         16
        .size:           4
        .value_kind:     by_value
      - .offset:         20
        .size:           4
        .value_kind:     by_value
      - .offset:         24
        .size:           8
        .value_kind:     by_value
      - .offset:         32
        .size:           4
        .value_kind:     hidden_block_count_x
      - .offset:         36
        .size:           4
        .value_kind:     hidden_block_count_y
      - .offset:         40
        .size:           4
        .value_kind:     hidden_block_count_z
      - .offset:         44
        .size:           2
        .value_kind:     hidden_group_size_x
      - .offset:         46
        .size:           2
        .value_kind:     hidden_group_size_y
      - .offset:         48
        .size:           2
        .value_kind:     hidden_group_size_z
      - .offset:         50
        .size:           2
        .value_kind:     hidden_remainder_x
      - .offset:         52
        .size:           2
        .value_kind:     hidden_remainder_y
      - .offset:         54
        .size:           2
        .value_kind:     hidden_remainder_z
      - .offset:         72
        .size:           8
        .value_kind:     hidden_global_offset_x
      - .offset:         80
        .size:           8
        .value_kind:     hidden_global_offset_y
      - .offset:         88
        .size:           8
        .value_kind:     hidden_global_offset_z
      - .offset:         96
        .size:           2
        .value_kind:     hidden_grid_dims
    .group_segment_fixed_size: 0
    .kernarg_segment_align: 8
    .kernarg_segment_size: 288
    .language:       OpenCL C
    .language_version:
      - 2
      - 0
    .max_flat_workgroup_size: 1024
    .name:           _ZN9rocsolver6v33100L10init_identI19rocblas_complex_numIfEPS3_EEviiT0_iil
    .private_segment_fixed_size: 0
    .sgpr_count:     18
    .sgpr_spill_count: 0
    .symbol:         _ZN9rocsolver6v33100L10init_identI19rocblas_complex_numIfEPS3_EEviiT0_iil.kd
    .uniform_work_group_size: 1
    .uses_dynamic_stack: false
    .vgpr_count:     7
    .vgpr_spill_count: 0
    .wavefront_size: 32
    .workgroup_processor_mode: 1
  - .args:
      - .offset:         0
        .size:           4
        .value_kind:     by_value
      - .offset:         4
        .size:           4
        .value_kind:     by_value
      - .offset:         8
        .size:           4
        .value_kind:     by_value
      - .offset:         12
        .size:           4
        .value_kind:     by_value
      - .offset:         16
        .size:           4
        .value_kind:     by_value
      - .address_space:  global
        .offset:         24
        .size:           8
        .value_kind:     global_buffer
      - .offset:         32
        .size:           8
        .value_kind:     by_value
      - .address_space:  global
        .offset:         40
        .size:           8
        .value_kind:     global_buffer
      - .offset:         48
        .size:           8
        .value_kind:     by_value
      - .address_space:  global
        .offset:         56
        .size:           8
        .value_kind:     global_buffer
      - .offset:         64
        .size:           8
        .value_kind:     by_value
      - .offset:         72
        .size:           4
        .value_kind:     by_value
      - .offset:         80
        .size:           8
        .value_kind:     by_value
      - .offset:         88
        .size:           4
        .value_kind:     by_value
      - .offset:         96
        .size:           4
        .value_kind:     hidden_block_count_x
      - .offset:         100
        .size:           4
        .value_kind:     hidden_block_count_y
      - .offset:         104
        .size:           4
        .value_kind:     hidden_block_count_z
      - .offset:         108
        .size:           2
        .value_kind:     hidden_group_size_x
      - .offset:         110
        .size:           2
        .value_kind:     hidden_group_size_y
      - .offset:         112
        .size:           2
        .value_kind:     hidden_group_size_z
      - .offset:         114
        .size:           2
        .value_kind:     hidden_remainder_x
      - .offset:         116
        .size:           2
        .value_kind:     hidden_remainder_y
      - .offset:         118
        .size:           2
        .value_kind:     hidden_remainder_z
      - .offset:         136
        .size:           8
        .value_kind:     hidden_global_offset_x
      - .offset:         144
        .size:           8
        .value_kind:     hidden_global_offset_y
      - .offset:         152
        .size:           8
        .value_kind:     hidden_global_offset_z
      - .offset:         160
        .size:           2
        .value_kind:     hidden_grid_dims
    .group_segment_fixed_size: 0
    .kernarg_segment_align: 8
    .kernarg_segment_size: 352
    .language:       OpenCL C
    .language_version:
      - 2
      - 0
    .max_flat_workgroup_size: 64
    .name:           _ZN9rocsolver6v33100L11lasr_kernelI19rocblas_complex_numIfEfPS3_iEEv13rocblas_side_14rocblas_pivot_15rocblas_direct_T2_S8_PT0_lSA_lT1_lS8_lS8_
    .private_segment_fixed_size: 0
    .sgpr_count:     89
    .sgpr_spill_count: 0
    .symbol:         _ZN9rocsolver6v33100L11lasr_kernelI19rocblas_complex_numIfEfPS3_iEEv13rocblas_side_14rocblas_pivot_15rocblas_direct_T2_S8_PT0_lSA_lT1_lS8_lS8_.kd
    .uniform_work_group_size: 1
    .uses_dynamic_stack: false
    .vgpr_count:     47
    .vgpr_spill_count: 0
    .wavefront_size: 32
    .workgroup_processor_mode: 1
  - .args:
      - .offset:         0
        .size:           4
        .value_kind:     by_value
      - .address_space:  global
        .offset:         8
        .size:           8
        .value_kind:     global_buffer
      - .offset:         16
        .size:           4
        .value_kind:     by_value
      - .address_space:  global
        .offset:         24
        .size:           8
        .value_kind:     global_buffer
      - .offset:         32
        .size:           4
        .value_kind:     by_value
      - .offset:         40
        .size:           4
        .value_kind:     hidden_block_count_x
      - .offset:         44
        .size:           4
        .value_kind:     hidden_block_count_y
      - .offset:         48
        .size:           4
        .value_kind:     hidden_block_count_z
      - .offset:         52
        .size:           2
        .value_kind:     hidden_group_size_x
      - .offset:         54
        .size:           2
        .value_kind:     hidden_group_size_y
      - .offset:         56
        .size:           2
        .value_kind:     hidden_group_size_z
      - .offset:         58
        .size:           2
        .value_kind:     hidden_remainder_x
      - .offset:         60
        .size:           2
        .value_kind:     hidden_remainder_y
      - .offset:         62
        .size:           2
        .value_kind:     hidden_remainder_z
      - .offset:         80
        .size:           8
        .value_kind:     hidden_global_offset_x
      - .offset:         88
        .size:           8
        .value_kind:     hidden_global_offset_y
      - .offset:         96
        .size:           8
        .value_kind:     hidden_global_offset_z
      - .offset:         104
        .size:           2
        .value_kind:     hidden_grid_dims
    .group_segment_fixed_size: 0
    .kernarg_segment_align: 8
    .kernarg_segment_size: 296
    .language:       OpenCL C
    .language_version:
      - 2
      - 0
    .max_flat_workgroup_size: 1024
    .name:           _ZN9rocsolver6v33100L11swap_kernelI19rocblas_complex_numIfEiEEvT0_PT_S4_S6_S4_
    .private_segment_fixed_size: 0
    .sgpr_count:     18
    .sgpr_spill_count: 0
    .symbol:         _ZN9rocsolver6v33100L11swap_kernelI19rocblas_complex_numIfEiEEvT0_PT_S4_S6_S4_.kd
    .uniform_work_group_size: 1
    .uses_dynamic_stack: false
    .vgpr_count:     12
    .vgpr_spill_count: 0
    .wavefront_size: 32
    .workgroup_processor_mode: 1
  - .args:
      - .offset:         0
        .size:           4
        .value_kind:     by_value
      - .address_space:  global
        .offset:         8
        .size:           8
        .value_kind:     global_buffer
      - .offset:         16
        .size:           8
        .value_kind:     by_value
      - .address_space:  global
        .offset:         24
        .size:           8
        .value_kind:     global_buffer
      - .offset:         32
        .size:           8
        .value_kind:     by_value
      - .address_space:  global
        .offset:         40
        .size:           8
        .value_kind:     global_buffer
      - .offset:         48
        .size:           4
        .value_kind:     by_value
      - .offset:         52
        .size:           4
        .value_kind:     by_value
      - .offset:         56
        .size:           8
        .value_kind:     by_value
      - .address_space:  global
        .offset:         64
        .size:           8
        .value_kind:     global_buffer
      - .address_space:  global
        .offset:         72
        .size:           8
        .value_kind:     global_buffer
      - .offset:         80
        .size:           4
        .value_kind:     by_value
      - .offset:         84
        .size:           4
        .value_kind:     by_value
      - .offset:         88
        .size:           4
        .value_kind:     by_value
      - .offset:         92
        .size:           4
        .value_kind:     by_value
      - .offset:         96
        .size:           4
        .value_kind:     hidden_block_count_x
      - .offset:         100
        .size:           4
        .value_kind:     hidden_block_count_y
      - .offset:         104
        .size:           4
        .value_kind:     hidden_block_count_z
      - .offset:         108
        .size:           2
        .value_kind:     hidden_group_size_x
      - .offset:         110
        .size:           2
        .value_kind:     hidden_group_size_y
      - .offset:         112
        .size:           2
        .value_kind:     hidden_group_size_z
      - .offset:         114
        .size:           2
        .value_kind:     hidden_remainder_x
      - .offset:         116
        .size:           2
        .value_kind:     hidden_remainder_y
      - .offset:         118
        .size:           2
        .value_kind:     hidden_remainder_z
      - .offset:         136
        .size:           8
        .value_kind:     hidden_global_offset_x
      - .offset:         144
        .size:           8
        .value_kind:     hidden_global_offset_y
      - .offset:         152
        .size:           8
        .value_kind:     hidden_global_offset_z
      - .offset:         160
        .size:           2
        .value_kind:     hidden_grid_dims
    .group_segment_fixed_size: 36
    .kernarg_segment_align: 8
    .kernarg_segment_size: 352
    .language:       OpenCL C
    .language_version:
      - 2
      - 0
    .max_flat_workgroup_size: 1024
    .name:           _ZN9rocsolver6v33100L12steqr_kernelI19rocblas_complex_numIfEfPS3_EEviPT0_lS6_lT1_iilPiS6_iS5_S5_S5_
    .private_segment_fixed_size: 0
    .sgpr_count:     88
    .sgpr_spill_count: 0
    .symbol:         _ZN9rocsolver6v33100L12steqr_kernelI19rocblas_complex_numIfEfPS3_EEviPT0_lS6_lT1_iilPiS6_iS5_S5_S5_.kd
    .uniform_work_group_size: 1
    .uses_dynamic_stack: false
    .vgpr_count:     66
    .vgpr_spill_count: 0
    .wavefront_size: 32
    .workgroup_processor_mode: 1
  - .args:
      - .offset:         0
        .size:           4
        .value_kind:     by_value
      - .offset:         4
        .size:           4
        .value_kind:     by_value
      - .offset:         8
        .size:           4
        .value_kind:     by_value
      - .address_space:  global
        .offset:         16
        .size:           8
        .value_kind:     global_buffer
      - .offset:         24
        .size:           4
        .value_kind:     by_value
      - .offset:         28
        .size:           4
        .value_kind:     by_value
      - .offset:         32
        .size:           8
        .value_kind:     by_value
      - .address_space:  global
        .offset:         40
        .size:           8
        .value_kind:     global_buffer
      - .offset:         48
        .size:           4
        .value_kind:     by_value
      - .offset:         52
        .size:           4
        .value_kind:     by_value
      - .offset:         56
        .size:           4
        .value_kind:     hidden_block_count_x
      - .offset:         60
        .size:           4
        .value_kind:     hidden_block_count_y
      - .offset:         64
        .size:           4
        .value_kind:     hidden_block_count_z
      - .offset:         68
        .size:           2
        .value_kind:     hidden_group_size_x
      - .offset:         70
        .size:           2
        .value_kind:     hidden_group_size_y
      - .offset:         72
        .size:           2
        .value_kind:     hidden_group_size_z
      - .offset:         74
        .size:           2
        .value_kind:     hidden_remainder_x
      - .offset:         76
        .size:           2
        .value_kind:     hidden_remainder_y
      - .offset:         78
        .size:           2
        .value_kind:     hidden_remainder_z
      - .offset:         96
        .size:           8
        .value_kind:     hidden_global_offset_x
      - .offset:         104
        .size:           8
        .value_kind:     hidden_global_offset_y
      - .offset:         112
        .size:           8
        .value_kind:     hidden_global_offset_z
      - .offset:         120
        .size:           2
        .value_kind:     hidden_grid_dims
    .group_segment_fixed_size: 0
    .kernarg_segment_align: 8
    .kernarg_segment_size: 312
    .language:       OpenCL C
    .language_version:
      - 2
      - 0
    .max_flat_workgroup_size: 1024
    .name:           _ZN9rocsolver6v33100L8copy_matI19rocblas_complex_numIfEfLb0EPS3_TnNSt9enable_ifIX18rocblas_is_complexIT_EEiE4typeELi0EEEvNS0_17copymat_directionEiiT2_iilPT0_13rocblas_fill_17rocblas_diagonal_
    .private_segment_fixed_size: 0
    .sgpr_count:     21
    .sgpr_spill_count: 0
    .symbol:         _ZN9rocsolver6v33100L8copy_matI19rocblas_complex_numIfEfLb0EPS3_TnNSt9enable_ifIX18rocblas_is_complexIT_EEiE4typeELi0EEEvNS0_17copymat_directionEiiT2_iilPT0_13rocblas_fill_17rocblas_diagonal_.kd
    .uniform_work_group_size: 1
    .uses_dynamic_stack: false
    .vgpr_count:     7
    .vgpr_spill_count: 0
    .wavefront_size: 32
    .workgroup_processor_mode: 1
  - .args:
      - .offset:         0
        .size:           4
        .value_kind:     by_value
      - .offset:         4
        .size:           4
        .value_kind:     by_value
      - .address_space:  global
        .offset:         8
        .size:           8
        .value_kind:     global_buffer
      - .offset:         16
        .size:           4
        .value_kind:     by_value
      - .offset:         20
        .size:           4
        .value_kind:     by_value
      - .offset:         24
        .size:           8
        .value_kind:     by_value
      - .offset:         32
        .size:           4
        .value_kind:     by_value
      - .offset:         40
        .size:           4
        .value_kind:     hidden_block_count_x
      - .offset:         44
        .size:           4
        .value_kind:     hidden_block_count_y
      - .offset:         48
        .size:           4
        .value_kind:     hidden_block_count_z
      - .offset:         52
        .size:           2
        .value_kind:     hidden_group_size_x
      - .offset:         54
        .size:           2
        .value_kind:     hidden_group_size_y
      - .offset:         56
        .size:           2
        .value_kind:     hidden_group_size_z
      - .offset:         58
        .size:           2
        .value_kind:     hidden_remainder_x
      - .offset:         60
        .size:           2
        .value_kind:     hidden_remainder_y
      - .offset:         62
        .size:           2
        .value_kind:     hidden_remainder_z
      - .offset:         80
        .size:           8
        .value_kind:     hidden_global_offset_x
      - .offset:         88
        .size:           8
        .value_kind:     hidden_global_offset_y
      - .offset:         96
        .size:           8
        .value_kind:     hidden_global_offset_z
      - .offset:         104
        .size:           2
        .value_kind:     hidden_grid_dims
    .group_segment_fixed_size: 0
    .kernarg_segment_align: 8
    .kernarg_segment_size: 296
    .language:       OpenCL C
    .language_version:
      - 2
      - 0
    .max_flat_workgroup_size: 1024
    .name:           _ZN9rocsolver6v33100L8set_zeroI19rocblas_complex_numIfEPS3_EEviiT0_iil13rocblas_fill_
    .private_segment_fixed_size: 0
    .sgpr_count:     18
    .sgpr_spill_count: 0
    .symbol:         _ZN9rocsolver6v33100L8set_zeroI19rocblas_complex_numIfEPS3_EEviiT0_iil13rocblas_fill_.kd
    .uniform_work_group_size: 1
    .uses_dynamic_stack: false
    .vgpr_count:     5
    .vgpr_spill_count: 0
    .wavefront_size: 32
    .workgroup_processor_mode: 1
  - .args:
      - .offset:         0
        .size:           4
        .value_kind:     by_value
      - .offset:         4
        .size:           4
        .value_kind:     by_value
      - .offset:         8
        .size:           4
        .value_kind:     by_value
      - .address_space:  global
        .offset:         16
        .size:           8
        .value_kind:     global_buffer
      - .offset:         24
        .size:           4
        .value_kind:     by_value
      - .offset:         28
        .size:           4
        .value_kind:     by_value
      - .offset:         32
        .size:           8
        .value_kind:     by_value
      - .address_space:  global
        .offset:         40
        .size:           8
        .value_kind:     global_buffer
      - .offset:         48
        .size:           4
        .value_kind:     by_value
      - .offset:         52
        .size:           4
        .value_kind:     by_value
      - .offset:         56
        .size:           4
        .value_kind:     hidden_block_count_x
      - .offset:         60
        .size:           4
        .value_kind:     hidden_block_count_y
      - .offset:         64
        .size:           4
        .value_kind:     hidden_block_count_z
      - .offset:         68
        .size:           2
        .value_kind:     hidden_group_size_x
      - .offset:         70
        .size:           2
        .value_kind:     hidden_group_size_y
      - .offset:         72
        .size:           2
        .value_kind:     hidden_group_size_z
      - .offset:         74
        .size:           2
        .value_kind:     hidden_remainder_x
      - .offset:         76
        .size:           2
        .value_kind:     hidden_remainder_y
      - .offset:         78
        .size:           2
        .value_kind:     hidden_remainder_z
      - .offset:         96
        .size:           8
        .value_kind:     hidden_global_offset_x
      - .offset:         104
        .size:           8
        .value_kind:     hidden_global_offset_y
      - .offset:         112
        .size:           8
        .value_kind:     hidden_global_offset_z
      - .offset:         120
        .size:           2
        .value_kind:     hidden_grid_dims
    .group_segment_fixed_size: 0
    .kernarg_segment_align: 8
    .kernarg_segment_size: 312
    .language:       OpenCL C
    .language_version:
      - 2
      - 0
    .max_flat_workgroup_size: 1024
    .name:           _ZN9rocsolver6v33100L8copy_matI19rocblas_complex_numIfEfLb1EPS3_TnNSt9enable_ifIX18rocblas_is_complexIT_EEiE4typeELi0EEEvNS0_17copymat_directionEiiT2_iilPT0_13rocblas_fill_17rocblas_diagonal_
    .private_segment_fixed_size: 0
    .sgpr_count:     20
    .sgpr_spill_count: 0
    .symbol:         _ZN9rocsolver6v33100L8copy_matI19rocblas_complex_numIfEfLb1EPS3_TnNSt9enable_ifIX18rocblas_is_complexIT_EEiE4typeELi0EEEvNS0_17copymat_directionEiiT2_iilPT0_13rocblas_fill_17rocblas_diagonal_.kd
    .uniform_work_group_size: 1
    .uses_dynamic_stack: false
    .vgpr_count:     7
    .vgpr_spill_count: 0
    .wavefront_size: 32
    .workgroup_processor_mode: 1
  - .args:
      - .offset:         0
        .size:           4
        .value_kind:     by_value
      - .address_space:  global
        .offset:         8
        .size:           8
        .value_kind:     global_buffer
      - .offset:         16
        .size:           4
        .value_kind:     by_value
      - .offset:         20
        .size:           4
        .value_kind:     by_value
      - .offset:         24
        .size:           8
        .value_kind:     by_value
      - .address_space:  global
        .offset:         32
        .size:           8
        .value_kind:     global_buffer
      - .offset:         40
        .size:           4
        .value_kind:     by_value
      - .offset:         44
        .size:           4
        .value_kind:     by_value
      - .offset:         48
        .size:           8
        .value_kind:     by_value
      - .offset:         56
        .size:           4
        .value_kind:     hidden_block_count_x
      - .offset:         60
        .size:           4
        .value_kind:     hidden_block_count_y
      - .offset:         64
        .size:           4
        .value_kind:     hidden_block_count_z
      - .offset:         68
        .size:           2
        .value_kind:     hidden_group_size_x
      - .offset:         70
        .size:           2
        .value_kind:     hidden_group_size_y
      - .offset:         72
        .size:           2
        .value_kind:     hidden_group_size_z
      - .offset:         74
        .size:           2
        .value_kind:     hidden_remainder_x
      - .offset:         76
        .size:           2
        .value_kind:     hidden_remainder_y
      - .offset:         78
        .size:           2
        .value_kind:     hidden_remainder_z
      - .offset:         96
        .size:           8
        .value_kind:     hidden_global_offset_x
      - .offset:         104
        .size:           8
        .value_kind:     hidden_global_offset_y
      - .offset:         112
        .size:           8
        .value_kind:     hidden_global_offset_z
      - .offset:         120
        .size:           2
        .value_kind:     hidden_grid_dims
    .group_segment_fixed_size: 0
    .kernarg_segment_align: 8
    .kernarg_segment_size: 312
    .language:       OpenCL C
    .language_version:
      - 2
      - 0
    .max_flat_workgroup_size: 512
    .name:           _ZN9rocsolver6v33100L11stedc_copyCI19rocblas_complex_numIfEPS3_S4_EEviT0_iilT1_iil
    .private_segment_fixed_size: 0
    .sgpr_count:     42
    .sgpr_spill_count: 0
    .symbol:         _ZN9rocsolver6v33100L11stedc_copyCI19rocblas_complex_numIfEPS3_S4_EEviT0_iilT1_iil.kd
    .uniform_work_group_size: 1
    .uses_dynamic_stack: false
    .vgpr_count:     66
    .vgpr_spill_count: 0
    .wavefront_size: 32
    .workgroup_processor_mode: 1
  - .args:
      - .offset:         0
        .size:           4
        .value_kind:     by_value
      - .address_space:  global
        .offset:         8
        .size:           8
        .value_kind:     global_buffer
      - .offset:         16
        .size:           8
        .value_kind:     by_value
      - .address_space:  global
        .offset:         24
        .size:           8
        .value_kind:     global_buffer
      - .offset:         32
        .size:           8
        .value_kind:     by_value
      - .address_space:  global
        .offset:         40
        .size:           8
        .value_kind:     global_buffer
      - .offset:         48
        .size:           4
        .value_kind:     by_value
      - .offset:         52
        .size:           4
        .value_kind:     by_value
      - .offset:         56
        .size:           8
        .value_kind:     by_value
      - .address_space:  global
        .offset:         64
        .size:           8
        .value_kind:     global_buffer
      - .offset:         72
        .size:           4
        .value_kind:     by_value
      - .offset:         76
        .size:           4
        .value_kind:     by_value
      - .offset:         80
        .size:           8
        .value_kind:     by_value
      - .offset:         88
        .size:           4
        .value_kind:     hidden_block_count_x
      - .offset:         92
        .size:           4
        .value_kind:     hidden_block_count_y
      - .offset:         96
        .size:           4
        .value_kind:     hidden_block_count_z
      - .offset:         100
        .size:           2
        .value_kind:     hidden_group_size_x
      - .offset:         102
        .size:           2
        .value_kind:     hidden_group_size_y
      - .offset:         104
        .size:           2
        .value_kind:     hidden_group_size_z
      - .offset:         106
        .size:           2
        .value_kind:     hidden_remainder_x
      - .offset:         108
        .size:           2
        .value_kind:     hidden_remainder_y
      - .offset:         110
        .size:           2
        .value_kind:     hidden_remainder_z
      - .offset:         128
        .size:           8
        .value_kind:     hidden_global_offset_x
      - .offset:         136
        .size:           8
        .value_kind:     hidden_global_offset_y
      - .offset:         144
        .size:           8
        .value_kind:     hidden_global_offset_z
      - .offset:         152
        .size:           2
        .value_kind:     hidden_grid_dims
    .group_segment_fixed_size: 2048
    .kernarg_segment_align: 8
    .kernarg_segment_size: 344
    .language:       OpenCL C
    .language_version:
      - 2
      - 0
    .max_flat_workgroup_size: 512
    .name:           _ZN9rocsolver6v33100L10stedc_sortI19rocblas_complex_numIfEfPS3_S4_EEviPT0_lS6_lT1_iilT2_iil
    .private_segment_fixed_size: 0
    .sgpr_count:     57
    .sgpr_spill_count: 0
    .symbol:         _ZN9rocsolver6v33100L10stedc_sortI19rocblas_complex_numIfEfPS3_S4_EEviPT0_lS6_lT1_iilT2_iil.kd
    .uniform_work_group_size: 1
    .uses_dynamic_stack: false
    .vgpr_count:     66
    .vgpr_spill_count: 0
    .wavefront_size: 32
    .workgroup_processor_mode: 1
  - .args:
      - .offset:         0
        .size:           4
        .value_kind:     by_value
      - .offset:         4
        .size:           4
        .value_kind:     by_value
      - .address_space:  global
        .offset:         8
        .size:           8
        .value_kind:     global_buffer
      - .offset:         16
        .size:           8
        .value_kind:     by_value
      - .offset:         24
        .size:           4
        .value_kind:     by_value
      - .offset:         32
        .size:           8
        .value_kind:     by_value
      - .offset:         40
        .size:           4
        .value_kind:     hidden_block_count_x
      - .offset:         44
        .size:           4
        .value_kind:     hidden_block_count_y
      - .offset:         48
        .size:           4
        .value_kind:     hidden_block_count_z
      - .offset:         52
        .size:           2
        .value_kind:     hidden_group_size_x
      - .offset:         54
        .size:           2
        .value_kind:     hidden_group_size_y
      - .offset:         56
        .size:           2
        .value_kind:     hidden_group_size_z
      - .offset:         58
        .size:           2
        .value_kind:     hidden_remainder_x
      - .offset:         60
        .size:           2
        .value_kind:     hidden_remainder_y
      - .offset:         62
        .size:           2
        .value_kind:     hidden_remainder_z
      - .offset:         80
        .size:           8
        .value_kind:     hidden_global_offset_x
      - .offset:         88
        .size:           8
        .value_kind:     hidden_global_offset_y
      - .offset:         96
        .size:           8
        .value_kind:     hidden_global_offset_z
      - .offset:         104
        .size:           2
        .value_kind:     hidden_grid_dims
    .group_segment_fixed_size: 0
    .kernarg_segment_align: 8
    .kernarg_segment_size: 296
    .language:       OpenCL C
    .language_version:
      - 2
      - 0
    .max_flat_workgroup_size: 1024
    .name:           _ZN9rocsolver6v33100L13conj_in_placeI19rocblas_complex_numIfEiPS3_TnNSt9enable_ifIX18rocblas_is_complexIT_EEiE4typeELi0EEEvT0_S9_T1_lS9_l
    .private_segment_fixed_size: 0
    .sgpr_count:     18
    .sgpr_spill_count: 0
    .symbol:         _ZN9rocsolver6v33100L13conj_in_placeI19rocblas_complex_numIfEiPS3_TnNSt9enable_ifIX18rocblas_is_complexIT_EEiE4typeELi0EEEvT0_S9_T1_lS9_l.kd
    .uniform_work_group_size: 1
    .uses_dynamic_stack: false
    .vgpr_count:     7
    .vgpr_spill_count: 0
    .wavefront_size: 32
    .workgroup_processor_mode: 1
  - .args:
      - .address_space:  global
        .offset:         0
        .size:           8
        .value_kind:     global_buffer
      - .offset:         8
        .size:           8
        .value_kind:     by_value
      - .offset:         16
        .size:           8
        .value_kind:     by_value
      - .address_space:  global
        .offset:         24
        .size:           8
        .value_kind:     global_buffer
      - .offset:         32
        .size:           8
        .value_kind:     by_value
      - .offset:         40
        .size:           4
        .value_kind:     by_value
      - .offset:         48
        .size:           8
        .value_kind:     by_value
      - .offset:         56
        .size:           4
        .value_kind:     by_value
      - .offset:         60
        .size:           1
        .value_kind:     by_value
      - .offset:         64
        .size:           4
        .value_kind:     hidden_block_count_x
      - .offset:         68
        .size:           4
        .value_kind:     hidden_block_count_y
      - .offset:         72
        .size:           4
        .value_kind:     hidden_block_count_z
      - .offset:         76
        .size:           2
        .value_kind:     hidden_group_size_x
      - .offset:         78
        .size:           2
        .value_kind:     hidden_group_size_y
      - .offset:         80
        .size:           2
        .value_kind:     hidden_group_size_z
      - .offset:         82
        .size:           2
        .value_kind:     hidden_remainder_x
      - .offset:         84
        .size:           2
        .value_kind:     hidden_remainder_y
      - .offset:         86
        .size:           2
        .value_kind:     hidden_remainder_z
      - .offset:         104
        .size:           8
        .value_kind:     hidden_global_offset_x
      - .offset:         112
        .size:           8
        .value_kind:     hidden_global_offset_y
      - .offset:         120
        .size:           8
        .value_kind:     hidden_global_offset_z
      - .offset:         128
        .size:           2
        .value_kind:     hidden_grid_dims
    .group_segment_fixed_size: 0
    .kernarg_segment_align: 8
    .kernarg_segment_size: 320
    .language:       OpenCL C
    .language_version:
      - 2
      - 0
    .max_flat_workgroup_size: 1024
    .name:           _ZN9rocsolver6v33100L8set_diagI19rocblas_complex_numIfEiS3_PS3_TnNSt9enable_ifIXoont18rocblas_is_complexIT_E18rocblas_is_complexIT1_EEiE4typeELi0EEEvPS7_llT2_lT0_lSC_b
    .private_segment_fixed_size: 0
    .sgpr_count:     19
    .sgpr_spill_count: 0
    .symbol:         _ZN9rocsolver6v33100L8set_diagI19rocblas_complex_numIfEiS3_PS3_TnNSt9enable_ifIXoont18rocblas_is_complexIT_E18rocblas_is_complexIT1_EEiE4typeELi0EEEvPS7_llT2_lT0_lSC_b.kd
    .uniform_work_group_size: 1
    .uses_dynamic_stack: false
    .vgpr_count:     6
    .vgpr_spill_count: 0
    .wavefront_size: 32
    .workgroup_processor_mode: 1
  - .args:
      - .offset:         0
        .size:           4
        .value_kind:     by_value
      - .offset:         4
        .size:           4
        .value_kind:     by_value
      - .address_space:  global
        .offset:         8
        .size:           8
        .value_kind:     global_buffer
      - .offset:         16
        .size:           8
        .value_kind:     by_value
      - .offset:         24
        .size:           4
        .value_kind:     by_value
      - .offset:         32
        .size:           8
        .value_kind:     by_value
      - .address_space:  global
        .offset:         40
        .size:           8
        .value_kind:     global_buffer
      - .offset:         48
        .size:           8
        .value_kind:     by_value
      - .address_space:  global
        .offset:         56
        .size:           8
        .value_kind:     global_buffer
      - .offset:         64
        .size:           8
        .value_kind:     by_value
      - .offset:         72
        .size:           4
        .value_kind:     by_value
      - .offset:         80
        .size:           8
        .value_kind:     by_value
    .group_segment_fixed_size: 0
    .kernarg_segment_align: 8
    .kernarg_segment_size: 88
    .language:       OpenCL C
    .language_version:
      - 2
      - 0
    .max_flat_workgroup_size: 1024
    .name:           _ZN9rocsolver6v33100L16larf_left_kernelILi1024E19rocblas_complex_numIfEiPS3_EEvT1_S5_T2_lS5_lPKT0_lS6_lS5_l
    .private_segment_fixed_size: 0
    .sgpr_count:     33
    .sgpr_spill_count: 0
    .symbol:         _ZN9rocsolver6v33100L16larf_left_kernelILi1024E19rocblas_complex_numIfEiPS3_EEvT1_S5_T2_lS5_lPKT0_lS6_lS5_l.kd
    .uniform_work_group_size: 1
    .uses_dynamic_stack: false
    .vgpr_count:     17
    .vgpr_spill_count: 0
    .wavefront_size: 32
    .workgroup_processor_mode: 1
  - .args:
      - .offset:         0
        .size:           4
        .value_kind:     by_value
      - .offset:         4
        .size:           4
        .value_kind:     by_value
      - .address_space:  global
        .offset:         8
        .size:           8
        .value_kind:     global_buffer
      - .offset:         16
        .size:           8
        .value_kind:     by_value
      - .offset:         24
        .size:           4
        .value_kind:     by_value
      - .offset:         32
        .size:           8
        .value_kind:     by_value
      - .address_space:  global
        .offset:         40
        .size:           8
        .value_kind:     global_buffer
      - .offset:         48
        .size:           8
        .value_kind:     by_value
      - .address_space:  global
        .offset:         56
        .size:           8
        .value_kind:     global_buffer
      - .offset:         64
        .size:           8
        .value_kind:     by_value
      - .offset:         72
        .size:           4
        .value_kind:     by_value
      - .offset:         80
        .size:           8
        .value_kind:     by_value
    .group_segment_fixed_size: 0
    .kernarg_segment_align: 8
    .kernarg_segment_size: 88
    .language:       OpenCL C
    .language_version:
      - 2
      - 0
    .max_flat_workgroup_size: 1024
    .name:           _ZN9rocsolver6v33100L17larf_right_kernelILi1024E19rocblas_complex_numIfEiPS3_EEvT1_S5_T2_lS5_lPKT0_lS6_lS5_l
    .private_segment_fixed_size: 0
    .sgpr_count:     37
    .sgpr_spill_count: 0
    .symbol:         _ZN9rocsolver6v33100L17larf_right_kernelILi1024E19rocblas_complex_numIfEiPS3_EEvT1_S5_T2_lS5_lPKT0_lS6_lS5_l.kd
    .uniform_work_group_size: 1
    .uses_dynamic_stack: false
    .vgpr_count:     17
    .vgpr_spill_count: 0
    .wavefront_size: 32
    .workgroup_processor_mode: 1
  - .args:
      - .address_space:  global
        .offset:         0
        .size:           8
        .value_kind:     global_buffer
      - .offset:         8
        .size:           8
        .value_kind:     by_value
      - .offset:         16
        .size:           8
        .value_kind:     by_value
      - .address_space:  global
        .offset:         24
        .size:           8
        .value_kind:     global_buffer
      - .offset:         32
        .size:           8
        .value_kind:     by_value
      - .offset:         40
        .size:           4
        .value_kind:     by_value
      - .offset:         48
        .size:           8
        .value_kind:     by_value
      - .offset:         56
        .size:           4
        .value_kind:     by_value
      - .offset:         64
        .size:           4
        .value_kind:     hidden_block_count_x
      - .offset:         68
        .size:           4
        .value_kind:     hidden_block_count_y
      - .offset:         72
        .size:           4
        .value_kind:     hidden_block_count_z
      - .offset:         76
        .size:           2
        .value_kind:     hidden_group_size_x
      - .offset:         78
        .size:           2
        .value_kind:     hidden_group_size_y
      - .offset:         80
        .size:           2
        .value_kind:     hidden_group_size_z
      - .offset:         82
        .size:           2
        .value_kind:     hidden_remainder_x
      - .offset:         84
        .size:           2
        .value_kind:     hidden_remainder_y
      - .offset:         86
        .size:           2
        .value_kind:     hidden_remainder_z
      - .offset:         104
        .size:           8
        .value_kind:     hidden_global_offset_x
      - .offset:         112
        .size:           8
        .value_kind:     hidden_global_offset_y
      - .offset:         120
        .size:           8
        .value_kind:     hidden_global_offset_z
      - .offset:         128
        .size:           2
        .value_kind:     hidden_grid_dims
    .group_segment_fixed_size: 0
    .kernarg_segment_align: 8
    .kernarg_segment_size: 320
    .language:       OpenCL C
    .language_version:
      - 2
      - 0
    .max_flat_workgroup_size: 1024
    .name:           _ZN9rocsolver6v33100L12restore_diagI19rocblas_complex_numIfEiS3_PS3_EEvPT1_llT2_lT0_lS8_
    .private_segment_fixed_size: 0
    .sgpr_count:     19
    .sgpr_spill_count: 0
    .symbol:         _ZN9rocsolver6v33100L12restore_diagI19rocblas_complex_numIfEiS3_PS3_EEvPT1_llT2_lT0_lS8_.kd
    .uniform_work_group_size: 1
    .uses_dynamic_stack: false
    .vgpr_count:     4
    .vgpr_spill_count: 0
    .wavefront_size: 32
    .workgroup_processor_mode: 1
  - .args:
      - .offset:         0
        .size:           4
        .value_kind:     by_value
      - .offset:         4
        .size:           4
        .value_kind:     by_value
      - .address_space:  global
        .offset:         8
        .size:           8
        .value_kind:     global_buffer
      - .offset:         16
        .size:           4
        .value_kind:     by_value
      - .offset:         20
        .size:           4
        .value_kind:     by_value
      - .offset:         24
        .size:           8
        .value_kind:     by_value
      - .address_space:  global
        .offset:         32
        .size:           8
        .value_kind:     global_buffer
      - .offset:         40
        .size:           8
        .value_kind:     by_value
      - .address_space:  global
        .offset:         48
        .size:           8
        .value_kind:     global_buffer
      - .offset:         56
        .size:           4
        .value_kind:     by_value
      - .offset:         64
        .size:           8
        .value_kind:     by_value
      - .offset:         72
        .size:           4
        .value_kind:     by_value
      - .offset:         76
        .size:           4
        .value_kind:     by_value
      - .offset:         80
        .size:           1
        .value_kind:     by_value
      - .offset:         88
        .size:           4
        .value_kind:     hidden_block_count_x
      - .offset:         92
        .size:           4
        .value_kind:     hidden_block_count_y
      - .offset:         96
        .size:           4
        .value_kind:     hidden_block_count_z
      - .offset:         100
        .size:           2
        .value_kind:     hidden_group_size_x
      - .offset:         102
        .size:           2
        .value_kind:     hidden_group_size_y
      - .offset:         104
        .size:           2
        .value_kind:     hidden_group_size_z
      - .offset:         106
        .size:           2
        .value_kind:     hidden_remainder_x
      - .offset:         108
        .size:           2
        .value_kind:     hidden_remainder_y
      - .offset:         110
        .size:           2
        .value_kind:     hidden_remainder_z
      - .offset:         128
        .size:           8
        .value_kind:     hidden_global_offset_x
      - .offset:         136
        .size:           8
        .value_kind:     hidden_global_offset_y
      - .offset:         144
        .size:           8
        .value_kind:     hidden_global_offset_z
      - .offset:         152
        .size:           2
        .value_kind:     hidden_grid_dims
    .group_segment_fixed_size: 0
    .kernarg_segment_align: 8
    .kernarg_segment_size: 344
    .language:       OpenCL C
    .language_version:
      - 2
      - 0
    .max_flat_workgroup_size: 1024
    .name:           _ZN9rocsolver6v33100L14set_triangularI19rocblas_complex_numIfEPS3_TnNSt9enable_ifIX18rocblas_is_complexIT_EEiE4typeELi0EEEviiT0_iilPS6_lSA_il15rocblas_direct_15rocblas_storev_b
    .private_segment_fixed_size: 0
    .sgpr_count:     24
    .sgpr_spill_count: 0
    .symbol:         _ZN9rocsolver6v33100L14set_triangularI19rocblas_complex_numIfEPS3_TnNSt9enable_ifIX18rocblas_is_complexIT_EEiE4typeELi0EEEviiT0_iilPS6_lSA_il15rocblas_direct_15rocblas_storev_b.kd
    .uniform_work_group_size: 1
    .uses_dynamic_stack: false
    .vgpr_count:     16
    .vgpr_spill_count: 0
    .wavefront_size: 32
    .workgroup_processor_mode: 1
  - .args:
      - .offset:         0
        .size:           4
        .value_kind:     by_value
      - .address_space:  global
        .offset:         8
        .size:           8
        .value_kind:     global_buffer
      - .offset:         16
        .size:           8
        .value_kind:     by_value
      - .offset:         24
        .size:           4
        .value_kind:     hidden_block_count_x
      - .offset:         28
        .size:           4
        .value_kind:     hidden_block_count_y
      - .offset:         32
        .size:           4
        .value_kind:     hidden_block_count_z
      - .offset:         36
        .size:           2
        .value_kind:     hidden_group_size_x
      - .offset:         38
        .size:           2
        .value_kind:     hidden_group_size_y
      - .offset:         40
        .size:           2
        .value_kind:     hidden_group_size_z
      - .offset:         42
        .size:           2
        .value_kind:     hidden_remainder_x
      - .offset:         44
        .size:           2
        .value_kind:     hidden_remainder_y
      - .offset:         46
        .size:           2
        .value_kind:     hidden_remainder_z
      - .offset:         64
        .size:           8
        .value_kind:     hidden_global_offset_x
      - .offset:         72
        .size:           8
        .value_kind:     hidden_global_offset_y
      - .offset:         80
        .size:           8
        .value_kind:     hidden_global_offset_z
      - .offset:         88
        .size:           2
        .value_kind:     hidden_grid_dims
    .group_segment_fixed_size: 0
    .kernarg_segment_align: 8
    .kernarg_segment_size: 280
    .language:       OpenCL C
    .language_version:
      - 2
      - 0
    .max_flat_workgroup_size: 1024
    .name:           _ZN9rocsolver6v33100L7set_tauI19rocblas_complex_numIfEEEviPT_l
    .private_segment_fixed_size: 0
    .sgpr_count:     18
    .sgpr_spill_count: 0
    .symbol:         _ZN9rocsolver6v33100L7set_tauI19rocblas_complex_numIfEEEviPT_l.kd
    .uniform_work_group_size: 1
    .uses_dynamic_stack: false
    .vgpr_count:     4
    .vgpr_spill_count: 0
    .wavefront_size: 32
    .workgroup_processor_mode: 1
  - .args:
      - .offset:         0
        .size:           4
        .value_kind:     by_value
      - .offset:         4
        .size:           4
        .value_kind:     by_value
      - .offset:         8
        .size:           4
        .value_kind:     by_value
      - .address_space:  global
        .offset:         16
        .size:           8
        .value_kind:     global_buffer
      - .offset:         24
        .size:           4
        .value_kind:     by_value
      - .offset:         28
        .size:           4
        .value_kind:     by_value
      - .offset:         32
        .size:           8
        .value_kind:     by_value
      - .address_space:  global
        .offset:         40
        .size:           8
        .value_kind:     global_buffer
      - .offset:         48
        .size:           8
        .value_kind:     by_value
      - .address_space:  global
        .offset:         56
        .size:           8
        .value_kind:     global_buffer
      - .offset:         64
        .size:           4
        .value_kind:     by_value
      - .offset:         72
        .size:           8
        .value_kind:     by_value
      - .offset:         80
        .size:           4
        .value_kind:     hidden_block_count_x
      - .offset:         84
        .size:           4
        .value_kind:     hidden_block_count_y
      - .offset:         88
        .size:           4
        .value_kind:     hidden_block_count_z
      - .offset:         92
        .size:           2
        .value_kind:     hidden_group_size_x
      - .offset:         94
        .size:           2
        .value_kind:     hidden_group_size_y
      - .offset:         96
        .size:           2
        .value_kind:     hidden_group_size_z
      - .offset:         98
        .size:           2
        .value_kind:     hidden_remainder_x
      - .offset:         100
        .size:           2
        .value_kind:     hidden_remainder_y
      - .offset:         102
        .size:           2
        .value_kind:     hidden_remainder_z
      - .offset:         120
        .size:           8
        .value_kind:     hidden_global_offset_x
      - .offset:         128
        .size:           8
        .value_kind:     hidden_global_offset_y
      - .offset:         136
        .size:           8
        .value_kind:     hidden_global_offset_z
      - .offset:         144
        .size:           2
        .value_kind:     hidden_grid_dims
      - .offset:         200
        .size:           4
        .value_kind:     hidden_dynamic_lds_size
    .group_segment_fixed_size: 0
    .kernarg_segment_align: 8
    .kernarg_segment_size: 336
    .language:       OpenCL C
    .language_version:
      - 2
      - 0
    .max_flat_workgroup_size: 1024
    .name:           _ZN9rocsolver6v33100L20larft_kernel_forwardI19rocblas_complex_numIfEPS3_EEv15rocblas_storev_iiT0_iilPT_lS8_il
    .private_segment_fixed_size: 0
    .sgpr_count:     46
    .sgpr_spill_count: 0
    .symbol:         _ZN9rocsolver6v33100L20larft_kernel_forwardI19rocblas_complex_numIfEPS3_EEv15rocblas_storev_iiT0_iilPT_lS8_il.kd
    .uniform_work_group_size: 1
    .uses_dynamic_stack: false
    .vgpr_count:     20
    .vgpr_spill_count: 0
    .wavefront_size: 32
    .workgroup_processor_mode: 1
  - .args:
      - .offset:         0
        .size:           4
        .value_kind:     by_value
      - .offset:         4
        .size:           4
        .value_kind:     by_value
      - .offset:         8
        .size:           4
        .value_kind:     by_value
      - .address_space:  global
        .offset:         16
        .size:           8
        .value_kind:     global_buffer
      - .offset:         24
        .size:           4
        .value_kind:     by_value
      - .offset:         28
        .size:           4
        .value_kind:     by_value
      - .offset:         32
        .size:           8
        .value_kind:     by_value
      - .address_space:  global
        .offset:         40
        .size:           8
        .value_kind:     global_buffer
      - .offset:         48
        .size:           8
        .value_kind:     by_value
      - .address_space:  global
        .offset:         56
        .size:           8
        .value_kind:     global_buffer
      - .offset:         64
        .size:           4
        .value_kind:     by_value
      - .offset:         72
        .size:           8
        .value_kind:     by_value
      - .offset:         80
        .size:           4
        .value_kind:     hidden_block_count_x
      - .offset:         84
        .size:           4
        .value_kind:     hidden_block_count_y
      - .offset:         88
        .size:           4
        .value_kind:     hidden_block_count_z
      - .offset:         92
        .size:           2
        .value_kind:     hidden_group_size_x
      - .offset:         94
        .size:           2
        .value_kind:     hidden_group_size_y
      - .offset:         96
        .size:           2
        .value_kind:     hidden_group_size_z
      - .offset:         98
        .size:           2
        .value_kind:     hidden_remainder_x
      - .offset:         100
        .size:           2
        .value_kind:     hidden_remainder_y
      - .offset:         102
        .size:           2
        .value_kind:     hidden_remainder_z
      - .offset:         120
        .size:           8
        .value_kind:     hidden_global_offset_x
      - .offset:         128
        .size:           8
        .value_kind:     hidden_global_offset_y
      - .offset:         136
        .size:           8
        .value_kind:     hidden_global_offset_z
      - .offset:         144
        .size:           2
        .value_kind:     hidden_grid_dims
      - .offset:         200
        .size:           4
        .value_kind:     hidden_dynamic_lds_size
    .group_segment_fixed_size: 0
    .kernarg_segment_align: 8
    .kernarg_segment_size: 336
    .language:       OpenCL C
    .language_version:
      - 2
      - 0
    .max_flat_workgroup_size: 1024
    .name:           _ZN9rocsolver6v33100L21larft_kernel_backwardI19rocblas_complex_numIfEPS3_EEv15rocblas_storev_iiT0_iilPT_lS8_il
    .private_segment_fixed_size: 0
    .sgpr_count:     48
    .sgpr_spill_count: 0
    .symbol:         _ZN9rocsolver6v33100L21larft_kernel_backwardI19rocblas_complex_numIfEPS3_EEv15rocblas_storev_iiT0_iilPT_lS8_il.kd
    .uniform_work_group_size: 1
    .uses_dynamic_stack: false
    .vgpr_count:     17
    .vgpr_spill_count: 0
    .wavefront_size: 32
    .workgroup_processor_mode: 1
  - .args:
      - .offset:         0
        .size:           4
        .value_kind:     by_value
      - .offset:         4
        .size:           4
        .value_kind:     by_value
      - .address_space:  global
        .offset:         8
        .size:           8
        .value_kind:     global_buffer
      - .offset:         16
        .size:           4
        .value_kind:     by_value
      - .offset:         20
        .size:           4
        .value_kind:     by_value
      - .offset:         24
        .size:           8
        .value_kind:     by_value
      - .address_space:  global
        .offset:         32
        .size:           8
        .value_kind:     global_buffer
      - .offset:         40
        .size:           4
        .value_kind:     hidden_block_count_x
      - .offset:         44
        .size:           4
        .value_kind:     hidden_block_count_y
      - .offset:         48
        .size:           4
        .value_kind:     hidden_block_count_z
      - .offset:         52
        .size:           2
        .value_kind:     hidden_group_size_x
      - .offset:         54
        .size:           2
        .value_kind:     hidden_group_size_y
      - .offset:         56
        .size:           2
        .value_kind:     hidden_group_size_z
      - .offset:         58
        .size:           2
        .value_kind:     hidden_remainder_x
      - .offset:         60
        .size:           2
        .value_kind:     hidden_remainder_y
      - .offset:         62
        .size:           2
        .value_kind:     hidden_remainder_z
      - .offset:         80
        .size:           8
        .value_kind:     hidden_global_offset_x
      - .offset:         88
        .size:           8
        .value_kind:     hidden_global_offset_y
      - .offset:         96
        .size:           8
        .value_kind:     hidden_global_offset_z
      - .offset:         104
        .size:           2
        .value_kind:     hidden_grid_dims
    .group_segment_fixed_size: 0
    .kernarg_segment_align: 8
    .kernarg_segment_size: 296
    .language:       OpenCL C
    .language_version:
      - 2
      - 0
    .max_flat_workgroup_size: 1024
    .name:           _ZN9rocsolver6v33100L9copymatA1I19rocblas_complex_numIfEPS3_EEviiT0_iilPT_
    .private_segment_fixed_size: 0
    .sgpr_count:     18
    .sgpr_spill_count: 0
    .symbol:         _ZN9rocsolver6v33100L9copymatA1I19rocblas_complex_numIfEPS3_EEviiT0_iilPT_.kd
    .uniform_work_group_size: 1
    .uses_dynamic_stack: false
    .vgpr_count:     8
    .vgpr_spill_count: 0
    .wavefront_size: 32
    .workgroup_processor_mode: 1
  - .args:
      - .offset:         0
        .size:           4
        .value_kind:     by_value
      - .offset:         4
        .size:           4
        .value_kind:     by_value
      - .address_space:  global
        .offset:         8
        .size:           8
        .value_kind:     global_buffer
      - .offset:         16
        .size:           4
        .value_kind:     by_value
      - .offset:         20
        .size:           4
        .value_kind:     by_value
      - .offset:         24
        .size:           8
        .value_kind:     by_value
      - .address_space:  global
        .offset:         32
        .size:           8
        .value_kind:     global_buffer
      - .offset:         40
        .size:           4
        .value_kind:     hidden_block_count_x
      - .offset:         44
        .size:           4
        .value_kind:     hidden_block_count_y
      - .offset:         48
        .size:           4
        .value_kind:     hidden_block_count_z
      - .offset:         52
        .size:           2
        .value_kind:     hidden_group_size_x
      - .offset:         54
        .size:           2
        .value_kind:     hidden_group_size_y
      - .offset:         56
        .size:           2
        .value_kind:     hidden_group_size_z
      - .offset:         58
        .size:           2
        .value_kind:     hidden_remainder_x
      - .offset:         60
        .size:           2
        .value_kind:     hidden_remainder_y
      - .offset:         62
        .size:           2
        .value_kind:     hidden_remainder_z
      - .offset:         80
        .size:           8
        .value_kind:     hidden_global_offset_x
      - .offset:         88
        .size:           8
        .value_kind:     hidden_global_offset_y
      - .offset:         96
        .size:           8
        .value_kind:     hidden_global_offset_z
      - .offset:         104
        .size:           2
        .value_kind:     hidden_grid_dims
    .group_segment_fixed_size: 0
    .kernarg_segment_align: 8
    .kernarg_segment_size: 296
    .language:       OpenCL C
    .language_version:
      - 2
      - 0
    .max_flat_workgroup_size: 1024
    .name:           _ZN9rocsolver6v33100L8addmatA1I19rocblas_complex_numIfEPS3_EEviiT0_iilPT_
    .private_segment_fixed_size: 0
    .sgpr_count:     18
    .sgpr_spill_count: 0
    .symbol:         _ZN9rocsolver6v33100L8addmatA1I19rocblas_complex_numIfEPS3_EEviiT0_iilPT_.kd
    .uniform_work_group_size: 1
    .uses_dynamic_stack: false
    .vgpr_count:     6
    .vgpr_spill_count: 0
    .wavefront_size: 32
    .workgroup_processor_mode: 1
  - .args:
      - .offset:         0
        .size:           4
        .value_kind:     by_value
      - .offset:         4
        .size:           4
        .value_kind:     by_value
      - .address_space:  global
        .offset:         8
        .size:           8
        .value_kind:     global_buffer
      - .offset:         16
        .size:           4
        .value_kind:     by_value
      - .offset:         20
        .size:           4
        .value_kind:     by_value
      - .offset:         24
        .size:           8
        .value_kind:     by_value
      - .address_space:  global
        .offset:         32
        .size:           8
        .value_kind:     global_buffer
      - .offset:         40
        .size:           4
        .value_kind:     by_value
      - .offset:         44
        .size:           4
        .value_kind:     by_value
      - .offset:         48
        .size:           8
        .value_kind:     by_value
      - .offset:         56
        .size:           1
        .value_kind:     by_value
      - .offset:         60
        .size:           4
        .value_kind:     by_value
      - .offset:         64
        .size:           4
        .value_kind:     by_value
      - .offset:         72
        .size:           4
        .value_kind:     hidden_block_count_x
      - .offset:         76
        .size:           4
        .value_kind:     hidden_block_count_y
      - .offset:         80
        .size:           4
        .value_kind:     hidden_block_count_z
      - .offset:         84
        .size:           2
        .value_kind:     hidden_group_size_x
      - .offset:         86
        .size:           2
        .value_kind:     hidden_group_size_y
      - .offset:         88
        .size:           2
        .value_kind:     hidden_group_size_z
      - .offset:         90
        .size:           2
        .value_kind:     hidden_remainder_x
      - .offset:         92
        .size:           2
        .value_kind:     hidden_remainder_y
      - .offset:         94
        .size:           2
        .value_kind:     hidden_remainder_z
      - .offset:         112
        .size:           8
        .value_kind:     hidden_global_offset_x
      - .offset:         120
        .size:           8
        .value_kind:     hidden_global_offset_y
      - .offset:         128
        .size:           8
        .value_kind:     hidden_global_offset_z
      - .offset:         136
        .size:           2
        .value_kind:     hidden_grid_dims
    .group_segment_fixed_size: 0
    .kernarg_segment_align: 8
    .kernarg_segment_size: 328
    .language:       OpenCL C
    .language_version:
      - 2
      - 0
    .max_flat_workgroup_size: 1024
    .name:           _ZN9rocsolver6v33100L8copy_matI19rocblas_complex_numIfEPS3_S4_NS0_7no_maskEEEviiT0_iilT1_iilT2_13rocblas_fill_17rocblas_diagonal_
    .private_segment_fixed_size: 0
    .sgpr_count:     18
    .sgpr_spill_count: 0
    .symbol:         _ZN9rocsolver6v33100L8copy_matI19rocblas_complex_numIfEPS3_S4_NS0_7no_maskEEEviiT0_iilT1_iilT2_13rocblas_fill_17rocblas_diagonal_.kd
    .uniform_work_group_size: 1
    .uses_dynamic_stack: false
    .vgpr_count:     8
    .vgpr_spill_count: 0
    .wavefront_size: 32
    .workgroup_processor_mode: 1
  - .args:
      - .offset:         0
        .size:           4
        .value_kind:     by_value
      - .offset:         4
        .size:           4
        .value_kind:     by_value
      - .address_space:  global
        .offset:         8
        .size:           8
        .value_kind:     global_buffer
      - .offset:         16
        .size:           8
        .value_kind:     by_value
      - .offset:         24
        .size:           4
        .value_kind:     by_value
      - .offset:         32
        .size:           8
        .value_kind:     by_value
      - .address_space:  global
        .offset:         40
        .size:           8
        .value_kind:     global_buffer
      - .offset:         48
        .size:           8
        .value_kind:     by_value
      - .address_space:  global
        .offset:         56
        .size:           8
        .value_kind:     global_buffer
      - .offset:         64
        .size:           8
        .value_kind:     by_value
    .group_segment_fixed_size: 0
    .kernarg_segment_align: 8
    .kernarg_segment_size: 72
    .language:       OpenCL C
    .language_version:
      - 2
      - 0
    .max_flat_workgroup_size: 256
    .name:           _ZN9rocsolver6v33100L18geqr2_kernel_smallILi256E19rocblas_complex_numIfEifPS3_EEvT1_S5_T3_lS5_lPT2_lPT0_l
    .private_segment_fixed_size: 0
    .sgpr_count:     39
    .sgpr_spill_count: 0
    .symbol:         _ZN9rocsolver6v33100L18geqr2_kernel_smallILi256E19rocblas_complex_numIfEifPS3_EEvT1_S5_T3_lS5_lPT2_lPT0_l.kd
    .uniform_work_group_size: 1
    .uses_dynamic_stack: false
    .vgpr_count:     40
    .vgpr_spill_count: 0
    .wavefront_size: 32
    .workgroup_processor_mode: 1
  - .args:
      - .address_space:  global
        .offset:         0
        .size:           8
        .value_kind:     global_buffer
      - .offset:         8
        .size:           8
        .value_kind:     by_value
      - .offset:         16
        .size:           8
        .value_kind:     by_value
      - .address_space:  global
        .offset:         24
        .size:           8
        .value_kind:     global_buffer
      - .offset:         32
        .size:           8
        .value_kind:     by_value
      - .offset:         40
        .size:           4
        .value_kind:     by_value
      - .offset:         48
        .size:           8
        .value_kind:     by_value
      - .offset:         56
        .size:           4
        .value_kind:     by_value
      - .offset:         64
        .size:           4
        .value_kind:     hidden_block_count_x
      - .offset:         68
        .size:           4
        .value_kind:     hidden_block_count_y
      - .offset:         72
        .size:           4
        .value_kind:     hidden_block_count_z
      - .offset:         76
        .size:           2
        .value_kind:     hidden_group_size_x
      - .offset:         78
        .size:           2
        .value_kind:     hidden_group_size_y
      - .offset:         80
        .size:           2
        .value_kind:     hidden_group_size_z
      - .offset:         82
        .size:           2
        .value_kind:     hidden_remainder_x
      - .offset:         84
        .size:           2
        .value_kind:     hidden_remainder_y
      - .offset:         86
        .size:           2
        .value_kind:     hidden_remainder_z
      - .offset:         104
        .size:           8
        .value_kind:     hidden_global_offset_x
      - .offset:         112
        .size:           8
        .value_kind:     hidden_global_offset_y
      - .offset:         120
        .size:           8
        .value_kind:     hidden_global_offset_z
      - .offset:         128
        .size:           2
        .value_kind:     hidden_grid_dims
    .group_segment_fixed_size: 0
    .kernarg_segment_align: 8
    .kernarg_segment_size: 320
    .language:       OpenCL C
    .language_version:
      - 2
      - 0
    .max_flat_workgroup_size: 1024
    .name:           _ZN9rocsolver6v33100L12restore_diagI19rocblas_complex_numIfEifPS3_EEvPT1_llT2_lT0_lS8_
    .private_segment_fixed_size: 0
    .sgpr_count:     19
    .sgpr_spill_count: 0
    .symbol:         _ZN9rocsolver6v33100L12restore_diagI19rocblas_complex_numIfEifPS3_EEvPT1_llT2_lT0_lS8_.kd
    .uniform_work_group_size: 1
    .uses_dynamic_stack: false
    .vgpr_count:     5
    .vgpr_spill_count: 0
    .wavefront_size: 32
    .workgroup_processor_mode: 1
  - .args:
      - .offset:         0
        .size:           4
        .value_kind:     by_value
      - .address_space:  global
        .offset:         8
        .size:           8
        .value_kind:     global_buffer
      - .offset:         16
        .size:           8
        .value_kind:     by_value
      - .address_space:  global
        .offset:         24
        .size:           8
        .value_kind:     global_buffer
      - .offset:         32
        .size:           4
        .value_kind:     by_value
      - .offset:         40
        .size:           8
        .value_kind:     by_value
      - .address_space:  global
        .offset:         48
        .size:           8
        .value_kind:     global_buffer
      - .offset:         56
        .size:           4
        .value_kind:     by_value
      - .offset:         64
        .size:           8
        .value_kind:     by_value
      - .offset:         72
        .size:           4
        .value_kind:     by_value
      - .offset:         80
        .size:           4
        .value_kind:     hidden_block_count_x
      - .offset:         84
        .size:           4
        .value_kind:     hidden_block_count_y
      - .offset:         88
        .size:           4
        .value_kind:     hidden_block_count_z
      - .offset:         92
        .size:           2
        .value_kind:     hidden_group_size_x
      - .offset:         94
        .size:           2
        .value_kind:     hidden_group_size_y
      - .offset:         96
        .size:           2
        .value_kind:     hidden_group_size_z
      - .offset:         98
        .size:           2
        .value_kind:     hidden_remainder_x
      - .offset:         100
        .size:           2
        .value_kind:     hidden_remainder_y
      - .offset:         102
        .size:           2
        .value_kind:     hidden_remainder_z
      - .offset:         120
        .size:           8
        .value_kind:     hidden_global_offset_x
      - .offset:         128
        .size:           8
        .value_kind:     hidden_global_offset_y
      - .offset:         136
        .size:           8
        .value_kind:     hidden_global_offset_z
      - .offset:         144
        .size:           2
        .value_kind:     hidden_grid_dims
    .group_segment_fixed_size: 0
    .kernarg_segment_align: 8
    .kernarg_segment_size: 336
    .language:       OpenCL C
    .language_version:
      - 2
      - 0
    .max_flat_workgroup_size: 1024
    .name:           _ZN9rocsolver6v33100L16gesdd_flip_signsI19rocblas_complex_numIfEfEEviPT0_lPT_ilS7_ili
    .private_segment_fixed_size: 0
    .sgpr_count:     40
    .sgpr_spill_count: 0
    .symbol:         _ZN9rocsolver6v33100L16gesdd_flip_signsI19rocblas_complex_numIfEfEEviPT0_lPT_ilS7_ili.kd
    .uniform_work_group_size: 1
    .uses_dynamic_stack: false
    .vgpr_count:     10
    .vgpr_spill_count: 0
    .wavefront_size: 32
    .workgroup_processor_mode: 1
  - .args:
      - .offset:         0
        .size:           4
        .value_kind:     by_value
      - .offset:         4
        .size:           4
        .value_kind:     by_value
      - .offset:         8
        .size:           4
        .value_kind:     by_value
      - .address_space:  global
        .offset:         16
        .size:           8
        .value_kind:     global_buffer
      - .offset:         24
        .size:           4
        .value_kind:     by_value
      - .offset:         28
        .size:           4
        .value_kind:     by_value
      - .offset:         32
        .size:           8
        .value_kind:     by_value
      - .offset:         40
        .size:           4
        .value_kind:     hidden_block_count_x
      - .offset:         44
        .size:           4
        .value_kind:     hidden_block_count_y
      - .offset:         48
        .size:           4
        .value_kind:     hidden_block_count_z
      - .offset:         52
        .size:           2
        .value_kind:     hidden_group_size_x
      - .offset:         54
        .size:           2
        .value_kind:     hidden_group_size_y
      - .offset:         56
        .size:           2
        .value_kind:     hidden_group_size_z
      - .offset:         58
        .size:           2
        .value_kind:     hidden_remainder_x
      - .offset:         60
        .size:           2
        .value_kind:     hidden_remainder_y
      - .offset:         62
        .size:           2
        .value_kind:     hidden_remainder_z
      - .offset:         80
        .size:           8
        .value_kind:     hidden_global_offset_x
      - .offset:         88
        .size:           8
        .value_kind:     hidden_global_offset_y
      - .offset:         96
        .size:           8
        .value_kind:     hidden_global_offset_z
      - .offset:         104
        .size:           2
        .value_kind:     hidden_grid_dims
    .group_segment_fixed_size: 0
    .kernarg_segment_align: 8
    .kernarg_segment_size: 296
    .language:       OpenCL C
    .language_version:
      - 2
      - 0
    .max_flat_workgroup_size: 1024
    .name:           _ZN9rocsolver6v33100L16org2r_init_identI19rocblas_complex_numIfEPS3_EEviiiT0_iil
    .private_segment_fixed_size: 0
    .sgpr_count:     18
    .sgpr_spill_count: 0
    .symbol:         _ZN9rocsolver6v33100L16org2r_init_identI19rocblas_complex_numIfEPS3_EEviiiT0_iil.kd
    .uniform_work_group_size: 1
    .uses_dynamic_stack: false
    .vgpr_count:     7
    .vgpr_spill_count: 0
    .wavefront_size: 32
    .workgroup_processor_mode: 1
  - .args:
      - .offset:         0
        .size:           4
        .value_kind:     by_value
      - .offset:         4
        .size:           4
        .value_kind:     by_value
      - .address_space:  global
        .offset:         8
        .size:           8
        .value_kind:     global_buffer
      - .offset:         16
        .size:           4
        .value_kind:     by_value
      - .offset:         20
        .size:           4
        .value_kind:     by_value
      - .offset:         24
        .size:           8
        .value_kind:     by_value
      - .address_space:  global
        .offset:         32
        .size:           8
        .value_kind:     global_buffer
      - .offset:         40
        .size:           8
        .value_kind:     by_value
    .group_segment_fixed_size: 0
    .kernarg_segment_align: 8
    .kernarg_segment_size: 48
    .language:       OpenCL C
    .language_version:
      - 2
      - 0
    .max_flat_workgroup_size: 1024
    .name:           _ZN9rocsolver6v33100L12subtract_tauI19rocblas_complex_numIfEPS3_EEviiT0_iilPT_l
    .private_segment_fixed_size: 0
    .sgpr_count:     16
    .sgpr_spill_count: 0
    .symbol:         _ZN9rocsolver6v33100L12subtract_tauI19rocblas_complex_numIfEPS3_EEviiT0_iilPT_l.kd
    .uniform_work_group_size: 1
    .uses_dynamic_stack: false
    .vgpr_count:     3
    .vgpr_spill_count: 0
    .wavefront_size: 32
    .workgroup_processor_mode: 1
  - .args:
      - .offset:         0
        .size:           4
        .value_kind:     by_value
      - .address_space:  global
        .offset:         8
        .size:           8
        .value_kind:     global_buffer
      - .offset:         16
        .size:           8
        .value_kind:     by_value
      - .offset:         24
        .size:           4
        .value_kind:     hidden_block_count_x
      - .offset:         28
        .size:           4
        .value_kind:     hidden_block_count_y
      - .offset:         32
        .size:           4
        .value_kind:     hidden_block_count_z
      - .offset:         36
        .size:           2
        .value_kind:     hidden_group_size_x
      - .offset:         38
        .size:           2
        .value_kind:     hidden_group_size_y
      - .offset:         40
        .size:           2
        .value_kind:     hidden_group_size_z
      - .offset:         42
        .size:           2
        .value_kind:     hidden_remainder_x
      - .offset:         44
        .size:           2
        .value_kind:     hidden_remainder_y
      - .offset:         46
        .size:           2
        .value_kind:     hidden_remainder_z
      - .offset:         64
        .size:           8
        .value_kind:     hidden_global_offset_x
      - .offset:         72
        .size:           8
        .value_kind:     hidden_global_offset_y
      - .offset:         80
        .size:           8
        .value_kind:     hidden_global_offset_z
      - .offset:         88
        .size:           2
        .value_kind:     hidden_grid_dims
    .group_segment_fixed_size: 0
    .kernarg_segment_align: 8
    .kernarg_segment_size: 280
    .language:       OpenCL C
    .language_version:
      - 2
      - 0
    .max_flat_workgroup_size: 1024
    .name:           _ZN9rocsolver6v33100L6restauI19rocblas_complex_numIfEEEviPT_l
    .private_segment_fixed_size: 0
    .sgpr_count:     18
    .sgpr_spill_count: 0
    .symbol:         _ZN9rocsolver6v33100L6restauI19rocblas_complex_numIfEEEviPT_l.kd
    .uniform_work_group_size: 1
    .uses_dynamic_stack: false
    .vgpr_count:     4
    .vgpr_spill_count: 0
    .wavefront_size: 32
    .workgroup_processor_mode: 1
  - .args:
      - .offset:         0
        .size:           4
        .value_kind:     by_value
      - .offset:         4
        .size:           4
        .value_kind:     by_value
      - .offset:         8
        .size:           4
        .value_kind:     by_value
      - .address_space:  global
        .offset:         16
        .size:           8
        .value_kind:     global_buffer
      - .offset:         24
        .size:           4
        .value_kind:     by_value
      - .offset:         28
        .size:           4
        .value_kind:     by_value
      - .offset:         32
        .size:           8
        .value_kind:     by_value
      - .address_space:  global
        .offset:         40
        .size:           8
        .value_kind:     global_buffer
      - .offset:         48
        .size:           4
        .value_kind:     by_value
      - .offset:         52
        .size:           4
        .value_kind:     by_value
      - .offset:         56
        .size:           8
        .value_kind:     by_value
      - .offset:         64
        .size:           1
        .value_kind:     by_value
      - .offset:         68
        .size:           4
        .value_kind:     by_value
      - .offset:         72
        .size:           4
        .value_kind:     by_value
      - .offset:         80
        .size:           4
        .value_kind:     hidden_block_count_x
      - .offset:         84
        .size:           4
        .value_kind:     hidden_block_count_y
      - .offset:         88
        .size:           4
        .value_kind:     hidden_block_count_z
      - .offset:         92
        .size:           2
        .value_kind:     hidden_group_size_x
      - .offset:         94
        .size:           2
        .value_kind:     hidden_group_size_y
      - .offset:         96
        .size:           2
        .value_kind:     hidden_group_size_z
      - .offset:         98
        .size:           2
        .value_kind:     hidden_remainder_x
      - .offset:         100
        .size:           2
        .value_kind:     hidden_remainder_y
      - .offset:         102
        .size:           2
        .value_kind:     hidden_remainder_z
      - .offset:         120
        .size:           8
        .value_kind:     hidden_global_offset_x
      - .offset:         128
        .size:           8
        .value_kind:     hidden_global_offset_y
      - .offset:         136
        .size:           8
        .value_kind:     hidden_global_offset_z
      - .offset:         144
        .size:           2
        .value_kind:     hidden_grid_dims
    .group_segment_fixed_size: 0
    .kernarg_segment_align: 8
    .kernarg_segment_size: 336
    .language:       OpenCL C
    .language_version:
      - 2
      - 0
    .max_flat_workgroup_size: 1024
    .name:           _ZN9rocsolver6v33100L14copy_trans_matI19rocblas_complex_numIfES3_PS3_S4_NS0_7no_maskEEEv18rocblas_operation_iiT1_iilT2_iilT3_13rocblas_fill_17rocblas_diagonal_
    .private_segment_fixed_size: 0
    .sgpr_count:     22
    .sgpr_spill_count: 0
    .symbol:         _ZN9rocsolver6v33100L14copy_trans_matI19rocblas_complex_numIfES3_PS3_S4_NS0_7no_maskEEEv18rocblas_operation_iiT1_iilT2_iilT3_13rocblas_fill_17rocblas_diagonal_.kd
    .uniform_work_group_size: 1
    .uses_dynamic_stack: false
    .vgpr_count:     8
    .vgpr_spill_count: 0
    .wavefront_size: 32
    .workgroup_processor_mode: 1
  - .args:
      - .offset:         0
        .size:           4
        .value_kind:     by_value
      - .offset:         4
        .size:           4
        .value_kind:     by_value
      - .offset:         8
        .size:           4
        .value_kind:     by_value
      - .address_space:  global
        .offset:         16
        .size:           8
        .value_kind:     global_buffer
      - .offset:         24
        .size:           4
        .value_kind:     by_value
      - .offset:         28
        .size:           4
        .value_kind:     by_value
      - .offset:         32
        .size:           8
        .value_kind:     by_value
      - .offset:         40
        .size:           4
        .value_kind:     hidden_block_count_x
      - .offset:         44
        .size:           4
        .value_kind:     hidden_block_count_y
      - .offset:         48
        .size:           4
        .value_kind:     hidden_block_count_z
      - .offset:         52
        .size:           2
        .value_kind:     hidden_group_size_x
      - .offset:         54
        .size:           2
        .value_kind:     hidden_group_size_y
      - .offset:         56
        .size:           2
        .value_kind:     hidden_group_size_z
      - .offset:         58
        .size:           2
        .value_kind:     hidden_remainder_x
      - .offset:         60
        .size:           2
        .value_kind:     hidden_remainder_y
      - .offset:         62
        .size:           2
        .value_kind:     hidden_remainder_z
      - .offset:         80
        .size:           8
        .value_kind:     hidden_global_offset_x
      - .offset:         88
        .size:           8
        .value_kind:     hidden_global_offset_y
      - .offset:         96
        .size:           8
        .value_kind:     hidden_global_offset_z
      - .offset:         104
        .size:           2
        .value_kind:     hidden_grid_dims
    .group_segment_fixed_size: 0
    .kernarg_segment_align: 8
    .kernarg_segment_size: 296
    .language:       OpenCL C
    .language_version:
      - 2
      - 0
    .max_flat_workgroup_size: 1024
    .name:           _ZN9rocsolver6v33100L16orgl2_init_identI19rocblas_complex_numIfEPS3_EEviiiT0_iil
    .private_segment_fixed_size: 0
    .sgpr_count:     18
    .sgpr_spill_count: 0
    .symbol:         _ZN9rocsolver6v33100L16orgl2_init_identI19rocblas_complex_numIfEPS3_EEviiiT0_iil.kd
    .uniform_work_group_size: 1
    .uses_dynamic_stack: false
    .vgpr_count:     7
    .vgpr_spill_count: 0
    .wavefront_size: 32
    .workgroup_processor_mode: 1
  - .args:
      - .address_space:  global
        .offset:         0
        .size:           8
        .value_kind:     global_buffer
      - .offset:         8
        .size:           4
        .value_kind:     by_value
      - .offset:         16
        .size:           16
        .value_kind:     by_value
    .group_segment_fixed_size: 0
    .kernarg_segment_align: 8
    .kernarg_segment_size: 32
    .language:       OpenCL C
    .language_version:
      - 2
      - 0
    .max_flat_workgroup_size: 32
    .name:           _ZN9rocsolver6v33100L6iota_nI19rocblas_complex_numIdEEEvPT_jS4_
    .private_segment_fixed_size: 0
    .sgpr_count:     10
    .sgpr_spill_count: 0
    .symbol:         _ZN9rocsolver6v33100L6iota_nI19rocblas_complex_numIdEEEvPT_jS4_.kd
    .uniform_work_group_size: 1
    .uses_dynamic_stack: false
    .vgpr_count:     5
    .vgpr_spill_count: 0
    .wavefront_size: 32
    .workgroup_processor_mode: 1
  - .args:
      - .offset:         0
        .size:           4
        .value_kind:     by_value
      - .address_space:  global
        .offset:         8
        .size:           8
        .value_kind:     global_buffer
      - .offset:         16
        .size:           8
        .value_kind:     by_value
      - .address_space:  global
        .offset:         24
        .size:           8
        .value_kind:     global_buffer
      - .offset:         32
        .size:           8
        .value_kind:     by_value
      - .offset:         40
        .size:           4
        .value_kind:     by_value
      - .offset:         48
        .size:           4
        .value_kind:     hidden_block_count_x
      - .offset:         52
        .size:           4
        .value_kind:     hidden_block_count_y
      - .offset:         56
        .size:           4
        .value_kind:     hidden_block_count_z
      - .offset:         60
        .size:           2
        .value_kind:     hidden_group_size_x
      - .offset:         62
        .size:           2
        .value_kind:     hidden_group_size_y
      - .offset:         64
        .size:           2
        .value_kind:     hidden_group_size_z
      - .offset:         66
        .size:           2
        .value_kind:     hidden_remainder_x
      - .offset:         68
        .size:           2
        .value_kind:     hidden_remainder_y
      - .offset:         70
        .size:           2
        .value_kind:     hidden_remainder_z
      - .offset:         88
        .size:           8
        .value_kind:     hidden_global_offset_x
      - .offset:         96
        .size:           8
        .value_kind:     hidden_global_offset_y
      - .offset:         104
        .size:           8
        .value_kind:     hidden_global_offset_z
      - .offset:         112
        .size:           2
        .value_kind:     hidden_grid_dims
    .group_segment_fixed_size: 0
    .kernarg_segment_align: 8
    .kernarg_segment_size: 304
    .language:       OpenCL C
    .language_version:
      - 2
      - 0
    .max_flat_workgroup_size: 1024
    .name:           _ZN9rocsolver6v33100L16syev_scalar_caseI19rocblas_complex_numIdEdPS3_TnNSt9enable_ifIX18rocblas_is_complexIT_EEiE4typeELi0EEEv14rocblas_evect_T1_lPT0_li
    .private_segment_fixed_size: 0
    .sgpr_count:     18
    .sgpr_spill_count: 0
    .symbol:         _ZN9rocsolver6v33100L16syev_scalar_caseI19rocblas_complex_numIdEdPS3_TnNSt9enable_ifIX18rocblas_is_complexIT_EEiE4typeELi0EEEv14rocblas_evect_T1_lPT0_li.kd
    .uniform_work_group_size: 1
    .uses_dynamic_stack: false
    .vgpr_count:     9
    .vgpr_spill_count: 0
    .wavefront_size: 32
    .workgroup_processor_mode: 1
  - .args:
      - .offset:         0
        .size:           4
        .value_kind:     by_value
      - .address_space:  global
        .offset:         8
        .size:           8
        .value_kind:     global_buffer
      - .offset:         16
        .size:           8
        .value_kind:     by_value
      - .offset:         24
        .size:           4
        .value_kind:     by_value
      - .offset:         32
        .size:           8
        .value_kind:     by_value
      - .address_space:  global
        .offset:         40
        .size:           8
        .value_kind:     global_buffer
      - .offset:         48
        .size:           8
        .value_kind:     by_value
      - .address_space:  global
        .offset:         56
        .size:           8
        .value_kind:     global_buffer
      - .offset:         64
        .size:           8
        .value_kind:     by_value
      - .address_space:  global
        .offset:         72
        .size:           8
        .value_kind:     global_buffer
      - .offset:         80
        .size:           8
        .value_kind:     by_value
    .group_segment_fixed_size: 0
    .kernarg_segment_align: 8
    .kernarg_segment_size: 88
    .language:       OpenCL C
    .language_version:
      - 2
      - 0
    .max_flat_workgroup_size: 256
    .name:           _ZN9rocsolver6v33100L24sytd2_lower_kernel_smallILi256E19rocblas_complex_numIdEidPS3_EEvT1_T3_lS5_lPT2_lS8_lPT0_l
    .private_segment_fixed_size: 0
    .sgpr_count:     41
    .sgpr_spill_count: 0
    .symbol:         _ZN9rocsolver6v33100L24sytd2_lower_kernel_smallILi256E19rocblas_complex_numIdEidPS3_EEvT1_T3_lS5_lPT2_lS8_lPT0_l.kd
    .uniform_work_group_size: 1
    .uses_dynamic_stack: false
    .vgpr_count:     58
    .vgpr_spill_count: 0
    .wavefront_size: 32
    .workgroup_processor_mode: 1
  - .args:
      - .address_space:  global
        .offset:         0
        .size:           8
        .value_kind:     global_buffer
      - .offset:         8
        .size:           8
        .value_kind:     by_value
      - .offset:         16
        .size:           4
        .value_kind:     by_value
      - .offset:         20
        .size:           4
        .value_kind:     by_value
      - .offset:         24
        .size:           4
        .value_kind:     hidden_block_count_x
      - .offset:         28
        .size:           4
        .value_kind:     hidden_block_count_y
      - .offset:         32
        .size:           4
        .value_kind:     hidden_block_count_z
      - .offset:         36
        .size:           2
        .value_kind:     hidden_group_size_x
      - .offset:         38
        .size:           2
        .value_kind:     hidden_group_size_y
      - .offset:         40
        .size:           2
        .value_kind:     hidden_group_size_z
      - .offset:         42
        .size:           2
        .value_kind:     hidden_remainder_x
      - .offset:         44
        .size:           2
        .value_kind:     hidden_remainder_y
      - .offset:         46
        .size:           2
        .value_kind:     hidden_remainder_z
      - .offset:         64
        .size:           8
        .value_kind:     hidden_global_offset_x
      - .offset:         72
        .size:           8
        .value_kind:     hidden_global_offset_y
      - .offset:         80
        .size:           8
        .value_kind:     hidden_global_offset_z
      - .offset:         88
        .size:           2
        .value_kind:     hidden_grid_dims
    .group_segment_fixed_size: 0
    .kernarg_segment_align: 8
    .kernarg_segment_size: 280
    .language:       OpenCL C
    .language_version:
      - 2
      - 0
    .max_flat_workgroup_size: 1024
    .name:           _ZN9rocsolver6v33100L16reset_batch_infoI19rocblas_complex_numIdEiiPS3_EEvT2_lT0_T1_
    .private_segment_fixed_size: 0
    .sgpr_count:     18
    .sgpr_spill_count: 0
    .symbol:         _ZN9rocsolver6v33100L16reset_batch_infoI19rocblas_complex_numIdEiiPS3_EEvT2_lT0_T1_.kd
    .uniform_work_group_size: 1
    .uses_dynamic_stack: false
    .vgpr_count:     7
    .vgpr_spill_count: 0
    .wavefront_size: 32
    .workgroup_processor_mode: 1
  - .args:
      - .address_space:  global
        .offset:         0
        .size:           8
        .value_kind:     global_buffer
      - .offset:         8
        .size:           8
        .value_kind:     by_value
      - .offset:         16
        .size:           8
        .value_kind:     by_value
      - .address_space:  global
        .offset:         24
        .size:           8
        .value_kind:     global_buffer
      - .offset:         32
        .size:           8
        .value_kind:     by_value
      - .offset:         40
        .size:           4
        .value_kind:     by_value
      - .offset:         48
        .size:           8
        .value_kind:     by_value
      - .offset:         56
        .size:           4
        .value_kind:     by_value
      - .offset:         60
        .size:           1
        .value_kind:     by_value
      - .offset:         64
        .size:           4
        .value_kind:     hidden_block_count_x
      - .offset:         68
        .size:           4
        .value_kind:     hidden_block_count_y
      - .offset:         72
        .size:           4
        .value_kind:     hidden_block_count_z
      - .offset:         76
        .size:           2
        .value_kind:     hidden_group_size_x
      - .offset:         78
        .size:           2
        .value_kind:     hidden_group_size_y
      - .offset:         80
        .size:           2
        .value_kind:     hidden_group_size_z
      - .offset:         82
        .size:           2
        .value_kind:     hidden_remainder_x
      - .offset:         84
        .size:           2
        .value_kind:     hidden_remainder_y
      - .offset:         86
        .size:           2
        .value_kind:     hidden_remainder_z
      - .offset:         104
        .size:           8
        .value_kind:     hidden_global_offset_x
      - .offset:         112
        .size:           8
        .value_kind:     hidden_global_offset_y
      - .offset:         120
        .size:           8
        .value_kind:     hidden_global_offset_z
      - .offset:         128
        .size:           2
        .value_kind:     hidden_grid_dims
    .group_segment_fixed_size: 0
    .kernarg_segment_align: 8
    .kernarg_segment_size: 320
    .language:       OpenCL C
    .language_version:
      - 2
      - 0
    .max_flat_workgroup_size: 1024
    .name:           _ZN9rocsolver6v33100L8set_diagI19rocblas_complex_numIdEidPS3_TnNSt9enable_ifIXaa18rocblas_is_complexIT_Ent18rocblas_is_complexIT1_EEiE4typeELi0EEEvPS7_llT2_lT0_lSC_b
    .private_segment_fixed_size: 0
    .sgpr_count:     19
    .sgpr_spill_count: 0
    .symbol:         _ZN9rocsolver6v33100L8set_diagI19rocblas_complex_numIdEidPS3_TnNSt9enable_ifIXaa18rocblas_is_complexIT_Ent18rocblas_is_complexIT1_EEiE4typeELi0EEEvPS7_llT2_lT0_lSC_b.kd
    .uniform_work_group_size: 1
    .uses_dynamic_stack: false
    .vgpr_count:     6
    .vgpr_spill_count: 0
    .wavefront_size: 32
    .workgroup_processor_mode: 1
  - .args:
      - .address_space:  global
        .offset:         0
        .size:           8
        .value_kind:     global_buffer
      - .offset:         8
        .size:           8
        .value_kind:     by_value
      - .address_space:  global
        .offset:         16
        .size:           8
        .value_kind:     global_buffer
      - .address_space:  global
        .offset:         24
        .size:           8
        .value_kind:     global_buffer
      - .offset:         32
        .size:           8
        .value_kind:     by_value
      - .offset:         40
        .size:           8
        .value_kind:     by_value
      - .address_space:  global
        .offset:         48
        .size:           8
        .value_kind:     global_buffer
      - .offset:         56
        .size:           8
        .value_kind:     by_value
      - .offset:         64
        .size:           8
        .value_kind:     by_value
    .group_segment_fixed_size: 0
    .kernarg_segment_align: 8
    .kernarg_segment_size: 72
    .language:       OpenCL C
    .language_version:
      - 2
      - 0
    .max_flat_workgroup_size: 1024
    .name:           _ZN9rocsolver6v33100L11set_taubetaI19rocblas_complex_numIdEidPS3_EEvPT_lS6_T2_llPT1_ll
    .private_segment_fixed_size: 0
    .sgpr_count:     24
    .sgpr_spill_count: 0
    .symbol:         _ZN9rocsolver6v33100L11set_taubetaI19rocblas_complex_numIdEidPS3_EEvPT_lS6_T2_llPT1_ll.kd
    .uniform_work_group_size: 1
    .uses_dynamic_stack: false
    .vgpr_count:     40
    .vgpr_spill_count: 0
    .wavefront_size: 32
    .workgroup_processor_mode: 1
  - .args:
      - .offset:         0
        .size:           4
        .value_kind:     by_value
      - .address_space:  global
        .offset:         8
        .size:           8
        .value_kind:     global_buffer
      - .offset:         16
        .size:           8
        .value_kind:     by_value
      - .offset:         24
        .size:           8
        .value_kind:     by_value
      - .address_space:  global
        .offset:         32
        .size:           8
        .value_kind:     global_buffer
      - .offset:         40
        .size:           8
        .value_kind:     by_value
      - .offset:         48
        .size:           8
        .value_kind:     by_value
      - .address_space:  global
        .offset:         56
        .size:           8
        .value_kind:     global_buffer
      - .offset:         64
        .size:           8
        .value_kind:     by_value
    .group_segment_fixed_size: 2080
    .kernarg_segment_align: 8
    .kernarg_segment_size: 72
    .language:       OpenCL C
    .language_version:
      - 2
      - 0
    .max_flat_workgroup_size: 64
    .name:           _ZN9rocsolver6v33100L20latrd_dot_scale_axpyILi64E19rocblas_complex_numIdEiPS3_EEvT1_T2_llPT0_llS8_l
    .private_segment_fixed_size: 0
    .sgpr_count:     34
    .sgpr_spill_count: 0
    .symbol:         _ZN9rocsolver6v33100L20latrd_dot_scale_axpyILi64E19rocblas_complex_numIdEiPS3_EEvT1_T2_llPT0_llS8_l.kd
    .uniform_work_group_size: 1
    .uses_dynamic_stack: false
    .vgpr_count:     22
    .vgpr_spill_count: 0
    .wavefront_size: 32
    .workgroup_processor_mode: 1
  - .args:
      - .offset:         0
        .size:           4
        .value_kind:     by_value
      - .address_space:  global
        .offset:         8
        .size:           8
        .value_kind:     global_buffer
      - .address_space:  global
        .offset:         16
        .size:           8
        .value_kind:     global_buffer
      - .offset:         24
        .size:           8
        .value_kind:     by_value
      - .offset:         32
        .size:           4
        .value_kind:     hidden_block_count_x
      - .offset:         36
        .size:           4
        .value_kind:     hidden_block_count_y
      - .offset:         40
        .size:           4
        .value_kind:     hidden_block_count_z
      - .offset:         44
        .size:           2
        .value_kind:     hidden_group_size_x
      - .offset:         46
        .size:           2
        .value_kind:     hidden_group_size_y
      - .offset:         48
        .size:           2
        .value_kind:     hidden_group_size_z
      - .offset:         50
        .size:           2
        .value_kind:     hidden_remainder_x
      - .offset:         52
        .size:           2
        .value_kind:     hidden_remainder_y
      - .offset:         54
        .size:           2
        .value_kind:     hidden_remainder_z
      - .offset:         72
        .size:           8
        .value_kind:     hidden_global_offset_x
      - .offset:         80
        .size:           8
        .value_kind:     hidden_global_offset_y
      - .offset:         88
        .size:           8
        .value_kind:     hidden_global_offset_z
      - .offset:         96
        .size:           2
        .value_kind:     hidden_grid_dims
    .group_segment_fixed_size: 0
    .kernarg_segment_align: 8
    .kernarg_segment_size: 288
    .language:       OpenCL C
    .language_version:
      - 2
      - 0
    .max_flat_workgroup_size: 1024
    .name:           _ZN9rocsolver6v33100L7set_tauI19rocblas_complex_numIdEEEviPT_S5_l
    .private_segment_fixed_size: 0
    .sgpr_count:     18
    .sgpr_spill_count: 0
    .symbol:         _ZN9rocsolver6v33100L7set_tauI19rocblas_complex_numIdEEEviPT_S5_l.kd
    .uniform_work_group_size: 1
    .uses_dynamic_stack: false
    .vgpr_count:     9
    .vgpr_spill_count: 0
    .wavefront_size: 32
    .workgroup_processor_mode: 1
  - .args:
      - .offset:         0
        .size:           4
        .value_kind:     by_value
      - .address_space:  global
        .offset:         8
        .size:           8
        .value_kind:     global_buffer
      - .offset:         16
        .size:           8
        .value_kind:     by_value
      - .offset:         24
        .size:           4
        .value_kind:     by_value
      - .offset:         32
        .size:           8
        .value_kind:     by_value
      - .address_space:  global
        .offset:         40
        .size:           8
        .value_kind:     global_buffer
      - .offset:         48
        .size:           8
        .value_kind:     by_value
      - .address_space:  global
        .offset:         56
        .size:           8
        .value_kind:     global_buffer
      - .offset:         64
        .size:           8
        .value_kind:     by_value
      - .address_space:  global
        .offset:         72
        .size:           8
        .value_kind:     global_buffer
      - .offset:         80
        .size:           8
        .value_kind:     by_value
    .group_segment_fixed_size: 0
    .kernarg_segment_align: 8
    .kernarg_segment_size: 88
    .language:       OpenCL C
    .language_version:
      - 2
      - 0
    .max_flat_workgroup_size: 256
    .name:           _ZN9rocsolver6v33100L24sytd2_upper_kernel_smallILi256E19rocblas_complex_numIdEidPS3_EEvT1_T3_lS5_lPT2_lS8_lPT0_l
    .private_segment_fixed_size: 0
    .sgpr_count:     41
    .sgpr_spill_count: 0
    .symbol:         _ZN9rocsolver6v33100L24sytd2_upper_kernel_smallILi256E19rocblas_complex_numIdEidPS3_EEvT1_T3_lS5_lPT2_lS8_lPT0_l.kd
    .uniform_work_group_size: 1
    .uses_dynamic_stack: false
    .vgpr_count:     57
    .vgpr_spill_count: 0
    .wavefront_size: 32
    .workgroup_processor_mode: 1
  - .args:
      - .offset:         0
        .size:           4
        .value_kind:     by_value
      - .offset:         4
        .size:           4
        .value_kind:     by_value
      - .offset:         8
        .size:           4
        .value_kind:     by_value
      - .address_space:  global
        .offset:         16
        .size:           8
        .value_kind:     global_buffer
      - .offset:         24
        .size:           4
        .value_kind:     by_value
      - .offset:         28
        .size:           4
        .value_kind:     by_value
      - .offset:         32
        .size:           8
        .value_kind:     by_value
      - .address_space:  global
        .offset:         40
        .size:           8
        .value_kind:     global_buffer
      - .offset:         48
        .size:           1
        .value_kind:     by_value
      - .offset:         52
        .size:           4
        .value_kind:     by_value
      - .offset:         56
        .size:           4
        .value_kind:     by_value
      - .offset:         64
        .size:           4
        .value_kind:     hidden_block_count_x
      - .offset:         68
        .size:           4
        .value_kind:     hidden_block_count_y
      - .offset:         72
        .size:           4
        .value_kind:     hidden_block_count_z
      - .offset:         76
        .size:           2
        .value_kind:     hidden_group_size_x
      - .offset:         78
        .size:           2
        .value_kind:     hidden_group_size_y
      - .offset:         80
        .size:           2
        .value_kind:     hidden_group_size_z
      - .offset:         82
        .size:           2
        .value_kind:     hidden_remainder_x
      - .offset:         84
        .size:           2
        .value_kind:     hidden_remainder_y
      - .offset:         86
        .size:           2
        .value_kind:     hidden_remainder_z
      - .offset:         104
        .size:           8
        .value_kind:     hidden_global_offset_x
      - .offset:         112
        .size:           8
        .value_kind:     hidden_global_offset_y
      - .offset:         120
        .size:           8
        .value_kind:     hidden_global_offset_z
      - .offset:         128
        .size:           2
        .value_kind:     hidden_grid_dims
    .group_segment_fixed_size: 0
    .kernarg_segment_align: 8
    .kernarg_segment_size: 320
    .language:       OpenCL C
    .language_version:
      - 2
      - 0
    .max_flat_workgroup_size: 1024
    .name:           _ZN9rocsolver6v33100L8copy_matI19rocblas_complex_numIdEPS3_NS0_7no_maskEEEvNS0_17copymat_directionEiiT0_iilPT_T1_13rocblas_fill_17rocblas_diagonal_
    .private_segment_fixed_size: 0
    .sgpr_count:     20
    .sgpr_spill_count: 0
    .symbol:         _ZN9rocsolver6v33100L8copy_matI19rocblas_complex_numIdEPS3_NS0_7no_maskEEEvNS0_17copymat_directionEiiT0_iilPT_T1_13rocblas_fill_17rocblas_diagonal_.kd
    .uniform_work_group_size: 1
    .uses_dynamic_stack: false
    .vgpr_count:     9
    .vgpr_spill_count: 0
    .wavefront_size: 32
    .workgroup_processor_mode: 1
  - .args:
      - .offset:         0
        .size:           4
        .value_kind:     by_value
      - .offset:         4
        .size:           4
        .value_kind:     by_value
      - .address_space:  global
        .offset:         8
        .size:           8
        .value_kind:     global_buffer
      - .offset:         16
        .size:           4
        .value_kind:     by_value
      - .offset:         20
        .size:           4
        .value_kind:     by_value
      - .offset:         24
        .size:           8
        .value_kind:     by_value
      - .address_space:  global
        .offset:         32
        .size:           8
        .value_kind:     global_buffer
      - .offset:         40
        .size:           4
        .value_kind:     by_value
      - .offset:         44
        .size:           4
        .value_kind:     by_value
      - .offset:         48
        .size:           8
        .value_kind:     by_value
      - .offset:         56
        .size:           4
        .value_kind:     hidden_block_count_x
      - .offset:         60
        .size:           4
        .value_kind:     hidden_block_count_y
      - .offset:         64
        .size:           4
        .value_kind:     hidden_block_count_z
      - .offset:         68
        .size:           2
        .value_kind:     hidden_group_size_x
      - .offset:         70
        .size:           2
        .value_kind:     hidden_group_size_y
      - .offset:         72
        .size:           2
        .value_kind:     hidden_group_size_z
      - .offset:         74
        .size:           2
        .value_kind:     hidden_remainder_x
      - .offset:         76
        .size:           2
        .value_kind:     hidden_remainder_y
      - .offset:         78
        .size:           2
        .value_kind:     hidden_remainder_z
      - .offset:         96
        .size:           8
        .value_kind:     hidden_global_offset_x
      - .offset:         104
        .size:           8
        .value_kind:     hidden_global_offset_y
      - .offset:         112
        .size:           8
        .value_kind:     hidden_global_offset_z
      - .offset:         120
        .size:           2
        .value_kind:     hidden_grid_dims
      - .offset:         176
        .size:           4
        .value_kind:     hidden_dynamic_lds_size
    .group_segment_fixed_size: 0
    .kernarg_segment_align: 8
    .kernarg_segment_size: 312
    .language:       OpenCL C
    .language_version:
      - 2
      - 0
    .max_flat_workgroup_size: 1024
    .name:           _ZN9rocsolver6v33100L26latrd_lower_updateA_kernelI19rocblas_complex_numIdEPS3_EEviiT0_iilPT_iil
    .private_segment_fixed_size: 0
    .sgpr_count:     30
    .sgpr_spill_count: 0
    .symbol:         _ZN9rocsolver6v33100L26latrd_lower_updateA_kernelI19rocblas_complex_numIdEPS3_EEviiT0_iilPT_iil.kd
    .uniform_work_group_size: 1
    .uses_dynamic_stack: false
    .vgpr_count:     39
    .vgpr_spill_count: 0
    .wavefront_size: 32
    .workgroup_processor_mode: 1
  - .args:
      - .offset:         0
        .size:           4
        .value_kind:     by_value
      - .offset:         4
        .size:           4
        .value_kind:     by_value
      - .address_space:  global
        .offset:         8
        .size:           8
        .value_kind:     global_buffer
      - .offset:         16
        .size:           4
        .value_kind:     by_value
      - .offset:         20
        .size:           4
        .value_kind:     by_value
      - .offset:         24
        .size:           8
        .value_kind:     by_value
      - .address_space:  global
        .offset:         32
        .size:           8
        .value_kind:     global_buffer
      - .offset:         40
        .size:           4
        .value_kind:     by_value
      - .offset:         44
        .size:           4
        .value_kind:     by_value
      - .offset:         48
        .size:           8
        .value_kind:     by_value
      - .address_space:  global
        .offset:         56
        .size:           8
        .value_kind:     global_buffer
      - .offset:         64
        .size:           4
        .value_kind:     by_value
      - .offset:         68
        .size:           4
        .value_kind:     by_value
      - .offset:         72
        .size:           8
        .value_kind:     by_value
      - .address_space:  global
        .offset:         80
        .size:           8
        .value_kind:     global_buffer
      - .offset:         88
        .size:           8
        .value_kind:     by_value
    .group_segment_fixed_size: 4096
    .kernarg_segment_align: 8
    .kernarg_segment_size: 96
    .language:       OpenCL C
    .language_version:
      - 2
      - 0
    .max_flat_workgroup_size: 1024
    .name:           _ZN9rocsolver6v33100L33latrd_lower_computeW_gemvt_kernelILi256E19rocblas_complex_numIdEPS3_EEviiT1_iilPT0_iilS7_iilS7_l
    .private_segment_fixed_size: 0
    .sgpr_count:     34
    .sgpr_spill_count: 0
    .symbol:         _ZN9rocsolver6v33100L33latrd_lower_computeW_gemvt_kernelILi256E19rocblas_complex_numIdEPS3_EEviiT1_iilPT0_iilS7_iilS7_l.kd
    .uniform_work_group_size: 1
    .uses_dynamic_stack: false
    .vgpr_count:     19
    .vgpr_spill_count: 0
    .wavefront_size: 32
    .workgroup_processor_mode: 1
  - .args:
      - .offset:         0
        .size:           4
        .value_kind:     by_value
      - .offset:         4
        .size:           4
        .value_kind:     by_value
      - .address_space:  global
        .offset:         8
        .size:           8
        .value_kind:     global_buffer
      - .offset:         16
        .size:           4
        .value_kind:     by_value
      - .offset:         20
        .size:           4
        .value_kind:     by_value
      - .offset:         24
        .size:           8
        .value_kind:     by_value
      - .address_space:  global
        .offset:         32
        .size:           8
        .value_kind:     global_buffer
      - .offset:         40
        .size:           4
        .value_kind:     by_value
      - .offset:         44
        .size:           4
        .value_kind:     by_value
      - .offset:         48
        .size:           8
        .value_kind:     by_value
      - .address_space:  global
        .offset:         56
        .size:           8
        .value_kind:     global_buffer
      - .offset:         64
        .size:           8
        .value_kind:     by_value
      - .address_space:  global
        .offset:         72
        .size:           8
        .value_kind:     global_buffer
      - .offset:         80
        .size:           8
        .value_kind:     by_value
      - .offset:         88
        .size:           4
        .value_kind:     hidden_block_count_x
      - .offset:         92
        .size:           4
        .value_kind:     hidden_block_count_y
      - .offset:         96
        .size:           4
        .value_kind:     hidden_block_count_z
      - .offset:         100
        .size:           2
        .value_kind:     hidden_group_size_x
      - .offset:         102
        .size:           2
        .value_kind:     hidden_group_size_y
      - .offset:         104
        .size:           2
        .value_kind:     hidden_group_size_z
      - .offset:         106
        .size:           2
        .value_kind:     hidden_remainder_x
      - .offset:         108
        .size:           2
        .value_kind:     hidden_remainder_y
      - .offset:         110
        .size:           2
        .value_kind:     hidden_remainder_z
      - .offset:         128
        .size:           8
        .value_kind:     hidden_global_offset_x
      - .offset:         136
        .size:           8
        .value_kind:     hidden_global_offset_y
      - .offset:         144
        .size:           8
        .value_kind:     hidden_global_offset_z
      - .offset:         152
        .size:           2
        .value_kind:     hidden_grid_dims
      - .offset:         208
        .size:           4
        .value_kind:     hidden_dynamic_lds_size
    .group_segment_fixed_size: 0
    .kernarg_segment_align: 8
    .kernarg_segment_size: 344
    .language:       OpenCL C
    .language_version:
      - 2
      - 0
    .max_flat_workgroup_size: 1024
    .name:           _ZN9rocsolver6v33100L26latrd_lower_updateW_kernelI19rocblas_complex_numIdEPS3_EEviiT0_iilPT_iilS7_lS7_l
    .private_segment_fixed_size: 0
    .sgpr_count:     40
    .sgpr_spill_count: 0
    .symbol:         _ZN9rocsolver6v33100L26latrd_lower_updateW_kernelI19rocblas_complex_numIdEPS3_EEviiT0_iilPT_iilS7_lS7_l.kd
    .uniform_work_group_size: 1
    .uses_dynamic_stack: false
    .vgpr_count:     40
    .vgpr_spill_count: 0
    .wavefront_size: 32
    .workgroup_processor_mode: 1
  - .args:
      - .offset:         0
        .size:           4
        .value_kind:     by_value
      - .address_space:  global
        .offset:         8
        .size:           8
        .value_kind:     global_buffer
      - .offset:         16
        .size:           8
        .value_kind:     by_value
      - .offset:         24
        .size:           8
        .value_kind:     by_value
      - .address_space:  global
        .offset:         32
        .size:           8
        .value_kind:     global_buffer
      - .offset:         40
        .size:           8
        .value_kind:     by_value
      - .offset:         48
        .size:           8
        .value_kind:     by_value
      - .address_space:  global
        .offset:         56
        .size:           8
        .value_kind:     global_buffer
      - .offset:         64
        .size:           8
        .value_kind:     by_value
    .group_segment_fixed_size: 33280
    .kernarg_segment_align: 8
    .kernarg_segment_size: 72
    .language:       OpenCL C
    .language_version:
      - 2
      - 0
    .max_flat_workgroup_size: 1024
    .name:           _ZN9rocsolver6v33100L20latrd_dot_scale_axpyILi1024E19rocblas_complex_numIdEiPS3_EEvT1_T2_llPT0_llS8_l
    .private_segment_fixed_size: 0
    .sgpr_count:     34
    .sgpr_spill_count: 0
    .symbol:         _ZN9rocsolver6v33100L20latrd_dot_scale_axpyILi1024E19rocblas_complex_numIdEiPS3_EEvT1_T2_llPT0_llS8_l.kd
    .uniform_work_group_size: 1
    .uses_dynamic_stack: false
    .vgpr_count:     21
    .vgpr_spill_count: 0
    .wavefront_size: 32
    .workgroup_processor_mode: 1
  - .args:
      - .offset:         0
        .size:           4
        .value_kind:     by_value
      - .offset:         4
        .size:           4
        .value_kind:     by_value
      - .offset:         8
        .size:           4
        .value_kind:     by_value
      - .address_space:  global
        .offset:         16
        .size:           8
        .value_kind:     global_buffer
      - .offset:         24
        .size:           4
        .value_kind:     by_value
      - .offset:         28
        .size:           4
        .value_kind:     by_value
      - .offset:         32
        .size:           8
        .value_kind:     by_value
      - .address_space:  global
        .offset:         40
        .size:           8
        .value_kind:     global_buffer
      - .offset:         48
        .size:           4
        .value_kind:     by_value
      - .offset:         52
        .size:           4
        .value_kind:     by_value
      - .offset:         56
        .size:           8
        .value_kind:     by_value
      - .offset:         64
        .size:           4
        .value_kind:     hidden_block_count_x
      - .offset:         68
        .size:           4
        .value_kind:     hidden_block_count_y
      - .offset:         72
        .size:           4
        .value_kind:     hidden_block_count_z
      - .offset:         76
        .size:           2
        .value_kind:     hidden_group_size_x
      - .offset:         78
        .size:           2
        .value_kind:     hidden_group_size_y
      - .offset:         80
        .size:           2
        .value_kind:     hidden_group_size_z
      - .offset:         82
        .size:           2
        .value_kind:     hidden_remainder_x
      - .offset:         84
        .size:           2
        .value_kind:     hidden_remainder_y
      - .offset:         86
        .size:           2
        .value_kind:     hidden_remainder_z
      - .offset:         104
        .size:           8
        .value_kind:     hidden_global_offset_x
      - .offset:         112
        .size:           8
        .value_kind:     hidden_global_offset_y
      - .offset:         120
        .size:           8
        .value_kind:     hidden_global_offset_z
      - .offset:         128
        .size:           2
        .value_kind:     hidden_grid_dims
      - .offset:         184
        .size:           4
        .value_kind:     hidden_dynamic_lds_size
    .group_segment_fixed_size: 0
    .kernarg_segment_align: 8
    .kernarg_segment_size: 320
    .language:       OpenCL C
    .language_version:
      - 2
      - 0
    .max_flat_workgroup_size: 1024
    .name:           _ZN9rocsolver6v33100L26latrd_upper_updateA_kernelI19rocblas_complex_numIdEPS3_EEviiiT0_iilPT_iil
    .private_segment_fixed_size: 0
    .sgpr_count:     34
    .sgpr_spill_count: 0
    .symbol:         _ZN9rocsolver6v33100L26latrd_upper_updateA_kernelI19rocblas_complex_numIdEPS3_EEviiiT0_iilPT_iil.kd
    .uniform_work_group_size: 1
    .uses_dynamic_stack: false
    .vgpr_count:     39
    .vgpr_spill_count: 0
    .wavefront_size: 32
    .workgroup_processor_mode: 1
  - .args:
      - .offset:         0
        .size:           4
        .value_kind:     by_value
      - .offset:         4
        .size:           4
        .value_kind:     by_value
      - .offset:         8
        .size:           4
        .value_kind:     by_value
      - .address_space:  global
        .offset:         16
        .size:           8
        .value_kind:     global_buffer
      - .offset:         24
        .size:           4
        .value_kind:     by_value
      - .offset:         28
        .size:           4
        .value_kind:     by_value
      - .offset:         32
        .size:           8
        .value_kind:     by_value
      - .address_space:  global
        .offset:         40
        .size:           8
        .value_kind:     global_buffer
      - .offset:         48
        .size:           4
        .value_kind:     by_value
      - .offset:         52
        .size:           4
        .value_kind:     by_value
      - .offset:         56
        .size:           8
        .value_kind:     by_value
      - .address_space:  global
        .offset:         64
        .size:           8
        .value_kind:     global_buffer
      - .offset:         72
        .size:           4
        .value_kind:     by_value
      - .offset:         76
        .size:           4
        .value_kind:     by_value
      - .offset:         80
        .size:           8
        .value_kind:     by_value
      - .address_space:  global
        .offset:         88
        .size:           8
        .value_kind:     global_buffer
      - .offset:         96
        .size:           8
        .value_kind:     by_value
    .group_segment_fixed_size: 4096
    .kernarg_segment_align: 8
    .kernarg_segment_size: 104
    .language:       OpenCL C
    .language_version:
      - 2
      - 0
    .max_flat_workgroup_size: 1024
    .name:           _ZN9rocsolver6v33100L33latrd_upper_computeW_gemvt_kernelILi256E19rocblas_complex_numIdEPS3_EEviiiT1_iilPT0_iilS7_iilS7_l
    .private_segment_fixed_size: 0
    .sgpr_count:     34
    .sgpr_spill_count: 0
    .symbol:         _ZN9rocsolver6v33100L33latrd_upper_computeW_gemvt_kernelILi256E19rocblas_complex_numIdEPS3_EEviiiT1_iilPT0_iilS7_iilS7_l.kd
    .uniform_work_group_size: 1
    .uses_dynamic_stack: false
    .vgpr_count:     20
    .vgpr_spill_count: 0
    .wavefront_size: 32
    .workgroup_processor_mode: 1
  - .args:
      - .offset:         0
        .size:           4
        .value_kind:     by_value
      - .offset:         4
        .size:           4
        .value_kind:     by_value
      - .offset:         8
        .size:           4
        .value_kind:     by_value
      - .address_space:  global
        .offset:         16
        .size:           8
        .value_kind:     global_buffer
      - .offset:         24
        .size:           4
        .value_kind:     by_value
      - .offset:         28
        .size:           4
        .value_kind:     by_value
      - .offset:         32
        .size:           8
        .value_kind:     by_value
      - .address_space:  global
        .offset:         40
        .size:           8
        .value_kind:     global_buffer
      - .offset:         48
        .size:           4
        .value_kind:     by_value
      - .offset:         52
        .size:           4
        .value_kind:     by_value
      - .offset:         56
        .size:           8
        .value_kind:     by_value
      - .address_space:  global
        .offset:         64
        .size:           8
        .value_kind:     global_buffer
      - .offset:         72
        .size:           8
        .value_kind:     by_value
      - .address_space:  global
        .offset:         80
        .size:           8
        .value_kind:     global_buffer
      - .offset:         88
        .size:           8
        .value_kind:     by_value
      - .offset:         96
        .size:           4
        .value_kind:     hidden_block_count_x
      - .offset:         100
        .size:           4
        .value_kind:     hidden_block_count_y
      - .offset:         104
        .size:           4
        .value_kind:     hidden_block_count_z
      - .offset:         108
        .size:           2
        .value_kind:     hidden_group_size_x
      - .offset:         110
        .size:           2
        .value_kind:     hidden_group_size_y
      - .offset:         112
        .size:           2
        .value_kind:     hidden_group_size_z
      - .offset:         114
        .size:           2
        .value_kind:     hidden_remainder_x
      - .offset:         116
        .size:           2
        .value_kind:     hidden_remainder_y
      - .offset:         118
        .size:           2
        .value_kind:     hidden_remainder_z
      - .offset:         136
        .size:           8
        .value_kind:     hidden_global_offset_x
      - .offset:         144
        .size:           8
        .value_kind:     hidden_global_offset_y
      - .offset:         152
        .size:           8
        .value_kind:     hidden_global_offset_z
      - .offset:         160
        .size:           2
        .value_kind:     hidden_grid_dims
      - .offset:         216
        .size:           4
        .value_kind:     hidden_dynamic_lds_size
    .group_segment_fixed_size: 0
    .kernarg_segment_align: 8
    .kernarg_segment_size: 352
    .language:       OpenCL C
    .language_version:
      - 2
      - 0
    .max_flat_workgroup_size: 1024
    .name:           _ZN9rocsolver6v33100L26latrd_upper_updateW_kernelI19rocblas_complex_numIdEPS3_EEviiiT0_iilPT_iilS7_lS7_l
    .private_segment_fixed_size: 0
    .sgpr_count:     41
    .sgpr_spill_count: 0
    .symbol:         _ZN9rocsolver6v33100L26latrd_upper_updateW_kernelI19rocblas_complex_numIdEPS3_EEviiiT0_iilPT_iilS7_lS7_l.kd
    .uniform_work_group_size: 1
    .uses_dynamic_stack: false
    .vgpr_count:     40
    .vgpr_spill_count: 0
    .wavefront_size: 32
    .workgroup_processor_mode: 1
  - .args:
      - .offset:         0
        .size:           4
        .value_kind:     by_value
      - .offset:         4
        .size:           4
        .value_kind:     by_value
      - .address_space:  global
        .offset:         8
        .size:           8
        .value_kind:     global_buffer
      - .offset:         16
        .size:           4
        .value_kind:     by_value
      - .offset:         20
        .size:           4
        .value_kind:     by_value
      - .offset:         24
        .size:           8
        .value_kind:     by_value
      - .address_space:  global
        .offset:         32
        .size:           8
        .value_kind:     global_buffer
      - .offset:         40
        .size:           8
        .value_kind:     by_value
      - .address_space:  global
        .offset:         48
        .size:           8
        .value_kind:     global_buffer
      - .offset:         56
        .size:           8
        .value_kind:     by_value
      - .offset:         64
        .size:           4
        .value_kind:     hidden_block_count_x
      - .offset:         68
        .size:           4
        .value_kind:     hidden_block_count_y
      - .offset:         72
        .size:           4
        .value_kind:     hidden_block_count_z
      - .offset:         76
        .size:           2
        .value_kind:     hidden_group_size_x
      - .offset:         78
        .size:           2
        .value_kind:     hidden_group_size_y
      - .offset:         80
        .size:           2
        .value_kind:     hidden_group_size_z
      - .offset:         82
        .size:           2
        .value_kind:     hidden_remainder_x
      - .offset:         84
        .size:           2
        .value_kind:     hidden_remainder_y
      - .offset:         86
        .size:           2
        .value_kind:     hidden_remainder_z
      - .offset:         104
        .size:           8
        .value_kind:     hidden_global_offset_x
      - .offset:         112
        .size:           8
        .value_kind:     hidden_global_offset_y
      - .offset:         120
        .size:           8
        .value_kind:     hidden_global_offset_z
      - .offset:         128
        .size:           2
        .value_kind:     hidden_grid_dims
    .group_segment_fixed_size: 0
    .kernarg_segment_align: 8
    .kernarg_segment_size: 320
    .language:       OpenCL C
    .language_version:
      - 2
      - 0
    .max_flat_workgroup_size: 1024
    .name:           _ZN9rocsolver6v33100L11set_tridiagI19rocblas_complex_numIdEdPS3_TnNSt9enable_ifIX18rocblas_is_complexIT_EEiE4typeELi0EEEv13rocblas_fill_iT1_iilPT0_lSC_l
    .private_segment_fixed_size: 0
    .sgpr_count:     24
    .sgpr_spill_count: 0
    .symbol:         _ZN9rocsolver6v33100L11set_tridiagI19rocblas_complex_numIdEdPS3_TnNSt9enable_ifIX18rocblas_is_complexIT_EEiE4typeELi0EEEv13rocblas_fill_iT1_iilPT0_lSC_l.kd
    .uniform_work_group_size: 1
    .uses_dynamic_stack: false
    .vgpr_count:     14
    .vgpr_spill_count: 0
    .wavefront_size: 32
    .workgroup_processor_mode: 1
  - .args:
      - .offset:         0
        .size:           4
        .value_kind:     by_value
      - .offset:         4
        .size:           4
        .value_kind:     by_value
      - .address_space:  global
        .offset:         8
        .size:           8
        .value_kind:     global_buffer
      - .offset:         16
        .size:           4
        .value_kind:     by_value
      - .offset:         20
        .size:           4
        .value_kind:     by_value
      - .offset:         24
        .size:           8
        .value_kind:     by_value
      - .offset:         32
        .size:           4
        .value_kind:     hidden_block_count_x
      - .offset:         36
        .size:           4
        .value_kind:     hidden_block_count_y
      - .offset:         40
        .size:           4
        .value_kind:     hidden_block_count_z
      - .offset:         44
        .size:           2
        .value_kind:     hidden_group_size_x
      - .offset:         46
        .size:           2
        .value_kind:     hidden_group_size_y
      - .offset:         48
        .size:           2
        .value_kind:     hidden_group_size_z
      - .offset:         50
        .size:           2
        .value_kind:     hidden_remainder_x
      - .offset:         52
        .size:           2
        .value_kind:     hidden_remainder_y
      - .offset:         54
        .size:           2
        .value_kind:     hidden_remainder_z
      - .offset:         72
        .size:           8
        .value_kind:     hidden_global_offset_x
      - .offset:         80
        .size:           8
        .value_kind:     hidden_global_offset_y
      - .offset:         88
        .size:           8
        .value_kind:     hidden_global_offset_z
      - .offset:         96
        .size:           2
        .value_kind:     hidden_grid_dims
    .group_segment_fixed_size: 0
    .kernarg_segment_align: 8
    .kernarg_segment_size: 288
    .language:       OpenCL C
    .language_version:
      - 2
      - 0
    .max_flat_workgroup_size: 1024
    .name:           _ZN9rocsolver6v33100L10init_identI19rocblas_complex_numIdEPS3_EEviiT0_iil
    .private_segment_fixed_size: 0
    .sgpr_count:     18
    .sgpr_spill_count: 0
    .symbol:         _ZN9rocsolver6v33100L10init_identI19rocblas_complex_numIdEPS3_EEviiT0_iil.kd
    .uniform_work_group_size: 1
    .uses_dynamic_stack: false
    .vgpr_count:     6
    .vgpr_spill_count: 0
    .wavefront_size: 32
    .workgroup_processor_mode: 1
  - .args:
      - .offset:         0
        .size:           4
        .value_kind:     by_value
      - .offset:         4
        .size:           4
        .value_kind:     by_value
      - .offset:         8
        .size:           4
        .value_kind:     by_value
      - .offset:         12
        .size:           4
        .value_kind:     by_value
      - .offset:         16
        .size:           4
        .value_kind:     by_value
      - .address_space:  global
        .offset:         24
        .size:           8
        .value_kind:     global_buffer
      - .offset:         32
        .size:           8
        .value_kind:     by_value
      - .address_space:  global
        .offset:         40
        .size:           8
        .value_kind:     global_buffer
      - .offset:         48
        .size:           8
        .value_kind:     by_value
      - .address_space:  global
        .offset:         56
        .size:           8
        .value_kind:     global_buffer
      - .offset:         64
        .size:           8
        .value_kind:     by_value
      - .offset:         72
        .size:           4
        .value_kind:     by_value
      - .offset:         80
        .size:           8
        .value_kind:     by_value
      - .offset:         88
        .size:           4
        .value_kind:     by_value
      - .offset:         96
        .size:           4
        .value_kind:     hidden_block_count_x
      - .offset:         100
        .size:           4
        .value_kind:     hidden_block_count_y
      - .offset:         104
        .size:           4
        .value_kind:     hidden_block_count_z
      - .offset:         108
        .size:           2
        .value_kind:     hidden_group_size_x
      - .offset:         110
        .size:           2
        .value_kind:     hidden_group_size_y
      - .offset:         112
        .size:           2
        .value_kind:     hidden_group_size_z
      - .offset:         114
        .size:           2
        .value_kind:     hidden_remainder_x
      - .offset:         116
        .size:           2
        .value_kind:     hidden_remainder_y
      - .offset:         118
        .size:           2
        .value_kind:     hidden_remainder_z
      - .offset:         136
        .size:           8
        .value_kind:     hidden_global_offset_x
      - .offset:         144
        .size:           8
        .value_kind:     hidden_global_offset_y
      - .offset:         152
        .size:           8
        .value_kind:     hidden_global_offset_z
      - .offset:         160
        .size:           2
        .value_kind:     hidden_grid_dims
    .group_segment_fixed_size: 0
    .kernarg_segment_align: 8
    .kernarg_segment_size: 352
    .language:       OpenCL C
    .language_version:
      - 2
      - 0
    .max_flat_workgroup_size: 64
    .name:           _ZN9rocsolver6v33100L11lasr_kernelI19rocblas_complex_numIdEdPS3_iEEv13rocblas_side_14rocblas_pivot_15rocblas_direct_T2_S8_PT0_lSA_lT1_lS8_lS8_
    .private_segment_fixed_size: 0
    .sgpr_count:     89
    .sgpr_spill_count: 0
    .symbol:         _ZN9rocsolver6v33100L11lasr_kernelI19rocblas_complex_numIdEdPS3_iEEv13rocblas_side_14rocblas_pivot_15rocblas_direct_T2_S8_PT0_lSA_lT1_lS8_lS8_.kd
    .uniform_work_group_size: 1
    .uses_dynamic_stack: false
    .vgpr_count:     55
    .vgpr_spill_count: 0
    .wavefront_size: 32
    .workgroup_processor_mode: 1
  - .args:
      - .offset:         0
        .size:           4
        .value_kind:     by_value
      - .address_space:  global
        .offset:         8
        .size:           8
        .value_kind:     global_buffer
      - .offset:         16
        .size:           4
        .value_kind:     by_value
      - .address_space:  global
        .offset:         24
        .size:           8
        .value_kind:     global_buffer
      - .offset:         32
        .size:           4
        .value_kind:     by_value
      - .offset:         40
        .size:           4
        .value_kind:     hidden_block_count_x
      - .offset:         44
        .size:           4
        .value_kind:     hidden_block_count_y
      - .offset:         48
        .size:           4
        .value_kind:     hidden_block_count_z
      - .offset:         52
        .size:           2
        .value_kind:     hidden_group_size_x
      - .offset:         54
        .size:           2
        .value_kind:     hidden_group_size_y
      - .offset:         56
        .size:           2
        .value_kind:     hidden_group_size_z
      - .offset:         58
        .size:           2
        .value_kind:     hidden_remainder_x
      - .offset:         60
        .size:           2
        .value_kind:     hidden_remainder_y
      - .offset:         62
        .size:           2
        .value_kind:     hidden_remainder_z
      - .offset:         80
        .size:           8
        .value_kind:     hidden_global_offset_x
      - .offset:         88
        .size:           8
        .value_kind:     hidden_global_offset_y
      - .offset:         96
        .size:           8
        .value_kind:     hidden_global_offset_z
      - .offset:         104
        .size:           2
        .value_kind:     hidden_grid_dims
    .group_segment_fixed_size: 32768
    .kernarg_segment_align: 8
    .kernarg_segment_size: 296
    .language:       OpenCL C
    .language_version:
      - 2
      - 0
    .max_flat_workgroup_size: 1024
    .name:           _ZN9rocsolver6v33100L11swap_kernelI19rocblas_complex_numIdEiEEvT0_PT_S4_S6_S4_
    .private_segment_fixed_size: 0
    .sgpr_count:     18
    .sgpr_spill_count: 0
    .symbol:         _ZN9rocsolver6v33100L11swap_kernelI19rocblas_complex_numIdEiEEvT0_PT_S4_S6_S4_.kd
    .uniform_work_group_size: 1
    .uses_dynamic_stack: false
    .vgpr_count:     16
    .vgpr_spill_count: 0
    .wavefront_size: 32
    .workgroup_processor_mode: 1
  - .args:
      - .offset:         0
        .size:           4
        .value_kind:     by_value
      - .address_space:  global
        .offset:         8
        .size:           8
        .value_kind:     global_buffer
      - .offset:         16
        .size:           8
        .value_kind:     by_value
      - .address_space:  global
        .offset:         24
        .size:           8
        .value_kind:     global_buffer
      - .offset:         32
        .size:           8
        .value_kind:     by_value
      - .address_space:  global
        .offset:         40
        .size:           8
        .value_kind:     global_buffer
      - .offset:         48
        .size:           4
        .value_kind:     by_value
      - .offset:         52
        .size:           4
        .value_kind:     by_value
      - .offset:         56
        .size:           8
        .value_kind:     by_value
      - .address_space:  global
        .offset:         64
        .size:           8
        .value_kind:     global_buffer
      - .address_space:  global
        .offset:         72
        .size:           8
        .value_kind:     global_buffer
      - .offset:         80
        .size:           4
        .value_kind:     by_value
      - .offset:         88
        .size:           8
        .value_kind:     by_value
      - .offset:         96
        .size:           8
        .value_kind:     by_value
      - .offset:         104
        .size:           8
        .value_kind:     by_value
      - .offset:         112
        .size:           4
        .value_kind:     hidden_block_count_x
      - .offset:         116
        .size:           4
        .value_kind:     hidden_block_count_y
      - .offset:         120
        .size:           4
        .value_kind:     hidden_block_count_z
      - .offset:         124
        .size:           2
        .value_kind:     hidden_group_size_x
      - .offset:         126
        .size:           2
        .value_kind:     hidden_group_size_y
      - .offset:         128
        .size:           2
        .value_kind:     hidden_group_size_z
      - .offset:         130
        .size:           2
        .value_kind:     hidden_remainder_x
      - .offset:         132
        .size:           2
        .value_kind:     hidden_remainder_y
      - .offset:         134
        .size:           2
        .value_kind:     hidden_remainder_z
      - .offset:         152
        .size:           8
        .value_kind:     hidden_global_offset_x
      - .offset:         160
        .size:           8
        .value_kind:     hidden_global_offset_y
      - .offset:         168
        .size:           8
        .value_kind:     hidden_global_offset_z
      - .offset:         176
        .size:           2
        .value_kind:     hidden_grid_dims
    .group_segment_fixed_size: 16432
    .kernarg_segment_align: 8
    .kernarg_segment_size: 368
    .language:       OpenCL C
    .language_version:
      - 2
      - 0
    .max_flat_workgroup_size: 1024
    .name:           _ZN9rocsolver6v33100L12steqr_kernelI19rocblas_complex_numIdEdPS3_EEviPT0_lS6_lT1_iilPiS6_iS5_S5_S5_
    .private_segment_fixed_size: 0
    .sgpr_count:     93
    .sgpr_spill_count: 0
    .symbol:         _ZN9rocsolver6v33100L12steqr_kernelI19rocblas_complex_numIdEdPS3_EEviPT0_lS6_lT1_iilPiS6_iS5_S5_S5_.kd
    .uniform_work_group_size: 1
    .uses_dynamic_stack: false
    .vgpr_count:     70
    .vgpr_spill_count: 0
    .wavefront_size: 32
    .workgroup_processor_mode: 1
  - .args:
      - .offset:         0
        .size:           4
        .value_kind:     by_value
      - .offset:         4
        .size:           4
        .value_kind:     by_value
      - .offset:         8
        .size:           4
        .value_kind:     by_value
      - .address_space:  global
        .offset:         16
        .size:           8
        .value_kind:     global_buffer
      - .offset:         24
        .size:           4
        .value_kind:     by_value
      - .offset:         28
        .size:           4
        .value_kind:     by_value
      - .offset:         32
        .size:           8
        .value_kind:     by_value
      - .address_space:  global
        .offset:         40
        .size:           8
        .value_kind:     global_buffer
      - .offset:         48
        .size:           4
        .value_kind:     by_value
      - .offset:         52
        .size:           4
        .value_kind:     by_value
      - .offset:         56
        .size:           4
        .value_kind:     hidden_block_count_x
      - .offset:         60
        .size:           4
        .value_kind:     hidden_block_count_y
      - .offset:         64
        .size:           4
        .value_kind:     hidden_block_count_z
      - .offset:         68
        .size:           2
        .value_kind:     hidden_group_size_x
      - .offset:         70
        .size:           2
        .value_kind:     hidden_group_size_y
      - .offset:         72
        .size:           2
        .value_kind:     hidden_group_size_z
      - .offset:         74
        .size:           2
        .value_kind:     hidden_remainder_x
      - .offset:         76
        .size:           2
        .value_kind:     hidden_remainder_y
      - .offset:         78
        .size:           2
        .value_kind:     hidden_remainder_z
      - .offset:         96
        .size:           8
        .value_kind:     hidden_global_offset_x
      - .offset:         104
        .size:           8
        .value_kind:     hidden_global_offset_y
      - .offset:         112
        .size:           8
        .value_kind:     hidden_global_offset_z
      - .offset:         120
        .size:           2
        .value_kind:     hidden_grid_dims
    .group_segment_fixed_size: 0
    .kernarg_segment_align: 8
    .kernarg_segment_size: 312
    .language:       OpenCL C
    .language_version:
      - 2
      - 0
    .max_flat_workgroup_size: 1024
    .name:           _ZN9rocsolver6v33100L8copy_matI19rocblas_complex_numIdEdLb0EPS3_TnNSt9enable_ifIX18rocblas_is_complexIT_EEiE4typeELi0EEEvNS0_17copymat_directionEiiT2_iilPT0_13rocblas_fill_17rocblas_diagonal_
    .private_segment_fixed_size: 0
    .sgpr_count:     21
    .sgpr_spill_count: 0
    .symbol:         _ZN9rocsolver6v33100L8copy_matI19rocblas_complex_numIdEdLb0EPS3_TnNSt9enable_ifIX18rocblas_is_complexIT_EEiE4typeELi0EEEvNS0_17copymat_directionEiiT2_iilPT0_13rocblas_fill_17rocblas_diagonal_.kd
    .uniform_work_group_size: 1
    .uses_dynamic_stack: false
    .vgpr_count:     8
    .vgpr_spill_count: 0
    .wavefront_size: 32
    .workgroup_processor_mode: 1
  - .args:
      - .offset:         0
        .size:           4
        .value_kind:     by_value
      - .offset:         4
        .size:           4
        .value_kind:     by_value
      - .address_space:  global
        .offset:         8
        .size:           8
        .value_kind:     global_buffer
      - .offset:         16
        .size:           4
        .value_kind:     by_value
      - .offset:         20
        .size:           4
        .value_kind:     by_value
      - .offset:         24
        .size:           8
        .value_kind:     by_value
      - .offset:         32
        .size:           4
        .value_kind:     by_value
      - .offset:         40
        .size:           4
        .value_kind:     hidden_block_count_x
      - .offset:         44
        .size:           4
        .value_kind:     hidden_block_count_y
      - .offset:         48
        .size:           4
        .value_kind:     hidden_block_count_z
      - .offset:         52
        .size:           2
        .value_kind:     hidden_group_size_x
      - .offset:         54
        .size:           2
        .value_kind:     hidden_group_size_y
      - .offset:         56
        .size:           2
        .value_kind:     hidden_group_size_z
      - .offset:         58
        .size:           2
        .value_kind:     hidden_remainder_x
      - .offset:         60
        .size:           2
        .value_kind:     hidden_remainder_y
      - .offset:         62
        .size:           2
        .value_kind:     hidden_remainder_z
      - .offset:         80
        .size:           8
        .value_kind:     hidden_global_offset_x
      - .offset:         88
        .size:           8
        .value_kind:     hidden_global_offset_y
      - .offset:         96
        .size:           8
        .value_kind:     hidden_global_offset_z
      - .offset:         104
        .size:           2
        .value_kind:     hidden_grid_dims
    .group_segment_fixed_size: 0
    .kernarg_segment_align: 8
    .kernarg_segment_size: 296
    .language:       OpenCL C
    .language_version:
      - 2
      - 0
    .max_flat_workgroup_size: 1024
    .name:           _ZN9rocsolver6v33100L8set_zeroI19rocblas_complex_numIdEPS3_EEviiT0_iil13rocblas_fill_
    .private_segment_fixed_size: 0
    .sgpr_count:     18
    .sgpr_spill_count: 0
    .symbol:         _ZN9rocsolver6v33100L8set_zeroI19rocblas_complex_numIdEPS3_EEviiT0_iil13rocblas_fill_.kd
    .uniform_work_group_size: 1
    .uses_dynamic_stack: false
    .vgpr_count:     6
    .vgpr_spill_count: 0
    .wavefront_size: 32
    .workgroup_processor_mode: 1
  - .args:
      - .offset:         0
        .size:           4
        .value_kind:     by_value
      - .offset:         4
        .size:           4
        .value_kind:     by_value
      - .offset:         8
        .size:           4
        .value_kind:     by_value
      - .address_space:  global
        .offset:         16
        .size:           8
        .value_kind:     global_buffer
      - .offset:         24
        .size:           4
        .value_kind:     by_value
      - .offset:         28
        .size:           4
        .value_kind:     by_value
      - .offset:         32
        .size:           8
        .value_kind:     by_value
      - .address_space:  global
        .offset:         40
        .size:           8
        .value_kind:     global_buffer
      - .offset:         48
        .size:           4
        .value_kind:     by_value
      - .offset:         52
        .size:           4
        .value_kind:     by_value
      - .offset:         56
        .size:           4
        .value_kind:     hidden_block_count_x
      - .offset:         60
        .size:           4
        .value_kind:     hidden_block_count_y
      - .offset:         64
        .size:           4
        .value_kind:     hidden_block_count_z
      - .offset:         68
        .size:           2
        .value_kind:     hidden_group_size_x
      - .offset:         70
        .size:           2
        .value_kind:     hidden_group_size_y
      - .offset:         72
        .size:           2
        .value_kind:     hidden_group_size_z
      - .offset:         74
        .size:           2
        .value_kind:     hidden_remainder_x
      - .offset:         76
        .size:           2
        .value_kind:     hidden_remainder_y
      - .offset:         78
        .size:           2
        .value_kind:     hidden_remainder_z
      - .offset:         96
        .size:           8
        .value_kind:     hidden_global_offset_x
      - .offset:         104
        .size:           8
        .value_kind:     hidden_global_offset_y
      - .offset:         112
        .size:           8
        .value_kind:     hidden_global_offset_z
      - .offset:         120
        .size:           2
        .value_kind:     hidden_grid_dims
    .group_segment_fixed_size: 0
    .kernarg_segment_align: 8
    .kernarg_segment_size: 312
    .language:       OpenCL C
    .language_version:
      - 2
      - 0
    .max_flat_workgroup_size: 1024
    .name:           _ZN9rocsolver6v33100L8copy_matI19rocblas_complex_numIdEdLb1EPS3_TnNSt9enable_ifIX18rocblas_is_complexIT_EEiE4typeELi0EEEvNS0_17copymat_directionEiiT2_iilPT0_13rocblas_fill_17rocblas_diagonal_
    .private_segment_fixed_size: 0
    .sgpr_count:     20
    .sgpr_spill_count: 0
    .symbol:         _ZN9rocsolver6v33100L8copy_matI19rocblas_complex_numIdEdLb1EPS3_TnNSt9enable_ifIX18rocblas_is_complexIT_EEiE4typeELi0EEEvNS0_17copymat_directionEiiT2_iilPT0_13rocblas_fill_17rocblas_diagonal_.kd
    .uniform_work_group_size: 1
    .uses_dynamic_stack: false
    .vgpr_count:     8
    .vgpr_spill_count: 0
    .wavefront_size: 32
    .workgroup_processor_mode: 1
  - .args:
      - .offset:         0
        .size:           4
        .value_kind:     by_value
      - .address_space:  global
        .offset:         8
        .size:           8
        .value_kind:     global_buffer
      - .offset:         16
        .size:           4
        .value_kind:     by_value
      - .offset:         20
        .size:           4
        .value_kind:     by_value
      - .offset:         24
        .size:           8
        .value_kind:     by_value
      - .address_space:  global
        .offset:         32
        .size:           8
        .value_kind:     global_buffer
      - .offset:         40
        .size:           4
        .value_kind:     by_value
      - .offset:         44
        .size:           4
        .value_kind:     by_value
      - .offset:         48
        .size:           8
        .value_kind:     by_value
      - .offset:         56
        .size:           4
        .value_kind:     hidden_block_count_x
      - .offset:         60
        .size:           4
        .value_kind:     hidden_block_count_y
      - .offset:         64
        .size:           4
        .value_kind:     hidden_block_count_z
      - .offset:         68
        .size:           2
        .value_kind:     hidden_group_size_x
      - .offset:         70
        .size:           2
        .value_kind:     hidden_group_size_y
      - .offset:         72
        .size:           2
        .value_kind:     hidden_group_size_z
      - .offset:         74
        .size:           2
        .value_kind:     hidden_remainder_x
      - .offset:         76
        .size:           2
        .value_kind:     hidden_remainder_y
      - .offset:         78
        .size:           2
        .value_kind:     hidden_remainder_z
      - .offset:         96
        .size:           8
        .value_kind:     hidden_global_offset_x
      - .offset:         104
        .size:           8
        .value_kind:     hidden_global_offset_y
      - .offset:         112
        .size:           8
        .value_kind:     hidden_global_offset_z
      - .offset:         120
        .size:           2
        .value_kind:     hidden_grid_dims
    .group_segment_fixed_size: 0
    .kernarg_segment_align: 8
    .kernarg_segment_size: 312
    .language:       OpenCL C
    .language_version:
      - 2
      - 0
    .max_flat_workgroup_size: 512
    .name:           _ZN9rocsolver6v33100L11stedc_copyCI19rocblas_complex_numIdEPS3_S4_EEviT0_iilT1_iil
    .private_segment_fixed_size: 272
    .sgpr_count:     42
    .sgpr_spill_count: 0
    .symbol:         _ZN9rocsolver6v33100L11stedc_copyCI19rocblas_complex_numIdEPS3_S4_EEviT0_iilT1_iil.kd
    .uniform_work_group_size: 1
    .uses_dynamic_stack: false
    .vgpr_count:     53
    .vgpr_spill_count: 0
    .wavefront_size: 32
    .workgroup_processor_mode: 1
  - .args:
      - .offset:         0
        .size:           4
        .value_kind:     by_value
      - .address_space:  global
        .offset:         8
        .size:           8
        .value_kind:     global_buffer
      - .offset:         16
        .size:           8
        .value_kind:     by_value
      - .address_space:  global
        .offset:         24
        .size:           8
        .value_kind:     global_buffer
      - .offset:         32
        .size:           8
        .value_kind:     by_value
      - .address_space:  global
        .offset:         40
        .size:           8
        .value_kind:     global_buffer
      - .offset:         48
        .size:           4
        .value_kind:     by_value
      - .offset:         52
        .size:           4
        .value_kind:     by_value
      - .offset:         56
        .size:           8
        .value_kind:     by_value
      - .address_space:  global
        .offset:         64
        .size:           8
        .value_kind:     global_buffer
      - .offset:         72
        .size:           4
        .value_kind:     by_value
      - .offset:         76
        .size:           4
        .value_kind:     by_value
      - .offset:         80
        .size:           8
        .value_kind:     by_value
      - .offset:         88
        .size:           4
        .value_kind:     hidden_block_count_x
      - .offset:         92
        .size:           4
        .value_kind:     hidden_block_count_y
      - .offset:         96
        .size:           4
        .value_kind:     hidden_block_count_z
      - .offset:         100
        .size:           2
        .value_kind:     hidden_group_size_x
      - .offset:         102
        .size:           2
        .value_kind:     hidden_group_size_y
      - .offset:         104
        .size:           2
        .value_kind:     hidden_group_size_z
      - .offset:         106
        .size:           2
        .value_kind:     hidden_remainder_x
      - .offset:         108
        .size:           2
        .value_kind:     hidden_remainder_y
      - .offset:         110
        .size:           2
        .value_kind:     hidden_remainder_z
      - .offset:         128
        .size:           8
        .value_kind:     hidden_global_offset_x
      - .offset:         136
        .size:           8
        .value_kind:     hidden_global_offset_y
      - .offset:         144
        .size:           8
        .value_kind:     hidden_global_offset_z
      - .offset:         152
        .size:           2
        .value_kind:     hidden_grid_dims
    .group_segment_fixed_size: 26624
    .kernarg_segment_align: 8
    .kernarg_segment_size: 344
    .language:       OpenCL C
    .language_version:
      - 2
      - 0
    .max_flat_workgroup_size: 512
    .name:           _ZN9rocsolver6v33100L10stedc_sortI19rocblas_complex_numIdEdPS3_S4_EEviPT0_lS6_lT1_iilT2_iil
    .private_segment_fixed_size: 96
    .sgpr_count:     60
    .sgpr_spill_count: 0
    .symbol:         _ZN9rocsolver6v33100L10stedc_sortI19rocblas_complex_numIdEdPS3_S4_EEviPT0_lS6_lT1_iilT2_iil.kd
    .uniform_work_group_size: 1
    .uses_dynamic_stack: false
    .vgpr_count:     71
    .vgpr_spill_count: 0
    .wavefront_size: 32
    .workgroup_processor_mode: 1
  - .args:
      - .offset:         0
        .size:           4
        .value_kind:     by_value
      - .offset:         4
        .size:           4
        .value_kind:     by_value
      - .address_space:  global
        .offset:         8
        .size:           8
        .value_kind:     global_buffer
      - .offset:         16
        .size:           8
        .value_kind:     by_value
      - .offset:         24
        .size:           4
        .value_kind:     by_value
      - .offset:         32
        .size:           8
        .value_kind:     by_value
      - .offset:         40
        .size:           4
        .value_kind:     hidden_block_count_x
      - .offset:         44
        .size:           4
        .value_kind:     hidden_block_count_y
      - .offset:         48
        .size:           4
        .value_kind:     hidden_block_count_z
      - .offset:         52
        .size:           2
        .value_kind:     hidden_group_size_x
      - .offset:         54
        .size:           2
        .value_kind:     hidden_group_size_y
      - .offset:         56
        .size:           2
        .value_kind:     hidden_group_size_z
      - .offset:         58
        .size:           2
        .value_kind:     hidden_remainder_x
      - .offset:         60
        .size:           2
        .value_kind:     hidden_remainder_y
      - .offset:         62
        .size:           2
        .value_kind:     hidden_remainder_z
      - .offset:         80
        .size:           8
        .value_kind:     hidden_global_offset_x
      - .offset:         88
        .size:           8
        .value_kind:     hidden_global_offset_y
      - .offset:         96
        .size:           8
        .value_kind:     hidden_global_offset_z
      - .offset:         104
        .size:           2
        .value_kind:     hidden_grid_dims
    .group_segment_fixed_size: 0
    .kernarg_segment_align: 8
    .kernarg_segment_size: 296
    .language:       OpenCL C
    .language_version:
      - 2
      - 0
    .max_flat_workgroup_size: 1024
    .name:           _ZN9rocsolver6v33100L13conj_in_placeI19rocblas_complex_numIdEiPS3_TnNSt9enable_ifIX18rocblas_is_complexIT_EEiE4typeELi0EEEvT0_S9_T1_lS9_l
    .private_segment_fixed_size: 0
    .sgpr_count:     18
    .sgpr_spill_count: 0
    .symbol:         _ZN9rocsolver6v33100L13conj_in_placeI19rocblas_complex_numIdEiPS3_TnNSt9enable_ifIX18rocblas_is_complexIT_EEiE4typeELi0EEEvT0_S9_T1_lS9_l.kd
    .uniform_work_group_size: 1
    .uses_dynamic_stack: false
    .vgpr_count:     8
    .vgpr_spill_count: 0
    .wavefront_size: 32
    .workgroup_processor_mode: 1
  - .args:
      - .address_space:  global
        .offset:         0
        .size:           8
        .value_kind:     global_buffer
      - .offset:         8
        .size:           8
        .value_kind:     by_value
      - .offset:         16
        .size:           8
        .value_kind:     by_value
      - .address_space:  global
        .offset:         24
        .size:           8
        .value_kind:     global_buffer
      - .offset:         32
        .size:           8
        .value_kind:     by_value
      - .offset:         40
        .size:           4
        .value_kind:     by_value
      - .offset:         48
        .size:           8
        .value_kind:     by_value
      - .offset:         56
        .size:           4
        .value_kind:     by_value
      - .offset:         60
        .size:           1
        .value_kind:     by_value
      - .offset:         64
        .size:           4
        .value_kind:     hidden_block_count_x
      - .offset:         68
        .size:           4
        .value_kind:     hidden_block_count_y
      - .offset:         72
        .size:           4
        .value_kind:     hidden_block_count_z
      - .offset:         76
        .size:           2
        .value_kind:     hidden_group_size_x
      - .offset:         78
        .size:           2
        .value_kind:     hidden_group_size_y
      - .offset:         80
        .size:           2
        .value_kind:     hidden_group_size_z
      - .offset:         82
        .size:           2
        .value_kind:     hidden_remainder_x
      - .offset:         84
        .size:           2
        .value_kind:     hidden_remainder_y
      - .offset:         86
        .size:           2
        .value_kind:     hidden_remainder_z
      - .offset:         104
        .size:           8
        .value_kind:     hidden_global_offset_x
      - .offset:         112
        .size:           8
        .value_kind:     hidden_global_offset_y
      - .offset:         120
        .size:           8
        .value_kind:     hidden_global_offset_z
      - .offset:         128
        .size:           2
        .value_kind:     hidden_grid_dims
    .group_segment_fixed_size: 0
    .kernarg_segment_align: 8
    .kernarg_segment_size: 320
    .language:       OpenCL C
    .language_version:
      - 2
      - 0
    .max_flat_workgroup_size: 1024
    .name:           _ZN9rocsolver6v33100L8set_diagI19rocblas_complex_numIdEiS3_PS3_TnNSt9enable_ifIXoont18rocblas_is_complexIT_E18rocblas_is_complexIT1_EEiE4typeELi0EEEvPS7_llT2_lT0_lSC_b
    .private_segment_fixed_size: 0
    .sgpr_count:     19
    .sgpr_spill_count: 0
    .symbol:         _ZN9rocsolver6v33100L8set_diagI19rocblas_complex_numIdEiS3_PS3_TnNSt9enable_ifIXoont18rocblas_is_complexIT_E18rocblas_is_complexIT1_EEiE4typeELi0EEEvPS7_llT2_lT0_lSC_b.kd
    .uniform_work_group_size: 1
    .uses_dynamic_stack: false
    .vgpr_count:     10
    .vgpr_spill_count: 0
    .wavefront_size: 32
    .workgroup_processor_mode: 1
  - .args:
      - .offset:         0
        .size:           4
        .value_kind:     by_value
      - .offset:         4
        .size:           4
        .value_kind:     by_value
      - .address_space:  global
        .offset:         8
        .size:           8
        .value_kind:     global_buffer
      - .offset:         16
        .size:           8
        .value_kind:     by_value
      - .offset:         24
        .size:           4
        .value_kind:     by_value
      - .offset:         32
        .size:           8
        .value_kind:     by_value
      - .address_space:  global
        .offset:         40
        .size:           8
        .value_kind:     global_buffer
      - .offset:         48
        .size:           8
        .value_kind:     by_value
      - .address_space:  global
        .offset:         56
        .size:           8
        .value_kind:     global_buffer
      - .offset:         64
        .size:           8
        .value_kind:     by_value
      - .offset:         72
        .size:           4
        .value_kind:     by_value
      - .offset:         80
        .size:           8
        .value_kind:     by_value
    .group_segment_fixed_size: 0
    .kernarg_segment_align: 8
    .kernarg_segment_size: 88
    .language:       OpenCL C
    .language_version:
      - 2
      - 0
    .max_flat_workgroup_size: 1024
    .name:           _ZN9rocsolver6v33100L16larf_left_kernelILi1024E19rocblas_complex_numIdEiPS3_EEvT1_S5_T2_lS5_lPKT0_lS6_lS5_l
    .private_segment_fixed_size: 0
    .sgpr_count:     32
    .sgpr_spill_count: 0
    .symbol:         _ZN9rocsolver6v33100L16larf_left_kernelILi1024E19rocblas_complex_numIdEiPS3_EEvT1_S5_T2_lS5_lPKT0_lS6_lS5_l.kd
    .uniform_work_group_size: 1
    .uses_dynamic_stack: false
    .vgpr_count:     20
    .vgpr_spill_count: 0
    .wavefront_size: 32
    .workgroup_processor_mode: 1
  - .args:
      - .offset:         0
        .size:           4
        .value_kind:     by_value
      - .offset:         4
        .size:           4
        .value_kind:     by_value
      - .address_space:  global
        .offset:         8
        .size:           8
        .value_kind:     global_buffer
      - .offset:         16
        .size:           8
        .value_kind:     by_value
      - .offset:         24
        .size:           4
        .value_kind:     by_value
      - .offset:         32
        .size:           8
        .value_kind:     by_value
      - .address_space:  global
        .offset:         40
        .size:           8
        .value_kind:     global_buffer
      - .offset:         48
        .size:           8
        .value_kind:     by_value
      - .address_space:  global
        .offset:         56
        .size:           8
        .value_kind:     global_buffer
      - .offset:         64
        .size:           8
        .value_kind:     by_value
      - .offset:         72
        .size:           4
        .value_kind:     by_value
      - .offset:         80
        .size:           8
        .value_kind:     by_value
    .group_segment_fixed_size: 0
    .kernarg_segment_align: 8
    .kernarg_segment_size: 88
    .language:       OpenCL C
    .language_version:
      - 2
      - 0
    .max_flat_workgroup_size: 1024
    .name:           _ZN9rocsolver6v33100L17larf_right_kernelILi1024E19rocblas_complex_numIdEiPS3_EEvT1_S5_T2_lS5_lPKT0_lS6_lS5_l
    .private_segment_fixed_size: 0
    .sgpr_count:     36
    .sgpr_spill_count: 0
    .symbol:         _ZN9rocsolver6v33100L17larf_right_kernelILi1024E19rocblas_complex_numIdEiPS3_EEvT1_S5_T2_lS5_lPKT0_lS6_lS5_l.kd
    .uniform_work_group_size: 1
    .uses_dynamic_stack: false
    .vgpr_count:     20
    .vgpr_spill_count: 0
    .wavefront_size: 32
    .workgroup_processor_mode: 1
  - .args:
      - .address_space:  global
        .offset:         0
        .size:           8
        .value_kind:     global_buffer
      - .offset:         8
        .size:           8
        .value_kind:     by_value
      - .offset:         16
        .size:           8
        .value_kind:     by_value
      - .address_space:  global
        .offset:         24
        .size:           8
        .value_kind:     global_buffer
      - .offset:         32
        .size:           8
        .value_kind:     by_value
      - .offset:         40
        .size:           4
        .value_kind:     by_value
      - .offset:         48
        .size:           8
        .value_kind:     by_value
      - .offset:         56
        .size:           4
        .value_kind:     by_value
      - .offset:         64
        .size:           4
        .value_kind:     hidden_block_count_x
      - .offset:         68
        .size:           4
        .value_kind:     hidden_block_count_y
      - .offset:         72
        .size:           4
        .value_kind:     hidden_block_count_z
      - .offset:         76
        .size:           2
        .value_kind:     hidden_group_size_x
      - .offset:         78
        .size:           2
        .value_kind:     hidden_group_size_y
      - .offset:         80
        .size:           2
        .value_kind:     hidden_group_size_z
      - .offset:         82
        .size:           2
        .value_kind:     hidden_remainder_x
      - .offset:         84
        .size:           2
        .value_kind:     hidden_remainder_y
      - .offset:         86
        .size:           2
        .value_kind:     hidden_remainder_z
      - .offset:         104
        .size:           8
        .value_kind:     hidden_global_offset_x
      - .offset:         112
        .size:           8
        .value_kind:     hidden_global_offset_y
      - .offset:         120
        .size:           8
        .value_kind:     hidden_global_offset_z
      - .offset:         128
        .size:           2
        .value_kind:     hidden_grid_dims
    .group_segment_fixed_size: 0
    .kernarg_segment_align: 8
    .kernarg_segment_size: 320
    .language:       OpenCL C
    .language_version:
      - 2
      - 0
    .max_flat_workgroup_size: 1024
    .name:           _ZN9rocsolver6v33100L12restore_diagI19rocblas_complex_numIdEiS3_PS3_EEvPT1_llT2_lT0_lS8_
    .private_segment_fixed_size: 0
    .sgpr_count:     19
    .sgpr_spill_count: 0
    .symbol:         _ZN9rocsolver6v33100L12restore_diagI19rocblas_complex_numIdEiS3_PS3_EEvPT1_llT2_lT0_lS8_.kd
    .uniform_work_group_size: 1
    .uses_dynamic_stack: false
    .vgpr_count:     6
    .vgpr_spill_count: 0
    .wavefront_size: 32
    .workgroup_processor_mode: 1
  - .args:
      - .offset:         0
        .size:           4
        .value_kind:     by_value
      - .offset:         4
        .size:           4
        .value_kind:     by_value
      - .address_space:  global
        .offset:         8
        .size:           8
        .value_kind:     global_buffer
      - .offset:         16
        .size:           4
        .value_kind:     by_value
      - .offset:         20
        .size:           4
        .value_kind:     by_value
      - .offset:         24
        .size:           8
        .value_kind:     by_value
      - .address_space:  global
        .offset:         32
        .size:           8
        .value_kind:     global_buffer
      - .offset:         40
        .size:           8
        .value_kind:     by_value
      - .address_space:  global
        .offset:         48
        .size:           8
        .value_kind:     global_buffer
      - .offset:         56
        .size:           4
        .value_kind:     by_value
      - .offset:         64
        .size:           8
        .value_kind:     by_value
      - .offset:         72
        .size:           4
        .value_kind:     by_value
      - .offset:         76
        .size:           4
        .value_kind:     by_value
      - .offset:         80
        .size:           1
        .value_kind:     by_value
      - .offset:         88
        .size:           4
        .value_kind:     hidden_block_count_x
      - .offset:         92
        .size:           4
        .value_kind:     hidden_block_count_y
      - .offset:         96
        .size:           4
        .value_kind:     hidden_block_count_z
      - .offset:         100
        .size:           2
        .value_kind:     hidden_group_size_x
      - .offset:         102
        .size:           2
        .value_kind:     hidden_group_size_y
      - .offset:         104
        .size:           2
        .value_kind:     hidden_group_size_z
      - .offset:         106
        .size:           2
        .value_kind:     hidden_remainder_x
      - .offset:         108
        .size:           2
        .value_kind:     hidden_remainder_y
      - .offset:         110
        .size:           2
        .value_kind:     hidden_remainder_z
      - .offset:         128
        .size:           8
        .value_kind:     hidden_global_offset_x
      - .offset:         136
        .size:           8
        .value_kind:     hidden_global_offset_y
      - .offset:         144
        .size:           8
        .value_kind:     hidden_global_offset_z
      - .offset:         152
        .size:           2
        .value_kind:     hidden_grid_dims
    .group_segment_fixed_size: 0
    .kernarg_segment_align: 8
    .kernarg_segment_size: 344
    .language:       OpenCL C
    .language_version:
      - 2
      - 0
    .max_flat_workgroup_size: 1024
    .name:           _ZN9rocsolver6v33100L14set_triangularI19rocblas_complex_numIdEPS3_TnNSt9enable_ifIX18rocblas_is_complexIT_EEiE4typeELi0EEEviiT0_iilPS6_lSA_il15rocblas_direct_15rocblas_storev_b
    .private_segment_fixed_size: 0
    .sgpr_count:     24
    .sgpr_spill_count: 0
    .symbol:         _ZN9rocsolver6v33100L14set_triangularI19rocblas_complex_numIdEPS3_TnNSt9enable_ifIX18rocblas_is_complexIT_EEiE4typeELi0EEEviiT0_iilPS6_lSA_il15rocblas_direct_15rocblas_storev_b.kd
    .uniform_work_group_size: 1
    .uses_dynamic_stack: false
    .vgpr_count:     21
    .vgpr_spill_count: 0
    .wavefront_size: 32
    .workgroup_processor_mode: 1
  - .args:
      - .offset:         0
        .size:           4
        .value_kind:     by_value
      - .address_space:  global
        .offset:         8
        .size:           8
        .value_kind:     global_buffer
      - .offset:         16
        .size:           8
        .value_kind:     by_value
      - .offset:         24
        .size:           4
        .value_kind:     hidden_block_count_x
      - .offset:         28
        .size:           4
        .value_kind:     hidden_block_count_y
      - .offset:         32
        .size:           4
        .value_kind:     hidden_block_count_z
      - .offset:         36
        .size:           2
        .value_kind:     hidden_group_size_x
      - .offset:         38
        .size:           2
        .value_kind:     hidden_group_size_y
      - .offset:         40
        .size:           2
        .value_kind:     hidden_group_size_z
      - .offset:         42
        .size:           2
        .value_kind:     hidden_remainder_x
      - .offset:         44
        .size:           2
        .value_kind:     hidden_remainder_y
      - .offset:         46
        .size:           2
        .value_kind:     hidden_remainder_z
      - .offset:         64
        .size:           8
        .value_kind:     hidden_global_offset_x
      - .offset:         72
        .size:           8
        .value_kind:     hidden_global_offset_y
      - .offset:         80
        .size:           8
        .value_kind:     hidden_global_offset_z
      - .offset:         88
        .size:           2
        .value_kind:     hidden_grid_dims
    .group_segment_fixed_size: 0
    .kernarg_segment_align: 8
    .kernarg_segment_size: 280
    .language:       OpenCL C
    .language_version:
      - 2
      - 0
    .max_flat_workgroup_size: 1024
    .name:           _ZN9rocsolver6v33100L7set_tauI19rocblas_complex_numIdEEEviPT_l
    .private_segment_fixed_size: 0
    .sgpr_count:     18
    .sgpr_spill_count: 0
    .symbol:         _ZN9rocsolver6v33100L7set_tauI19rocblas_complex_numIdEEEviPT_l.kd
    .uniform_work_group_size: 1
    .uses_dynamic_stack: false
    .vgpr_count:     6
    .vgpr_spill_count: 0
    .wavefront_size: 32
    .workgroup_processor_mode: 1
  - .args:
      - .offset:         0
        .size:           4
        .value_kind:     by_value
      - .offset:         4
        .size:           4
        .value_kind:     by_value
      - .offset:         8
        .size:           4
        .value_kind:     by_value
      - .address_space:  global
        .offset:         16
        .size:           8
        .value_kind:     global_buffer
      - .offset:         24
        .size:           4
        .value_kind:     by_value
      - .offset:         28
        .size:           4
        .value_kind:     by_value
      - .offset:         32
        .size:           8
        .value_kind:     by_value
      - .address_space:  global
        .offset:         40
        .size:           8
        .value_kind:     global_buffer
      - .offset:         48
        .size:           8
        .value_kind:     by_value
      - .address_space:  global
        .offset:         56
        .size:           8
        .value_kind:     global_buffer
      - .offset:         64
        .size:           4
        .value_kind:     by_value
      - .offset:         72
        .size:           8
        .value_kind:     by_value
      - .offset:         80
        .size:           4
        .value_kind:     hidden_block_count_x
      - .offset:         84
        .size:           4
        .value_kind:     hidden_block_count_y
      - .offset:         88
        .size:           4
        .value_kind:     hidden_block_count_z
      - .offset:         92
        .size:           2
        .value_kind:     hidden_group_size_x
      - .offset:         94
        .size:           2
        .value_kind:     hidden_group_size_y
      - .offset:         96
        .size:           2
        .value_kind:     hidden_group_size_z
      - .offset:         98
        .size:           2
        .value_kind:     hidden_remainder_x
      - .offset:         100
        .size:           2
        .value_kind:     hidden_remainder_y
      - .offset:         102
        .size:           2
        .value_kind:     hidden_remainder_z
      - .offset:         120
        .size:           8
        .value_kind:     hidden_global_offset_x
      - .offset:         128
        .size:           8
        .value_kind:     hidden_global_offset_y
      - .offset:         136
        .size:           8
        .value_kind:     hidden_global_offset_z
      - .offset:         144
        .size:           2
        .value_kind:     hidden_grid_dims
      - .offset:         200
        .size:           4
        .value_kind:     hidden_dynamic_lds_size
    .group_segment_fixed_size: 0
    .kernarg_segment_align: 8
    .kernarg_segment_size: 336
    .language:       OpenCL C
    .language_version:
      - 2
      - 0
    .max_flat_workgroup_size: 1024
    .name:           _ZN9rocsolver6v33100L20larft_kernel_forwardI19rocblas_complex_numIdEPS3_EEv15rocblas_storev_iiT0_iilPT_lS8_il
    .private_segment_fixed_size: 0
    .sgpr_count:     50
    .sgpr_spill_count: 0
    .symbol:         _ZN9rocsolver6v33100L20larft_kernel_forwardI19rocblas_complex_numIdEPS3_EEv15rocblas_storev_iiT0_iilPT_lS8_il.kd
    .uniform_work_group_size: 1
    .uses_dynamic_stack: false
    .vgpr_count:     27
    .vgpr_spill_count: 0
    .wavefront_size: 32
    .workgroup_processor_mode: 1
  - .args:
      - .offset:         0
        .size:           4
        .value_kind:     by_value
      - .offset:         4
        .size:           4
        .value_kind:     by_value
      - .offset:         8
        .size:           4
        .value_kind:     by_value
      - .address_space:  global
        .offset:         16
        .size:           8
        .value_kind:     global_buffer
      - .offset:         24
        .size:           4
        .value_kind:     by_value
      - .offset:         28
        .size:           4
        .value_kind:     by_value
      - .offset:         32
        .size:           8
        .value_kind:     by_value
      - .address_space:  global
        .offset:         40
        .size:           8
        .value_kind:     global_buffer
      - .offset:         48
        .size:           8
        .value_kind:     by_value
      - .address_space:  global
        .offset:         56
        .size:           8
        .value_kind:     global_buffer
      - .offset:         64
        .size:           4
        .value_kind:     by_value
      - .offset:         72
        .size:           8
        .value_kind:     by_value
      - .offset:         80
        .size:           4
        .value_kind:     hidden_block_count_x
      - .offset:         84
        .size:           4
        .value_kind:     hidden_block_count_y
      - .offset:         88
        .size:           4
        .value_kind:     hidden_block_count_z
      - .offset:         92
        .size:           2
        .value_kind:     hidden_group_size_x
      - .offset:         94
        .size:           2
        .value_kind:     hidden_group_size_y
      - .offset:         96
        .size:           2
        .value_kind:     hidden_group_size_z
      - .offset:         98
        .size:           2
        .value_kind:     hidden_remainder_x
      - .offset:         100
        .size:           2
        .value_kind:     hidden_remainder_y
      - .offset:         102
        .size:           2
        .value_kind:     hidden_remainder_z
      - .offset:         120
        .size:           8
        .value_kind:     hidden_global_offset_x
      - .offset:         128
        .size:           8
        .value_kind:     hidden_global_offset_y
      - .offset:         136
        .size:           8
        .value_kind:     hidden_global_offset_z
      - .offset:         144
        .size:           2
        .value_kind:     hidden_grid_dims
      - .offset:         200
        .size:           4
        .value_kind:     hidden_dynamic_lds_size
    .group_segment_fixed_size: 0
    .kernarg_segment_align: 8
    .kernarg_segment_size: 336
    .language:       OpenCL C
    .language_version:
      - 2
      - 0
    .max_flat_workgroup_size: 1024
    .name:           _ZN9rocsolver6v33100L21larft_kernel_backwardI19rocblas_complex_numIdEPS3_EEv15rocblas_storev_iiT0_iilPT_lS8_il
    .private_segment_fixed_size: 0
    .sgpr_count:     54
    .sgpr_spill_count: 0
    .symbol:         _ZN9rocsolver6v33100L21larft_kernel_backwardI19rocblas_complex_numIdEPS3_EEv15rocblas_storev_iiT0_iilPT_lS8_il.kd
    .uniform_work_group_size: 1
    .uses_dynamic_stack: false
    .vgpr_count:     24
    .vgpr_spill_count: 0
    .wavefront_size: 32
    .workgroup_processor_mode: 1
  - .args:
      - .offset:         0
        .size:           4
        .value_kind:     by_value
      - .offset:         4
        .size:           4
        .value_kind:     by_value
      - .address_space:  global
        .offset:         8
        .size:           8
        .value_kind:     global_buffer
      - .offset:         16
        .size:           4
        .value_kind:     by_value
      - .offset:         20
        .size:           4
        .value_kind:     by_value
      - .offset:         24
        .size:           8
        .value_kind:     by_value
      - .address_space:  global
        .offset:         32
        .size:           8
        .value_kind:     global_buffer
      - .offset:         40
        .size:           4
        .value_kind:     hidden_block_count_x
      - .offset:         44
        .size:           4
        .value_kind:     hidden_block_count_y
      - .offset:         48
        .size:           4
        .value_kind:     hidden_block_count_z
      - .offset:         52
        .size:           2
        .value_kind:     hidden_group_size_x
      - .offset:         54
        .size:           2
        .value_kind:     hidden_group_size_y
      - .offset:         56
        .size:           2
        .value_kind:     hidden_group_size_z
      - .offset:         58
        .size:           2
        .value_kind:     hidden_remainder_x
      - .offset:         60
        .size:           2
        .value_kind:     hidden_remainder_y
      - .offset:         62
        .size:           2
        .value_kind:     hidden_remainder_z
      - .offset:         80
        .size:           8
        .value_kind:     hidden_global_offset_x
      - .offset:         88
        .size:           8
        .value_kind:     hidden_global_offset_y
      - .offset:         96
        .size:           8
        .value_kind:     hidden_global_offset_z
      - .offset:         104
        .size:           2
        .value_kind:     hidden_grid_dims
    .group_segment_fixed_size: 0
    .kernarg_segment_align: 8
    .kernarg_segment_size: 296
    .language:       OpenCL C
    .language_version:
      - 2
      - 0
    .max_flat_workgroup_size: 1024
    .name:           _ZN9rocsolver6v33100L9copymatA1I19rocblas_complex_numIdEPS3_EEviiT0_iilPT_
    .private_segment_fixed_size: 0
    .sgpr_count:     18
    .sgpr_spill_count: 0
    .symbol:         _ZN9rocsolver6v33100L9copymatA1I19rocblas_complex_numIdEPS3_EEviiT0_iilPT_.kd
    .uniform_work_group_size: 1
    .uses_dynamic_stack: false
    .vgpr_count:     9
    .vgpr_spill_count: 0
    .wavefront_size: 32
    .workgroup_processor_mode: 1
  - .args:
      - .offset:         0
        .size:           4
        .value_kind:     by_value
      - .offset:         4
        .size:           4
        .value_kind:     by_value
      - .address_space:  global
        .offset:         8
        .size:           8
        .value_kind:     global_buffer
      - .offset:         16
        .size:           4
        .value_kind:     by_value
      - .offset:         20
        .size:           4
        .value_kind:     by_value
      - .offset:         24
        .size:           8
        .value_kind:     by_value
      - .address_space:  global
        .offset:         32
        .size:           8
        .value_kind:     global_buffer
      - .offset:         40
        .size:           4
        .value_kind:     hidden_block_count_x
      - .offset:         44
        .size:           4
        .value_kind:     hidden_block_count_y
      - .offset:         48
        .size:           4
        .value_kind:     hidden_block_count_z
      - .offset:         52
        .size:           2
        .value_kind:     hidden_group_size_x
      - .offset:         54
        .size:           2
        .value_kind:     hidden_group_size_y
      - .offset:         56
        .size:           2
        .value_kind:     hidden_group_size_z
      - .offset:         58
        .size:           2
        .value_kind:     hidden_remainder_x
      - .offset:         60
        .size:           2
        .value_kind:     hidden_remainder_y
      - .offset:         62
        .size:           2
        .value_kind:     hidden_remainder_z
      - .offset:         80
        .size:           8
        .value_kind:     hidden_global_offset_x
      - .offset:         88
        .size:           8
        .value_kind:     hidden_global_offset_y
      - .offset:         96
        .size:           8
        .value_kind:     hidden_global_offset_z
      - .offset:         104
        .size:           2
        .value_kind:     hidden_grid_dims
    .group_segment_fixed_size: 0
    .kernarg_segment_align: 8
    .kernarg_segment_size: 296
    .language:       OpenCL C
    .language_version:
      - 2
      - 0
    .max_flat_workgroup_size: 1024
    .name:           _ZN9rocsolver6v33100L8addmatA1I19rocblas_complex_numIdEPS3_EEviiT0_iilPT_
    .private_segment_fixed_size: 0
    .sgpr_count:     18
    .sgpr_spill_count: 0
    .symbol:         _ZN9rocsolver6v33100L8addmatA1I19rocblas_complex_numIdEPS3_EEviiT0_iilPT_.kd
    .uniform_work_group_size: 1
    .uses_dynamic_stack: false
    .vgpr_count:     10
    .vgpr_spill_count: 0
    .wavefront_size: 32
    .workgroup_processor_mode: 1
  - .args:
      - .offset:         0
        .size:           4
        .value_kind:     by_value
      - .offset:         4
        .size:           4
        .value_kind:     by_value
      - .address_space:  global
        .offset:         8
        .size:           8
        .value_kind:     global_buffer
      - .offset:         16
        .size:           4
        .value_kind:     by_value
      - .offset:         20
        .size:           4
        .value_kind:     by_value
      - .offset:         24
        .size:           8
        .value_kind:     by_value
      - .address_space:  global
        .offset:         32
        .size:           8
        .value_kind:     global_buffer
      - .offset:         40
        .size:           4
        .value_kind:     by_value
      - .offset:         44
        .size:           4
        .value_kind:     by_value
      - .offset:         48
        .size:           8
        .value_kind:     by_value
      - .offset:         56
        .size:           1
        .value_kind:     by_value
      - .offset:         60
        .size:           4
        .value_kind:     by_value
      - .offset:         64
        .size:           4
        .value_kind:     by_value
      - .offset:         72
        .size:           4
        .value_kind:     hidden_block_count_x
      - .offset:         76
        .size:           4
        .value_kind:     hidden_block_count_y
      - .offset:         80
        .size:           4
        .value_kind:     hidden_block_count_z
      - .offset:         84
        .size:           2
        .value_kind:     hidden_group_size_x
      - .offset:         86
        .size:           2
        .value_kind:     hidden_group_size_y
      - .offset:         88
        .size:           2
        .value_kind:     hidden_group_size_z
      - .offset:         90
        .size:           2
        .value_kind:     hidden_remainder_x
      - .offset:         92
        .size:           2
        .value_kind:     hidden_remainder_y
      - .offset:         94
        .size:           2
        .value_kind:     hidden_remainder_z
      - .offset:         112
        .size:           8
        .value_kind:     hidden_global_offset_x
      - .offset:         120
        .size:           8
        .value_kind:     hidden_global_offset_y
      - .offset:         128
        .size:           8
        .value_kind:     hidden_global_offset_z
      - .offset:         136
        .size:           2
        .value_kind:     hidden_grid_dims
    .group_segment_fixed_size: 0
    .kernarg_segment_align: 8
    .kernarg_segment_size: 328
    .language:       OpenCL C
    .language_version:
      - 2
      - 0
    .max_flat_workgroup_size: 1024
    .name:           _ZN9rocsolver6v33100L8copy_matI19rocblas_complex_numIdEPS3_S4_NS0_7no_maskEEEviiT0_iilT1_iilT2_13rocblas_fill_17rocblas_diagonal_
    .private_segment_fixed_size: 0
    .sgpr_count:     18
    .sgpr_spill_count: 0
    .symbol:         _ZN9rocsolver6v33100L8copy_matI19rocblas_complex_numIdEPS3_S4_NS0_7no_maskEEEviiT0_iilT1_iilT2_13rocblas_fill_17rocblas_diagonal_.kd
    .uniform_work_group_size: 1
    .uses_dynamic_stack: false
    .vgpr_count:     9
    .vgpr_spill_count: 0
    .wavefront_size: 32
    .workgroup_processor_mode: 1
  - .args:
      - .offset:         0
        .size:           4
        .value_kind:     by_value
      - .offset:         4
        .size:           4
        .value_kind:     by_value
      - .address_space:  global
        .offset:         8
        .size:           8
        .value_kind:     global_buffer
      - .offset:         16
        .size:           8
        .value_kind:     by_value
      - .offset:         24
        .size:           4
        .value_kind:     by_value
      - .offset:         32
        .size:           8
        .value_kind:     by_value
      - .address_space:  global
        .offset:         40
        .size:           8
        .value_kind:     global_buffer
      - .offset:         48
        .size:           8
        .value_kind:     by_value
      - .address_space:  global
        .offset:         56
        .size:           8
        .value_kind:     global_buffer
      - .offset:         64
        .size:           8
        .value_kind:     by_value
    .group_segment_fixed_size: 0
    .kernarg_segment_align: 8
    .kernarg_segment_size: 72
    .language:       OpenCL C
    .language_version:
      - 2
      - 0
    .max_flat_workgroup_size: 256
    .name:           _ZN9rocsolver6v33100L18geqr2_kernel_smallILi256E19rocblas_complex_numIdEidPS3_EEvT1_S5_T3_lS5_lPT2_lPT0_l
    .private_segment_fixed_size: 0
    .sgpr_count:     42
    .sgpr_spill_count: 0
    .symbol:         _ZN9rocsolver6v33100L18geqr2_kernel_smallILi256E19rocblas_complex_numIdEidPS3_EEvT1_S5_T3_lS5_lPT2_lPT0_l.kd
    .uniform_work_group_size: 1
    .uses_dynamic_stack: false
    .vgpr_count:     56
    .vgpr_spill_count: 0
    .wavefront_size: 32
    .workgroup_processor_mode: 1
  - .args:
      - .address_space:  global
        .offset:         0
        .size:           8
        .value_kind:     global_buffer
      - .offset:         8
        .size:           8
        .value_kind:     by_value
      - .offset:         16
        .size:           8
        .value_kind:     by_value
      - .address_space:  global
        .offset:         24
        .size:           8
        .value_kind:     global_buffer
      - .offset:         32
        .size:           8
        .value_kind:     by_value
      - .offset:         40
        .size:           4
        .value_kind:     by_value
      - .offset:         48
        .size:           8
        .value_kind:     by_value
      - .offset:         56
        .size:           4
        .value_kind:     by_value
      - .offset:         64
        .size:           4
        .value_kind:     hidden_block_count_x
      - .offset:         68
        .size:           4
        .value_kind:     hidden_block_count_y
      - .offset:         72
        .size:           4
        .value_kind:     hidden_block_count_z
      - .offset:         76
        .size:           2
        .value_kind:     hidden_group_size_x
      - .offset:         78
        .size:           2
        .value_kind:     hidden_group_size_y
      - .offset:         80
        .size:           2
        .value_kind:     hidden_group_size_z
      - .offset:         82
        .size:           2
        .value_kind:     hidden_remainder_x
      - .offset:         84
        .size:           2
        .value_kind:     hidden_remainder_y
      - .offset:         86
        .size:           2
        .value_kind:     hidden_remainder_z
      - .offset:         104
        .size:           8
        .value_kind:     hidden_global_offset_x
      - .offset:         112
        .size:           8
        .value_kind:     hidden_global_offset_y
      - .offset:         120
        .size:           8
        .value_kind:     hidden_global_offset_z
      - .offset:         128
        .size:           2
        .value_kind:     hidden_grid_dims
    .group_segment_fixed_size: 0
    .kernarg_segment_align: 8
    .kernarg_segment_size: 320
    .language:       OpenCL C
    .language_version:
      - 2
      - 0
    .max_flat_workgroup_size: 1024
    .name:           _ZN9rocsolver6v33100L12restore_diagI19rocblas_complex_numIdEidPS3_EEvPT1_llT2_lT0_lS8_
    .private_segment_fixed_size: 0
    .sgpr_count:     19
    .sgpr_spill_count: 0
    .symbol:         _ZN9rocsolver6v33100L12restore_diagI19rocblas_complex_numIdEidPS3_EEvPT1_llT2_lT0_lS8_.kd
    .uniform_work_group_size: 1
    .uses_dynamic_stack: false
    .vgpr_count:     7
    .vgpr_spill_count: 0
    .wavefront_size: 32
    .workgroup_processor_mode: 1
  - .args:
      - .offset:         0
        .size:           4
        .value_kind:     by_value
      - .address_space:  global
        .offset:         8
        .size:           8
        .value_kind:     global_buffer
      - .offset:         16
        .size:           8
        .value_kind:     by_value
      - .address_space:  global
        .offset:         24
        .size:           8
        .value_kind:     global_buffer
      - .offset:         32
        .size:           4
        .value_kind:     by_value
      - .offset:         40
        .size:           8
        .value_kind:     by_value
      - .address_space:  global
        .offset:         48
        .size:           8
        .value_kind:     global_buffer
      - .offset:         56
        .size:           4
        .value_kind:     by_value
      - .offset:         64
        .size:           8
        .value_kind:     by_value
      - .offset:         72
        .size:           4
        .value_kind:     by_value
      - .offset:         80
        .size:           4
        .value_kind:     hidden_block_count_x
      - .offset:         84
        .size:           4
        .value_kind:     hidden_block_count_y
      - .offset:         88
        .size:           4
        .value_kind:     hidden_block_count_z
      - .offset:         92
        .size:           2
        .value_kind:     hidden_group_size_x
      - .offset:         94
        .size:           2
        .value_kind:     hidden_group_size_y
      - .offset:         96
        .size:           2
        .value_kind:     hidden_group_size_z
      - .offset:         98
        .size:           2
        .value_kind:     hidden_remainder_x
      - .offset:         100
        .size:           2
        .value_kind:     hidden_remainder_y
      - .offset:         102
        .size:           2
        .value_kind:     hidden_remainder_z
      - .offset:         120
        .size:           8
        .value_kind:     hidden_global_offset_x
      - .offset:         128
        .size:           8
        .value_kind:     hidden_global_offset_y
      - .offset:         136
        .size:           8
        .value_kind:     hidden_global_offset_z
      - .offset:         144
        .size:           2
        .value_kind:     hidden_grid_dims
    .group_segment_fixed_size: 0
    .kernarg_segment_align: 8
    .kernarg_segment_size: 336
    .language:       OpenCL C
    .language_version:
      - 2
      - 0
    .max_flat_workgroup_size: 1024
    .name:           _ZN9rocsolver6v33100L16gesdd_flip_signsI19rocblas_complex_numIdEdEEviPT0_lPT_ilS7_ili
    .private_segment_fixed_size: 0
    .sgpr_count:     40
    .sgpr_spill_count: 0
    .symbol:         _ZN9rocsolver6v33100L16gesdd_flip_signsI19rocblas_complex_numIdEdEEviPT0_lPT_ilS7_ili.kd
    .uniform_work_group_size: 1
    .uses_dynamic_stack: false
    .vgpr_count:     13
    .vgpr_spill_count: 0
    .wavefront_size: 32
    .workgroup_processor_mode: 1
  - .args:
      - .offset:         0
        .size:           4
        .value_kind:     by_value
      - .offset:         4
        .size:           4
        .value_kind:     by_value
      - .offset:         8
        .size:           4
        .value_kind:     by_value
      - .address_space:  global
        .offset:         16
        .size:           8
        .value_kind:     global_buffer
      - .offset:         24
        .size:           4
        .value_kind:     by_value
      - .offset:         28
        .size:           4
        .value_kind:     by_value
      - .offset:         32
        .size:           8
        .value_kind:     by_value
      - .offset:         40
        .size:           4
        .value_kind:     hidden_block_count_x
      - .offset:         44
        .size:           4
        .value_kind:     hidden_block_count_y
      - .offset:         48
        .size:           4
        .value_kind:     hidden_block_count_z
      - .offset:         52
        .size:           2
        .value_kind:     hidden_group_size_x
      - .offset:         54
        .size:           2
        .value_kind:     hidden_group_size_y
      - .offset:         56
        .size:           2
        .value_kind:     hidden_group_size_z
      - .offset:         58
        .size:           2
        .value_kind:     hidden_remainder_x
      - .offset:         60
        .size:           2
        .value_kind:     hidden_remainder_y
      - .offset:         62
        .size:           2
        .value_kind:     hidden_remainder_z
      - .offset:         80
        .size:           8
        .value_kind:     hidden_global_offset_x
      - .offset:         88
        .size:           8
        .value_kind:     hidden_global_offset_y
      - .offset:         96
        .size:           8
        .value_kind:     hidden_global_offset_z
      - .offset:         104
        .size:           2
        .value_kind:     hidden_grid_dims
    .group_segment_fixed_size: 0
    .kernarg_segment_align: 8
    .kernarg_segment_size: 296
    .language:       OpenCL C
    .language_version:
      - 2
      - 0
    .max_flat_workgroup_size: 1024
    .name:           _ZN9rocsolver6v33100L16org2r_init_identI19rocblas_complex_numIdEPS3_EEviiiT0_iil
    .private_segment_fixed_size: 0
    .sgpr_count:     18
    .sgpr_spill_count: 0
    .symbol:         _ZN9rocsolver6v33100L16org2r_init_identI19rocblas_complex_numIdEPS3_EEviiiT0_iil.kd
    .uniform_work_group_size: 1
    .uses_dynamic_stack: false
    .vgpr_count:     7
    .vgpr_spill_count: 0
    .wavefront_size: 32
    .workgroup_processor_mode: 1
  - .args:
      - .offset:         0
        .size:           4
        .value_kind:     by_value
      - .offset:         4
        .size:           4
        .value_kind:     by_value
      - .address_space:  global
        .offset:         8
        .size:           8
        .value_kind:     global_buffer
      - .offset:         16
        .size:           4
        .value_kind:     by_value
      - .offset:         20
        .size:           4
        .value_kind:     by_value
      - .offset:         24
        .size:           8
        .value_kind:     by_value
      - .address_space:  global
        .offset:         32
        .size:           8
        .value_kind:     global_buffer
      - .offset:         40
        .size:           8
        .value_kind:     by_value
    .group_segment_fixed_size: 0
    .kernarg_segment_align: 8
    .kernarg_segment_size: 48
    .language:       OpenCL C
    .language_version:
      - 2
      - 0
    .max_flat_workgroup_size: 1024
    .name:           _ZN9rocsolver6v33100L12subtract_tauI19rocblas_complex_numIdEPS3_EEviiT0_iilPT_l
    .private_segment_fixed_size: 0
    .sgpr_count:     16
    .sgpr_spill_count: 0
    .symbol:         _ZN9rocsolver6v33100L12subtract_tauI19rocblas_complex_numIdEPS3_EEviiT0_iilPT_l.kd
    .uniform_work_group_size: 1
    .uses_dynamic_stack: false
    .vgpr_count:     5
    .vgpr_spill_count: 0
    .wavefront_size: 32
    .workgroup_processor_mode: 1
  - .args:
      - .offset:         0
        .size:           4
        .value_kind:     by_value
      - .address_space:  global
        .offset:         8
        .size:           8
        .value_kind:     global_buffer
      - .offset:         16
        .size:           8
        .value_kind:     by_value
      - .offset:         24
        .size:           4
        .value_kind:     hidden_block_count_x
      - .offset:         28
        .size:           4
        .value_kind:     hidden_block_count_y
      - .offset:         32
        .size:           4
        .value_kind:     hidden_block_count_z
      - .offset:         36
        .size:           2
        .value_kind:     hidden_group_size_x
      - .offset:         38
        .size:           2
        .value_kind:     hidden_group_size_y
      - .offset:         40
        .size:           2
        .value_kind:     hidden_group_size_z
      - .offset:         42
        .size:           2
        .value_kind:     hidden_remainder_x
      - .offset:         44
        .size:           2
        .value_kind:     hidden_remainder_y
      - .offset:         46
        .size:           2
        .value_kind:     hidden_remainder_z
      - .offset:         64
        .size:           8
        .value_kind:     hidden_global_offset_x
      - .offset:         72
        .size:           8
        .value_kind:     hidden_global_offset_y
      - .offset:         80
        .size:           8
        .value_kind:     hidden_global_offset_z
      - .offset:         88
        .size:           2
        .value_kind:     hidden_grid_dims
    .group_segment_fixed_size: 0
    .kernarg_segment_align: 8
    .kernarg_segment_size: 280
    .language:       OpenCL C
    .language_version:
      - 2
      - 0
    .max_flat_workgroup_size: 1024
    .name:           _ZN9rocsolver6v33100L6restauI19rocblas_complex_numIdEEEviPT_l
    .private_segment_fixed_size: 0
    .sgpr_count:     18
    .sgpr_spill_count: 0
    .symbol:         _ZN9rocsolver6v33100L6restauI19rocblas_complex_numIdEEEviPT_l.kd
    .uniform_work_group_size: 1
    .uses_dynamic_stack: false
    .vgpr_count:     6
    .vgpr_spill_count: 0
    .wavefront_size: 32
    .workgroup_processor_mode: 1
  - .args:
      - .offset:         0
        .size:           4
        .value_kind:     by_value
      - .offset:         4
        .size:           4
        .value_kind:     by_value
      - .offset:         8
        .size:           4
        .value_kind:     by_value
      - .address_space:  global
        .offset:         16
        .size:           8
        .value_kind:     global_buffer
      - .offset:         24
        .size:           4
        .value_kind:     by_value
      - .offset:         28
        .size:           4
        .value_kind:     by_value
      - .offset:         32
        .size:           8
        .value_kind:     by_value
      - .address_space:  global
        .offset:         40
        .size:           8
        .value_kind:     global_buffer
      - .offset:         48
        .size:           4
        .value_kind:     by_value
      - .offset:         52
        .size:           4
        .value_kind:     by_value
      - .offset:         56
        .size:           8
        .value_kind:     by_value
      - .offset:         64
        .size:           1
        .value_kind:     by_value
      - .offset:         68
        .size:           4
        .value_kind:     by_value
      - .offset:         72
        .size:           4
        .value_kind:     by_value
      - .offset:         80
        .size:           4
        .value_kind:     hidden_block_count_x
      - .offset:         84
        .size:           4
        .value_kind:     hidden_block_count_y
      - .offset:         88
        .size:           4
        .value_kind:     hidden_block_count_z
      - .offset:         92
        .size:           2
        .value_kind:     hidden_group_size_x
      - .offset:         94
        .size:           2
        .value_kind:     hidden_group_size_y
      - .offset:         96
        .size:           2
        .value_kind:     hidden_group_size_z
      - .offset:         98
        .size:           2
        .value_kind:     hidden_remainder_x
      - .offset:         100
        .size:           2
        .value_kind:     hidden_remainder_y
      - .offset:         102
        .size:           2
        .value_kind:     hidden_remainder_z
      - .offset:         120
        .size:           8
        .value_kind:     hidden_global_offset_x
      - .offset:         128
        .size:           8
        .value_kind:     hidden_global_offset_y
      - .offset:         136
        .size:           8
        .value_kind:     hidden_global_offset_z
      - .offset:         144
        .size:           2
        .value_kind:     hidden_grid_dims
    .group_segment_fixed_size: 0
    .kernarg_segment_align: 8
    .kernarg_segment_size: 336
    .language:       OpenCL C
    .language_version:
      - 2
      - 0
    .max_flat_workgroup_size: 1024
    .name:           _ZN9rocsolver6v33100L14copy_trans_matI19rocblas_complex_numIdES3_PS3_S4_NS0_7no_maskEEEv18rocblas_operation_iiT1_iilT2_iilT3_13rocblas_fill_17rocblas_diagonal_
    .private_segment_fixed_size: 0
    .sgpr_count:     22
    .sgpr_spill_count: 0
    .symbol:         _ZN9rocsolver6v33100L14copy_trans_matI19rocblas_complex_numIdES3_PS3_S4_NS0_7no_maskEEEv18rocblas_operation_iiT1_iilT2_iilT3_13rocblas_fill_17rocblas_diagonal_.kd
    .uniform_work_group_size: 1
    .uses_dynamic_stack: false
    .vgpr_count:     10
    .vgpr_spill_count: 0
    .wavefront_size: 32
    .workgroup_processor_mode: 1
  - .args:
      - .offset:         0
        .size:           4
        .value_kind:     by_value
      - .offset:         4
        .size:           4
        .value_kind:     by_value
      - .offset:         8
        .size:           4
        .value_kind:     by_value
      - .address_space:  global
        .offset:         16
        .size:           8
        .value_kind:     global_buffer
      - .offset:         24
        .size:           4
        .value_kind:     by_value
      - .offset:         28
        .size:           4
        .value_kind:     by_value
      - .offset:         32
        .size:           8
        .value_kind:     by_value
      - .offset:         40
        .size:           4
        .value_kind:     hidden_block_count_x
      - .offset:         44
        .size:           4
        .value_kind:     hidden_block_count_y
      - .offset:         48
        .size:           4
        .value_kind:     hidden_block_count_z
      - .offset:         52
        .size:           2
        .value_kind:     hidden_group_size_x
      - .offset:         54
        .size:           2
        .value_kind:     hidden_group_size_y
      - .offset:         56
        .size:           2
        .value_kind:     hidden_group_size_z
      - .offset:         58
        .size:           2
        .value_kind:     hidden_remainder_x
      - .offset:         60
        .size:           2
        .value_kind:     hidden_remainder_y
      - .offset:         62
        .size:           2
        .value_kind:     hidden_remainder_z
      - .offset:         80
        .size:           8
        .value_kind:     hidden_global_offset_x
      - .offset:         88
        .size:           8
        .value_kind:     hidden_global_offset_y
      - .offset:         96
        .size:           8
        .value_kind:     hidden_global_offset_z
      - .offset:         104
        .size:           2
        .value_kind:     hidden_grid_dims
    .group_segment_fixed_size: 0
    .kernarg_segment_align: 8
    .kernarg_segment_size: 296
    .language:       OpenCL C
    .language_version:
      - 2
      - 0
    .max_flat_workgroup_size: 1024
    .name:           _ZN9rocsolver6v33100L16orgl2_init_identI19rocblas_complex_numIdEPS3_EEviiiT0_iil
    .private_segment_fixed_size: 0
    .sgpr_count:     18
    .sgpr_spill_count: 0
    .symbol:         _ZN9rocsolver6v33100L16orgl2_init_identI19rocblas_complex_numIdEPS3_EEviiiT0_iil.kd
    .uniform_work_group_size: 1
    .uses_dynamic_stack: false
    .vgpr_count:     7
    .vgpr_spill_count: 0
    .wavefront_size: 32
    .workgroup_processor_mode: 1
amdhsa.target:   amdgcn-amd-amdhsa--gfx1100
amdhsa.version:
  - 1
  - 2
...

	.end_amdgpu_metadata
